;; amdgpu-corpus repo=ROCm/aiter kind=compiled arch=gfx90a opt=O3
	.text
	.amdgcn_target "amdgcn-amd-amdhsa--gfx90a"
	.amdhsa_code_object_version 6
	.section	.text._ZN7ck_tileL11flush_cacheEv,"axG",@progbits,_ZN7ck_tileL11flush_cacheEv,comdat
	.globl	_ZN7ck_tileL11flush_cacheEv     ; -- Begin function _ZN7ck_tileL11flush_cacheEv
	.p2align	8
	.type	_ZN7ck_tileL11flush_cacheEv,@function
_ZN7ck_tileL11flush_cacheEv:            ; @_ZN7ck_tileL11flush_cacheEv
; %bb.0:
	;;#ASMSTART
	s_icache_inv 
	s_nop 0 
	s_nop 0 
	;; [unrolled: 1-line block ×16, first 2 shown]
	
	;;#ASMEND
	s_endpgm
	.section	.rodata,"a",@progbits
	.p2align	6, 0x0
	.amdhsa_kernel _ZN7ck_tileL11flush_cacheEv
		.amdhsa_group_segment_fixed_size 0
		.amdhsa_private_segment_fixed_size 0
		.amdhsa_kernarg_size 0
		.amdhsa_user_sgpr_count 4
		.amdhsa_user_sgpr_private_segment_buffer 1
		.amdhsa_user_sgpr_dispatch_ptr 0
		.amdhsa_user_sgpr_queue_ptr 0
		.amdhsa_user_sgpr_kernarg_segment_ptr 0
		.amdhsa_user_sgpr_dispatch_id 0
		.amdhsa_user_sgpr_flat_scratch_init 0
		.amdhsa_user_sgpr_kernarg_preload_length 0
		.amdhsa_user_sgpr_kernarg_preload_offset 0
		.amdhsa_user_sgpr_private_segment_size 0
		.amdhsa_uses_dynamic_stack 0
		.amdhsa_system_sgpr_private_segment_wavefront_offset 0
		.amdhsa_system_sgpr_workgroup_id_x 1
		.amdhsa_system_sgpr_workgroup_id_y 0
		.amdhsa_system_sgpr_workgroup_id_z 0
		.amdhsa_system_sgpr_workgroup_info 0
		.amdhsa_system_vgpr_workitem_id 0
		.amdhsa_next_free_vgpr 1
		.amdhsa_next_free_sgpr 0
		.amdhsa_accum_offset 4
		.amdhsa_reserve_vcc 0
		.amdhsa_reserve_flat_scratch 0
		.amdhsa_float_round_mode_32 0
		.amdhsa_float_round_mode_16_64 0
		.amdhsa_float_denorm_mode_32 3
		.amdhsa_float_denorm_mode_16_64 3
		.amdhsa_dx10_clamp 1
		.amdhsa_ieee_mode 1
		.amdhsa_fp16_overflow 0
		.amdhsa_tg_split 0
		.amdhsa_exception_fp_ieee_invalid_op 0
		.amdhsa_exception_fp_denorm_src 0
		.amdhsa_exception_fp_ieee_div_zero 0
		.amdhsa_exception_fp_ieee_overflow 0
		.amdhsa_exception_fp_ieee_underflow 0
		.amdhsa_exception_fp_ieee_inexact 0
		.amdhsa_exception_int_div_zero 0
	.end_amdhsa_kernel
	.section	.text._ZN7ck_tileL11flush_cacheEv,"axG",@progbits,_ZN7ck_tileL11flush_cacheEv,comdat
.Lfunc_end0:
	.size	_ZN7ck_tileL11flush_cacheEv, .Lfunc_end0-_ZN7ck_tileL11flush_cacheEv
                                        ; -- End function
	.section	.AMDGPU.csdata,"",@progbits
; Kernel info:
; codeLenInByte = 140
; NumSgprs: 4
; NumVgprs: 0
; NumAgprs: 0
; TotalNumVgprs: 0
; ScratchSize: 0
; MemoryBound: 0
; FloatMode: 240
; IeeeMode: 1
; LDSByteSize: 0 bytes/workgroup (compile time only)
; SGPRBlocks: 0
; VGPRBlocks: 0
; NumSGPRsForWavesPerEU: 4
; NumVGPRsForWavesPerEU: 1
; AccumOffset: 4
; Occupancy: 8
; WaveLimiterHint : 0
; COMPUTE_PGM_RSRC2:SCRATCH_EN: 0
; COMPUTE_PGM_RSRC2:USER_SGPR: 4
; COMPUTE_PGM_RSRC2:TRAP_HANDLER: 0
; COMPUTE_PGM_RSRC2:TGID_X_EN: 1
; COMPUTE_PGM_RSRC2:TGID_Y_EN: 0
; COMPUTE_PGM_RSRC2:TGID_Z_EN: 0
; COMPUTE_PGM_RSRC2:TIDIG_COMP_CNT: 0
; COMPUTE_PGM_RSRC3_GFX90A:ACCUM_OFFSET: 0
; COMPUTE_PGM_RSRC3_GFX90A:TG_SPLIT: 0
	.section	.text._ZN5aiter24topk_softplus_kernel_optIffLi64ELb1ELi1EEEvPKT_PKT0_PfPimiif,"axG",@progbits,_ZN5aiter24topk_softplus_kernel_optIffLi64ELb1ELi1EEEvPKT_PKT0_PfPimiif,comdat
	.protected	_ZN5aiter24topk_softplus_kernel_optIffLi64ELb1ELi1EEEvPKT_PKT0_PfPimiif ; -- Begin function _ZN5aiter24topk_softplus_kernel_optIffLi64ELb1ELi1EEEvPKT_PKT0_PfPimiif
	.globl	_ZN5aiter24topk_softplus_kernel_optIffLi64ELb1ELi1EEEvPKT_PKT0_PfPimiif
	.p2align	8
	.type	_ZN5aiter24topk_softplus_kernel_optIffLi64ELb1ELi1EEEvPKT_PKT0_PfPimiif,@function
_ZN5aiter24topk_softplus_kernel_optIffLi64ELb1ELi1EEEvPKT_PKT0_PfPimiif: ; @_ZN5aiter24topk_softplus_kernel_optIffLi64ELb1ELi1EEEvPKT_PKT0_PfPimiif
; %bb.0:
	s_load_dwordx4 s[0:3], s[4:5], 0x0
	s_lshl_b32 s8, s6, 6
	s_ashr_i32 s9, s8, 31
	s_lshl_b64 s[8:9], s[8:9], 2
	v_lshlrev_b32_e32 v1, 2, v0
	s_waitcnt lgkmcnt(0)
	s_add_u32 s0, s0, s8
	s_addc_u32 s1, s1, s9
	global_load_dword v2, v1, s[0:1]
	s_mov_b32 s0, 0xc2fc0000
	v_mov_b32_e32 v3, 0x42800000
	s_cmp_eq_u64 s[2:3], 0
	s_waitcnt vmcnt(0)
	v_mul_f32_e32 v4, 0xbfb8aa3b, v2
	v_cmp_gt_f32_e32 vcc, s0, v4
	v_cndmask_b32_e32 v3, 0, v3, vcc
	v_fmac_f32_e32 v3, 0xbfb8aa3b, v2
	v_exp_f32_e32 v2, v3
	v_mov_b32_e32 v3, 0x1f800000
	v_cndmask_b32_e32 v3, 1.0, v3, vcc
	v_fma_f32 v2, v2, v3, 1.0
	v_rcp_f32_e32 v4, v2
	v_mov_b32_e32 v2, 0
	v_mov_b32_e32 v5, v4
	s_cbranch_scc1 .LBB1_2
; %bb.1:
	global_load_dword v3, v1, s[2:3]
	s_waitcnt vmcnt(0)
	v_add_f32_e32 v5, v4, v3
.LBB1_2:
	s_load_dword s2, s[4:5], 0x28
	s_load_dwordx4 s[8:11], s[4:5], 0x10
	s_mov_b32 s3, 0
	v_mov_b32_e32 v6, 0
	v_mov_b32_e32 v3, 0
	s_waitcnt lgkmcnt(0)
	s_cmp_lt_i32 s2, 1
	s_cbranch_scc1 .LBB1_5
; %bb.3:
	v_mbcnt_lo_u32_b32 v2, -1, 0
	v_mbcnt_hi_u32_b32 v2, -1, v2
	v_bfrev_b32_e32 v3, 0.5
	v_mov_b32_e32 v7, 0
	v_mov_b32_e32 v8, 0xff800000
	v_lshl_or_b32 v9, v2, 2, v3
	v_mov_b32_e32 v6, 0
	v_mov_b32_e32 v2, 0
	v_mov_b32_e32 v3, 0
.LBB1_4:                                ; =>This Inner Loop Header: Depth=1
	v_cmp_eq_u32_e32 vcc, 0, v7
	v_cndmask_b32_e32 v10, v8, v5, vcc
	;;#ASMSTART
	v_max_f32 v12, v10, v10 quad_perm:[1,0,3,2] row_mask:0xf bank_mask:0xf bound_ctrl:1
	;;#ASMEND
	;;#ASMSTART
	v_max_f32 v13, v12, v12 quad_perm:[2,3,0,1] row_mask:0xf bank_mask:0xf bound_ctrl:1
	;;#ASMEND
	;;#ASMSTART
	v_max_f32 v12, v13, v13 row_half_mirror row_mask:0xf bank_mask:0xf bound_ctrl:1
	;;#ASMEND
	;;#ASMSTART
	v_max_f32 v13, v12, v12 row_mirror row_mask:0xf bank_mask:0xf bound_ctrl:1
	;;#ASMEND
	;;#ASMSTART
	v_max_f32 v12, v13, v13 row_ror:4 row_mask:0xf bank_mask:0xf bound_ctrl:1
	;;#ASMEND
	;;#ASMSTART
	v_max_f32 v13, v12, v12 row_ror:8 row_mask:0xf bank_mask:0xf bound_ctrl:1
	;;#ASMEND
	;;#ASMSTART
	v_max_f32 v12, v13, v13 row_bcast:15 row_mask:0xf bank_mask:0xf bound_ctrl:1
	;;#ASMEND
	;;#ASMSTART
	v_max_f32 v13, v12, v12 row_bcast:31 row_mask:0xf bank_mask:0xf bound_ctrl:1
	;;#ASMEND
	ds_bpermute_b32 v12, v9, v13
	v_cndmask_b32_e32 v11, 0, v0, vcc
	s_waitcnt lgkmcnt(0)
	v_cmp_eq_f32_e64 s[0:1], v10, v12
	s_ff1_i32_b64 s7, s[0:1]
	s_cmp_lg_u64 s[0:1], 0
	s_cselect_b32 s0, s7, 0
	s_nop 0
	v_readlane_b32 s7, v11, s0
	v_cmp_eq_u32_e64 s[0:1], s7, v0
	s_and_b64 vcc, vcc, s[0:1]
	s_and_b32 s12, s7, 63
	v_cndmask_b32_e32 v11, 0, v4, vcc
	v_addc_co_u32_e32 v7, vcc, 0, v7, vcc
	v_readlane_b32 s0, v11, s12
	v_mov_b32_e32 v10, s7
	v_mov_b32_e32 v11, s0
	v_cmp_eq_u32_e32 vcc, s3, v0
	s_add_i32 s3, s3, 1
	v_add_f32_e32 v6, s0, v6
	v_cndmask_b32_e32 v3, v3, v11, vcc
	s_cmp_eq_u32 s2, s3
	v_cndmask_b32_e32 v2, v2, v10, vcc
	s_cbranch_scc0 .LBB1_4
.LBB1_5:
	v_cmp_gt_i32_e32 vcc, s2, v0
	s_and_saveexec_b64 s[0:1], vcc
	s_cbranch_execz .LBB1_7
; %bb.6:
	s_load_dword s2, s[4:5], 0x30
	v_max_f32_e32 v0, v6, v6
	v_max_f32_e32 v0, 0x1e3ce508, v0
	s_waitcnt lgkmcnt(0)
	v_div_scale_f32 v4, s[0:1], v0, v0, s2
	v_rcp_f32_e32 v5, v4
	v_div_scale_f32 v6, vcc, s2, v0, s2
	s_load_dwordx2 s[0:1], s[4:5], 0x20
	v_fma_f32 v7, -v4, v5, 1.0
	v_fmac_f32_e32 v5, v7, v5
	v_mul_f32_e32 v7, v6, v5
	v_fma_f32 v8, -v4, v7, v6
	v_fmac_f32_e32 v7, v8, v5
	v_fma_f32 v4, -v4, v7, v6
	v_div_fmas_f32 v4, v4, v5, v7
	v_div_fixup_f32 v0, v4, v0, s2
	s_ashr_i32 s2, s6, 31
	s_waitcnt lgkmcnt(0)
	s_mul_i32 s1, s6, s1
	s_mul_hi_u32 s3, s6, s0
	s_add_i32 s1, s3, s1
	s_mul_i32 s2, s2, s0
	s_add_i32 s1, s1, s2
	s_mul_i32 s0, s6, s0
	s_lshl_b64 s[0:1], s[0:1], 2
	s_add_u32 s2, s8, s0
	s_addc_u32 s3, s9, s1
	s_add_u32 s0, s10, s0
	v_mul_f32_e32 v0, v3, v0
	s_addc_u32 s1, s11, s1
	global_store_dword v1, v0, s[2:3]
	global_store_dword v1, v2, s[0:1]
.LBB1_7:
	s_endpgm
	.section	.rodata,"a",@progbits
	.p2align	6, 0x0
	.amdhsa_kernel _ZN5aiter24topk_softplus_kernel_optIffLi64ELb1ELi1EEEvPKT_PKT0_PfPimiif
		.amdhsa_group_segment_fixed_size 0
		.amdhsa_private_segment_fixed_size 0
		.amdhsa_kernarg_size 52
		.amdhsa_user_sgpr_count 6
		.amdhsa_user_sgpr_private_segment_buffer 1
		.amdhsa_user_sgpr_dispatch_ptr 0
		.amdhsa_user_sgpr_queue_ptr 0
		.amdhsa_user_sgpr_kernarg_segment_ptr 1
		.amdhsa_user_sgpr_dispatch_id 0
		.amdhsa_user_sgpr_flat_scratch_init 0
		.amdhsa_user_sgpr_kernarg_preload_length 0
		.amdhsa_user_sgpr_kernarg_preload_offset 0
		.amdhsa_user_sgpr_private_segment_size 0
		.amdhsa_uses_dynamic_stack 0
		.amdhsa_system_sgpr_private_segment_wavefront_offset 0
		.amdhsa_system_sgpr_workgroup_id_x 1
		.amdhsa_system_sgpr_workgroup_id_y 0
		.amdhsa_system_sgpr_workgroup_id_z 0
		.amdhsa_system_sgpr_workgroup_info 0
		.amdhsa_system_vgpr_workitem_id 0
		.amdhsa_next_free_vgpr 14
		.amdhsa_next_free_sgpr 13
		.amdhsa_accum_offset 16
		.amdhsa_reserve_vcc 1
		.amdhsa_reserve_flat_scratch 0
		.amdhsa_float_round_mode_32 0
		.amdhsa_float_round_mode_16_64 0
		.amdhsa_float_denorm_mode_32 3
		.amdhsa_float_denorm_mode_16_64 3
		.amdhsa_dx10_clamp 1
		.amdhsa_ieee_mode 1
		.amdhsa_fp16_overflow 0
		.amdhsa_tg_split 0
		.amdhsa_exception_fp_ieee_invalid_op 0
		.amdhsa_exception_fp_denorm_src 0
		.amdhsa_exception_fp_ieee_div_zero 0
		.amdhsa_exception_fp_ieee_overflow 0
		.amdhsa_exception_fp_ieee_underflow 0
		.amdhsa_exception_fp_ieee_inexact 0
		.amdhsa_exception_int_div_zero 0
	.end_amdhsa_kernel
	.section	.text._ZN5aiter24topk_softplus_kernel_optIffLi64ELb1ELi1EEEvPKT_PKT0_PfPimiif,"axG",@progbits,_ZN5aiter24topk_softplus_kernel_optIffLi64ELb1ELi1EEEvPKT_PKT0_PfPimiif,comdat
.Lfunc_end1:
	.size	_ZN5aiter24topk_softplus_kernel_optIffLi64ELb1ELi1EEEvPKT_PKT0_PfPimiif, .Lfunc_end1-_ZN5aiter24topk_softplus_kernel_optIffLi64ELb1ELi1EEEvPKT_PKT0_PfPimiif
                                        ; -- End function
	.section	.AMDGPU.csdata,"",@progbits
; Kernel info:
; codeLenInByte = 620
; NumSgprs: 17
; NumVgprs: 14
; NumAgprs: 0
; TotalNumVgprs: 14
; ScratchSize: 0
; MemoryBound: 0
; FloatMode: 240
; IeeeMode: 1
; LDSByteSize: 0 bytes/workgroup (compile time only)
; SGPRBlocks: 2
; VGPRBlocks: 1
; NumSGPRsForWavesPerEU: 17
; NumVGPRsForWavesPerEU: 14
; AccumOffset: 16
; Occupancy: 8
; WaveLimiterHint : 0
; COMPUTE_PGM_RSRC2:SCRATCH_EN: 0
; COMPUTE_PGM_RSRC2:USER_SGPR: 6
; COMPUTE_PGM_RSRC2:TRAP_HANDLER: 0
; COMPUTE_PGM_RSRC2:TGID_X_EN: 1
; COMPUTE_PGM_RSRC2:TGID_Y_EN: 0
; COMPUTE_PGM_RSRC2:TGID_Z_EN: 0
; COMPUTE_PGM_RSRC2:TIDIG_COMP_CNT: 0
; COMPUTE_PGM_RSRC3_GFX90A:ACCUM_OFFSET: 3
; COMPUTE_PGM_RSRC3_GFX90A:TG_SPLIT: 0
	.section	.text._ZN5aiter24topk_softplus_kernel_optIffLi64ELb0ELi1EEEvPKT_PKT0_PfPimiif,"axG",@progbits,_ZN5aiter24topk_softplus_kernel_optIffLi64ELb0ELi1EEEvPKT_PKT0_PfPimiif,comdat
	.protected	_ZN5aiter24topk_softplus_kernel_optIffLi64ELb0ELi1EEEvPKT_PKT0_PfPimiif ; -- Begin function _ZN5aiter24topk_softplus_kernel_optIffLi64ELb0ELi1EEEvPKT_PKT0_PfPimiif
	.globl	_ZN5aiter24topk_softplus_kernel_optIffLi64ELb0ELi1EEEvPKT_PKT0_PfPimiif
	.p2align	8
	.type	_ZN5aiter24topk_softplus_kernel_optIffLi64ELb0ELi1EEEvPKT_PKT0_PfPimiif,@function
_ZN5aiter24topk_softplus_kernel_optIffLi64ELb0ELi1EEEvPKT_PKT0_PfPimiif: ; @_ZN5aiter24topk_softplus_kernel_optIffLi64ELb0ELi1EEEvPKT_PKT0_PfPimiif
; %bb.0:
	s_load_dwordx4 s[0:3], s[4:5], 0x0
	s_lshl_b32 s8, s6, 6
	s_ashr_i32 s9, s8, 31
	s_lshl_b64 s[8:9], s[8:9], 2
	v_lshlrev_b32_e32 v1, 2, v0
	s_waitcnt lgkmcnt(0)
	s_add_u32 s0, s0, s8
	s_addc_u32 s1, s1, s9
	global_load_dword v2, v1, s[0:1]
	s_mov_b32 s0, 0xc2fc0000
	v_mov_b32_e32 v3, 0x42800000
	s_cmp_eq_u64 s[2:3], 0
	s_waitcnt vmcnt(0)
	v_mul_f32_e32 v4, 0xbfb8aa3b, v2
	v_cmp_gt_f32_e32 vcc, s0, v4
	v_cndmask_b32_e32 v3, 0, v3, vcc
	v_fmac_f32_e32 v3, 0xbfb8aa3b, v2
	v_exp_f32_e32 v2, v3
	v_mov_b32_e32 v3, 0x1f800000
	v_cndmask_b32_e32 v3, 1.0, v3, vcc
	v_fma_f32 v2, v2, v3, 1.0
	v_rcp_f32_e32 v4, v2
	v_mov_b32_e32 v2, 0
	v_mov_b32_e32 v5, v4
	s_cbranch_scc1 .LBB2_2
; %bb.1:
	global_load_dword v3, v1, s[2:3]
	s_waitcnt vmcnt(0)
	v_add_f32_e32 v5, v4, v3
.LBB2_2:
	s_load_dword s2, s[4:5], 0x28
	s_load_dwordx4 s[8:11], s[4:5], 0x10
	s_waitcnt lgkmcnt(0)
	s_cmp_lt_i32 s2, 1
	s_cbranch_scc1 .LBB2_8
; %bb.3:
	v_mbcnt_lo_u32_b32 v2, -1, 0
	v_mbcnt_hi_u32_b32 v2, -1, v2
	v_bfrev_b32_e32 v8, 0.5
	s_mov_b32 s3, 0
	v_mov_b32_e32 v6, 0
	v_mov_b32_e32 v3, 0
	v_mov_b32_e32 v7, 0xff800000
	v_lshl_or_b32 v8, v2, 2, v8
	v_mov_b32_e32 v2, 0
.LBB2_4:                                ; =>This Inner Loop Header: Depth=1
	v_cmp_eq_u32_e32 vcc, 0, v6
	v_cndmask_b32_e32 v9, v7, v5, vcc
	;;#ASMSTART
	v_max_f32 v11, v9, v9 quad_perm:[1,0,3,2] row_mask:0xf bank_mask:0xf bound_ctrl:1
	;;#ASMEND
	;;#ASMSTART
	v_max_f32 v12, v11, v11 quad_perm:[2,3,0,1] row_mask:0xf bank_mask:0xf bound_ctrl:1
	;;#ASMEND
	;;#ASMSTART
	v_max_f32 v11, v12, v12 row_half_mirror row_mask:0xf bank_mask:0xf bound_ctrl:1
	;;#ASMEND
	;;#ASMSTART
	v_max_f32 v12, v11, v11 row_mirror row_mask:0xf bank_mask:0xf bound_ctrl:1
	;;#ASMEND
	;;#ASMSTART
	v_max_f32 v11, v12, v12 row_ror:4 row_mask:0xf bank_mask:0xf bound_ctrl:1
	;;#ASMEND
	;;#ASMSTART
	v_max_f32 v12, v11, v11 row_ror:8 row_mask:0xf bank_mask:0xf bound_ctrl:1
	;;#ASMEND
	;;#ASMSTART
	v_max_f32 v11, v12, v12 row_bcast:15 row_mask:0xf bank_mask:0xf bound_ctrl:1
	;;#ASMEND
	;;#ASMSTART
	v_max_f32 v12, v11, v11 row_bcast:31 row_mask:0xf bank_mask:0xf bound_ctrl:1
	;;#ASMEND
	ds_bpermute_b32 v11, v8, v12
	v_cndmask_b32_e32 v10, 0, v0, vcc
	s_waitcnt lgkmcnt(0)
	v_cmp_eq_f32_e64 s[0:1], v9, v11
	s_ff1_i32_b64 s7, s[0:1]
	s_cmp_lg_u64 s[0:1], 0
	s_cselect_b32 s0, s7, 0
	s_nop 0
	v_readlane_b32 s7, v10, s0
	v_cmp_eq_u32_e64 s[0:1], s7, v0
	s_and_b64 vcc, vcc, s[0:1]
	s_and_b32 s12, s7, 63
	v_cndmask_b32_e32 v10, 0, v4, vcc
	v_addc_co_u32_e32 v6, vcc, 0, v6, vcc
	v_readlane_b32 s0, v10, s12
	v_mov_b32_e32 v9, s7
	v_mov_b32_e32 v10, s0
	v_cmp_eq_u32_e32 vcc, s3, v0
	s_add_i32 s3, s3, 1
	v_cndmask_b32_e32 v3, v3, v10, vcc
	s_cmp_eq_u32 s2, s3
	v_cndmask_b32_e32 v2, v2, v9, vcc
	s_cbranch_scc0 .LBB2_4
; %bb.5:
	v_cmp_gt_i32_e32 vcc, s2, v0
	s_and_saveexec_b64 s[0:1], vcc
	s_cbranch_execz .LBB2_7
.LBB2_6:
	s_load_dword s2, s[4:5], 0x30
	s_load_dwordx2 s[0:1], s[4:5], 0x20
	s_ashr_i32 s3, s6, 31
	s_waitcnt lgkmcnt(0)
	v_mul_f32_e32 v0, s2, v3
	s_mul_i32 s1, s6, s1
	s_mul_hi_u32 s2, s6, s0
	s_add_i32 s1, s2, s1
	s_mul_i32 s3, s3, s0
	s_add_i32 s1, s1, s3
	s_mul_i32 s0, s6, s0
	s_lshl_b64 s[0:1], s[0:1], 2
	s_add_u32 s2, s8, s0
	s_addc_u32 s3, s9, s1
	s_add_u32 s0, s10, s0
	s_addc_u32 s1, s11, s1
	global_store_dword v1, v0, s[2:3]
	global_store_dword v1, v2, s[0:1]
.LBB2_7:
	s_endpgm
.LBB2_8:
	v_mov_b32_e32 v3, 0
	v_cmp_gt_i32_e32 vcc, s2, v0
	s_and_saveexec_b64 s[0:1], vcc
	s_cbranch_execnz .LBB2_6
	s_branch .LBB2_7
	.section	.rodata,"a",@progbits
	.p2align	6, 0x0
	.amdhsa_kernel _ZN5aiter24topk_softplus_kernel_optIffLi64ELb0ELi1EEEvPKT_PKT0_PfPimiif
		.amdhsa_group_segment_fixed_size 0
		.amdhsa_private_segment_fixed_size 0
		.amdhsa_kernarg_size 52
		.amdhsa_user_sgpr_count 6
		.amdhsa_user_sgpr_private_segment_buffer 1
		.amdhsa_user_sgpr_dispatch_ptr 0
		.amdhsa_user_sgpr_queue_ptr 0
		.amdhsa_user_sgpr_kernarg_segment_ptr 1
		.amdhsa_user_sgpr_dispatch_id 0
		.amdhsa_user_sgpr_flat_scratch_init 0
		.amdhsa_user_sgpr_kernarg_preload_length 0
		.amdhsa_user_sgpr_kernarg_preload_offset 0
		.amdhsa_user_sgpr_private_segment_size 0
		.amdhsa_uses_dynamic_stack 0
		.amdhsa_system_sgpr_private_segment_wavefront_offset 0
		.amdhsa_system_sgpr_workgroup_id_x 1
		.amdhsa_system_sgpr_workgroup_id_y 0
		.amdhsa_system_sgpr_workgroup_id_z 0
		.amdhsa_system_sgpr_workgroup_info 0
		.amdhsa_system_vgpr_workitem_id 0
		.amdhsa_next_free_vgpr 13
		.amdhsa_next_free_sgpr 13
		.amdhsa_accum_offset 16
		.amdhsa_reserve_vcc 1
		.amdhsa_reserve_flat_scratch 0
		.amdhsa_float_round_mode_32 0
		.amdhsa_float_round_mode_16_64 0
		.amdhsa_float_denorm_mode_32 3
		.amdhsa_float_denorm_mode_16_64 3
		.amdhsa_dx10_clamp 1
		.amdhsa_ieee_mode 1
		.amdhsa_fp16_overflow 0
		.amdhsa_tg_split 0
		.amdhsa_exception_fp_ieee_invalid_op 0
		.amdhsa_exception_fp_denorm_src 0
		.amdhsa_exception_fp_ieee_div_zero 0
		.amdhsa_exception_fp_ieee_overflow 0
		.amdhsa_exception_fp_ieee_underflow 0
		.amdhsa_exception_fp_ieee_inexact 0
		.amdhsa_exception_int_div_zero 0
	.end_amdhsa_kernel
	.section	.text._ZN5aiter24topk_softplus_kernel_optIffLi64ELb0ELi1EEEvPKT_PKT0_PfPimiif,"axG",@progbits,_ZN5aiter24topk_softplus_kernel_optIffLi64ELb0ELi1EEEvPKT_PKT0_PfPimiif,comdat
.Lfunc_end2:
	.size	_ZN5aiter24topk_softplus_kernel_optIffLi64ELb0ELi1EEEvPKT_PKT0_PfPimiif, .Lfunc_end2-_ZN5aiter24topk_softplus_kernel_optIffLi64ELb0ELi1EEEvPKT_PKT0_PfPimiif
                                        ; -- End function
	.section	.AMDGPU.csdata,"",@progbits
; Kernel info:
; codeLenInByte = 536
; NumSgprs: 17
; NumVgprs: 13
; NumAgprs: 0
; TotalNumVgprs: 13
; ScratchSize: 0
; MemoryBound: 0
; FloatMode: 240
; IeeeMode: 1
; LDSByteSize: 0 bytes/workgroup (compile time only)
; SGPRBlocks: 2
; VGPRBlocks: 1
; NumSGPRsForWavesPerEU: 17
; NumVGPRsForWavesPerEU: 13
; AccumOffset: 16
; Occupancy: 8
; WaveLimiterHint : 0
; COMPUTE_PGM_RSRC2:SCRATCH_EN: 0
; COMPUTE_PGM_RSRC2:USER_SGPR: 6
; COMPUTE_PGM_RSRC2:TRAP_HANDLER: 0
; COMPUTE_PGM_RSRC2:TGID_X_EN: 1
; COMPUTE_PGM_RSRC2:TGID_Y_EN: 0
; COMPUTE_PGM_RSRC2:TGID_Z_EN: 0
; COMPUTE_PGM_RSRC2:TIDIG_COMP_CNT: 0
; COMPUTE_PGM_RSRC3_GFX90A:ACCUM_OFFSET: 3
; COMPUTE_PGM_RSRC3_GFX90A:TG_SPLIT: 0
	.section	.text._ZN5aiter24topk_softplus_kernel_optIffLi128ELb1ELi1EEEvPKT_PKT0_PfPimiif,"axG",@progbits,_ZN5aiter24topk_softplus_kernel_optIffLi128ELb1ELi1EEEvPKT_PKT0_PfPimiif,comdat
	.protected	_ZN5aiter24topk_softplus_kernel_optIffLi128ELb1ELi1EEEvPKT_PKT0_PfPimiif ; -- Begin function _ZN5aiter24topk_softplus_kernel_optIffLi128ELb1ELi1EEEvPKT_PKT0_PfPimiif
	.globl	_ZN5aiter24topk_softplus_kernel_optIffLi128ELb1ELi1EEEvPKT_PKT0_PfPimiif
	.p2align	8
	.type	_ZN5aiter24topk_softplus_kernel_optIffLi128ELb1ELi1EEEvPKT_PKT0_PfPimiif,@function
_ZN5aiter24topk_softplus_kernel_optIffLi128ELb1ELi1EEEvPKT_PKT0_PfPimiif: ; @_ZN5aiter24topk_softplus_kernel_optIffLi128ELb1ELi1EEEvPKT_PKT0_PfPimiif
; %bb.0:
	s_load_dwordx4 s[0:3], s[4:5], 0x0
	s_lshl_b32 s8, s6, 7
	s_ashr_i32 s9, s8, 31
	s_lshl_b64 s[8:9], s[8:9], 2
	v_lshlrev_b32_e32 v7, 2, v0
	s_waitcnt lgkmcnt(0)
	s_add_u32 s8, s0, s8
	s_addc_u32 s9, s1, s9
	global_load_dword v2, v7, s[8:9]
	s_mov_b32 s7, 0xc2fc0000
	v_mov_b32_e32 v1, 0x42800000
	v_mov_b32_e32 v5, 0x1f800000
	s_cmp_lg_u64 s[2:3], 0
	s_cselect_b64 s[0:1], -1, 0
	s_waitcnt vmcnt(0)
	v_mul_f32_e32 v3, 0xbfb8aa3b, v2
	v_cmp_gt_f32_e32 vcc, s7, v3
	v_cndmask_b32_e32 v3, 0, v1, vcc
	v_fmac_f32_e32 v3, 0xbfb8aa3b, v2
	v_exp_f32_e32 v2, v3
	v_cndmask_b32_e32 v4, 1.0, v5, vcc
	v_mov_b32_e32 v3, s9
	v_fma_f32 v2, v2, v4, 1.0
	v_rcp_f32_e32 v6, v2
	v_add_co_u32_e32 v2, vcc, s8, v7
	v_addc_co_u32_e32 v3, vcc, 0, v3, vcc
	s_and_b64 vcc, exec, s[0:1]
	v_mov_b32_e32 v4, v6
	s_cbranch_vccz .LBB3_2
; %bb.1:
	global_load_dword v4, v7, s[2:3]
	s_waitcnt vmcnt(0)
	v_add_f32_e32 v4, v6, v4
.LBB3_2:
	global_load_dword v2, v[2:3], off offset:256
	s_waitcnt vmcnt(0)
	v_mul_f32_e32 v3, 0xbfb8aa3b, v2
	v_cmp_gt_f32_e32 vcc, s7, v3
	v_cndmask_b32_e32 v1, 0, v1, vcc
	v_fmac_f32_e32 v1, 0xbfb8aa3b, v2
	v_exp_f32_e32 v1, v1
	v_cndmask_b32_e32 v3, 1.0, v5, vcc
	s_andn2_b64 vcc, exec, s[0:1]
	v_fma_f32 v1, v1, v3, 1.0
	v_rcp_f32_e32 v11, v1
	v_mov_b32_e32 v5, v11
	s_cbranch_vccnz .LBB3_4
; %bb.3:
	global_load_dword v1, v7, s[2:3] offset:256
	s_waitcnt vmcnt(0)
	v_add_f32_e32 v5, v11, v1
.LBB3_4:
	s_load_dword s2, s[4:5], 0x28
	s_load_dwordx4 s[8:11], s[4:5], 0x10
	v_mov_b32_e32 v10, 0
	v_mov_b32_e32 v8, 0
	;; [unrolled: 1-line block ×3, first 2 shown]
	s_waitcnt lgkmcnt(0)
	s_cmp_gt_i32 s2, 0
	s_cbranch_scc0 .LBB3_7
; %bb.5:
	v_mbcnt_lo_u32_b32 v8, -1, 0
	v_add_u32_e32 v2, 64, v0
	v_cmp_lt_f32_e32 vcc, v4, v5
	v_mbcnt_hi_u32_b32 v8, -1, v8
	v_bfrev_b32_e32 v9, 0.5
	v_cndmask_b32_e32 v1, v2, v0, vcc
	v_cndmask_b32_e32 v2, v0, v2, vcc
	;; [unrolled: 1-line block ×6, first 2 shown]
	v_mov_b32_e32 v10, 0
	v_mov_b32_e32 v11, 0
	;; [unrolled: 1-line block ×3, first 2 shown]
	v_lshl_or_b32 v13, v8, 2, v9
	v_mov_b32_e32 v14, v0
	s_mov_b32 s3, s2
	v_mov_b32_e32 v8, 0
	v_mov_b32_e32 v9, 0
.LBB3_6:                                ; =>This Inner Loop Header: Depth=1
	v_cmp_eq_u32_e32 vcc, 1, v11
	v_cndmask_b32_e32 v15, v4, v3, vcc
	v_cmp_gt_u32_e64 s[0:1], 2, v11
	v_cndmask_b32_e64 v15, v12, v15, s[0:1]
	;;#ASMSTART
	v_max_f32 v19, v15, v15 quad_perm:[1,0,3,2] row_mask:0xf bank_mask:0xf bound_ctrl:1
	;;#ASMEND
	;;#ASMSTART
	v_max_f32 v20, v19, v19 quad_perm:[2,3,0,1] row_mask:0xf bank_mask:0xf bound_ctrl:1
	;;#ASMEND
	;;#ASMSTART
	v_max_f32 v19, v20, v20 row_half_mirror row_mask:0xf bank_mask:0xf bound_ctrl:1
	;;#ASMEND
	;;#ASMSTART
	v_max_f32 v20, v19, v19 row_mirror row_mask:0xf bank_mask:0xf bound_ctrl:1
	;;#ASMEND
	;;#ASMSTART
	v_max_f32 v19, v20, v20 row_ror:4 row_mask:0xf bank_mask:0xf bound_ctrl:1
	;;#ASMEND
	;;#ASMSTART
	v_max_f32 v20, v19, v19 row_ror:8 row_mask:0xf bank_mask:0xf bound_ctrl:1
	;;#ASMEND
	;;#ASMSTART
	v_max_f32 v19, v20, v20 row_bcast:15 row_mask:0xf bank_mask:0xf bound_ctrl:1
	;;#ASMEND
	;;#ASMSTART
	v_max_f32 v20, v19, v19 row_bcast:31 row_mask:0xf bank_mask:0xf bound_ctrl:1
	;;#ASMEND
	ds_bpermute_b32 v19, v13, v20
	v_cndmask_b32_e32 v16, v2, v1, vcc
	v_cndmask_b32_e32 v17, v6, v5, vcc
	v_cndmask_b32_e64 v18, 0, v16, s[0:1]
	s_waitcnt lgkmcnt(0)
	v_cmp_eq_f32_e32 vcc, v15, v19
	s_ff1_i32_b64 s7, vcc
	s_cmp_lg_u64 vcc, 0
	s_cselect_b32 s7, s7, 0
	v_readlane_b32 s7, v18, s7
	v_cmp_eq_u32_e32 vcc, s7, v16
	s_and_b64 vcc, s[0:1], vcc
	s_and_b32 s12, s7, 63
	v_cndmask_b32_e32 v16, 0, v17, vcc
	v_addc_co_u32_e32 v11, vcc, 0, v11, vcc
	v_readlane_b32 s0, v16, s12
	s_add_i32 s3, s3, -1
	v_mov_b32_e32 v15, s7
	v_mov_b32_e32 v16, s0
	v_cmp_eq_u32_e32 vcc, 0, v14
	s_cmp_eq_u32 s3, 0
	v_add_f32_e32 v10, s0, v10
	v_add_u32_e32 v14, -1, v14
	v_cndmask_b32_e32 v9, v9, v16, vcc
	v_cndmask_b32_e32 v8, v8, v15, vcc
	s_cbranch_scc0 .LBB3_6
.LBB3_7:
	v_cmp_gt_i32_e32 vcc, s2, v0
	s_and_saveexec_b64 s[0:1], vcc
	s_cbranch_execz .LBB3_9
; %bb.8:
	s_load_dword s2, s[4:5], 0x30
	v_max_f32_e32 v0, v10, v10
	v_max_f32_e32 v0, 0x1e3ce508, v0
	s_waitcnt lgkmcnt(0)
	v_div_scale_f32 v1, s[0:1], v0, v0, s2
	v_rcp_f32_e32 v2, v1
	v_div_scale_f32 v3, vcc, s2, v0, s2
	s_load_dwordx2 s[0:1], s[4:5], 0x20
	v_fma_f32 v4, -v1, v2, 1.0
	v_fmac_f32_e32 v2, v4, v2
	v_mul_f32_e32 v4, v3, v2
	v_fma_f32 v5, -v1, v4, v3
	v_fmac_f32_e32 v4, v5, v2
	v_fma_f32 v1, -v1, v4, v3
	v_div_fmas_f32 v1, v1, v2, v4
	v_div_fixup_f32 v0, v1, v0, s2
	s_ashr_i32 s2, s6, 31
	s_waitcnt lgkmcnt(0)
	s_mul_i32 s1, s6, s1
	s_mul_hi_u32 s3, s6, s0
	s_add_i32 s1, s3, s1
	s_mul_i32 s2, s2, s0
	s_add_i32 s1, s1, s2
	s_mul_i32 s0, s6, s0
	s_lshl_b64 s[0:1], s[0:1], 2
	s_add_u32 s2, s8, s0
	s_addc_u32 s3, s9, s1
	s_add_u32 s0, s10, s0
	v_mul_f32_e32 v0, v9, v0
	s_addc_u32 s1, s11, s1
	global_store_dword v7, v0, s[2:3]
	global_store_dword v7, v8, s[0:1]
.LBB3_9:
	s_endpgm
	.section	.rodata,"a",@progbits
	.p2align	6, 0x0
	.amdhsa_kernel _ZN5aiter24topk_softplus_kernel_optIffLi128ELb1ELi1EEEvPKT_PKT0_PfPimiif
		.amdhsa_group_segment_fixed_size 0
		.amdhsa_private_segment_fixed_size 0
		.amdhsa_kernarg_size 52
		.amdhsa_user_sgpr_count 6
		.amdhsa_user_sgpr_private_segment_buffer 1
		.amdhsa_user_sgpr_dispatch_ptr 0
		.amdhsa_user_sgpr_queue_ptr 0
		.amdhsa_user_sgpr_kernarg_segment_ptr 1
		.amdhsa_user_sgpr_dispatch_id 0
		.amdhsa_user_sgpr_flat_scratch_init 0
		.amdhsa_user_sgpr_kernarg_preload_length 0
		.amdhsa_user_sgpr_kernarg_preload_offset 0
		.amdhsa_user_sgpr_private_segment_size 0
		.amdhsa_uses_dynamic_stack 0
		.amdhsa_system_sgpr_private_segment_wavefront_offset 0
		.amdhsa_system_sgpr_workgroup_id_x 1
		.amdhsa_system_sgpr_workgroup_id_y 0
		.amdhsa_system_sgpr_workgroup_id_z 0
		.amdhsa_system_sgpr_workgroup_info 0
		.amdhsa_system_vgpr_workitem_id 0
		.amdhsa_next_free_vgpr 21
		.amdhsa_next_free_sgpr 13
		.amdhsa_accum_offset 24
		.amdhsa_reserve_vcc 1
		.amdhsa_reserve_flat_scratch 0
		.amdhsa_float_round_mode_32 0
		.amdhsa_float_round_mode_16_64 0
		.amdhsa_float_denorm_mode_32 3
		.amdhsa_float_denorm_mode_16_64 3
		.amdhsa_dx10_clamp 1
		.amdhsa_ieee_mode 1
		.amdhsa_fp16_overflow 0
		.amdhsa_tg_split 0
		.amdhsa_exception_fp_ieee_invalid_op 0
		.amdhsa_exception_fp_denorm_src 0
		.amdhsa_exception_fp_ieee_div_zero 0
		.amdhsa_exception_fp_ieee_overflow 0
		.amdhsa_exception_fp_ieee_underflow 0
		.amdhsa_exception_fp_ieee_inexact 0
		.amdhsa_exception_int_div_zero 0
	.end_amdhsa_kernel
	.section	.text._ZN5aiter24topk_softplus_kernel_optIffLi128ELb1ELi1EEEvPKT_PKT0_PfPimiif,"axG",@progbits,_ZN5aiter24topk_softplus_kernel_optIffLi128ELb1ELi1EEEvPKT_PKT0_PfPimiif,comdat
.Lfunc_end3:
	.size	_ZN5aiter24topk_softplus_kernel_optIffLi128ELb1ELi1EEEvPKT_PKT0_PfPimiif, .Lfunc_end3-_ZN5aiter24topk_softplus_kernel_optIffLi128ELb1ELi1EEEvPKT_PKT0_PfPimiif
                                        ; -- End function
	.section	.AMDGPU.csdata,"",@progbits
; Kernel info:
; codeLenInByte = 780
; NumSgprs: 17
; NumVgprs: 21
; NumAgprs: 0
; TotalNumVgprs: 21
; ScratchSize: 0
; MemoryBound: 0
; FloatMode: 240
; IeeeMode: 1
; LDSByteSize: 0 bytes/workgroup (compile time only)
; SGPRBlocks: 2
; VGPRBlocks: 2
; NumSGPRsForWavesPerEU: 17
; NumVGPRsForWavesPerEU: 21
; AccumOffset: 24
; Occupancy: 8
; WaveLimiterHint : 0
; COMPUTE_PGM_RSRC2:SCRATCH_EN: 0
; COMPUTE_PGM_RSRC2:USER_SGPR: 6
; COMPUTE_PGM_RSRC2:TRAP_HANDLER: 0
; COMPUTE_PGM_RSRC2:TGID_X_EN: 1
; COMPUTE_PGM_RSRC2:TGID_Y_EN: 0
; COMPUTE_PGM_RSRC2:TGID_Z_EN: 0
; COMPUTE_PGM_RSRC2:TIDIG_COMP_CNT: 0
; COMPUTE_PGM_RSRC3_GFX90A:ACCUM_OFFSET: 5
; COMPUTE_PGM_RSRC3_GFX90A:TG_SPLIT: 0
	.section	.text._ZN5aiter24topk_softplus_kernel_optIffLi128ELb0ELi1EEEvPKT_PKT0_PfPimiif,"axG",@progbits,_ZN5aiter24topk_softplus_kernel_optIffLi128ELb0ELi1EEEvPKT_PKT0_PfPimiif,comdat
	.protected	_ZN5aiter24topk_softplus_kernel_optIffLi128ELb0ELi1EEEvPKT_PKT0_PfPimiif ; -- Begin function _ZN5aiter24topk_softplus_kernel_optIffLi128ELb0ELi1EEEvPKT_PKT0_PfPimiif
	.globl	_ZN5aiter24topk_softplus_kernel_optIffLi128ELb0ELi1EEEvPKT_PKT0_PfPimiif
	.p2align	8
	.type	_ZN5aiter24topk_softplus_kernel_optIffLi128ELb0ELi1EEEvPKT_PKT0_PfPimiif,@function
_ZN5aiter24topk_softplus_kernel_optIffLi128ELb0ELi1EEEvPKT_PKT0_PfPimiif: ; @_ZN5aiter24topk_softplus_kernel_optIffLi128ELb0ELi1EEEvPKT_PKT0_PfPimiif
; %bb.0:
	s_load_dwordx4 s[0:3], s[4:5], 0x0
	s_lshl_b32 s8, s6, 7
	s_ashr_i32 s9, s8, 31
	s_lshl_b64 s[8:9], s[8:9], 2
	v_lshlrev_b32_e32 v7, 2, v0
	s_waitcnt lgkmcnt(0)
	s_add_u32 s8, s0, s8
	s_addc_u32 s9, s1, s9
	global_load_dword v2, v7, s[8:9]
	s_mov_b32 s7, 0xc2fc0000
	v_mov_b32_e32 v1, 0x42800000
	v_mov_b32_e32 v5, 0x1f800000
	s_cmp_lg_u64 s[2:3], 0
	s_cselect_b64 s[0:1], -1, 0
	s_waitcnt vmcnt(0)
	v_mul_f32_e32 v3, 0xbfb8aa3b, v2
	v_cmp_gt_f32_e32 vcc, s7, v3
	v_cndmask_b32_e32 v3, 0, v1, vcc
	v_fmac_f32_e32 v3, 0xbfb8aa3b, v2
	v_exp_f32_e32 v2, v3
	v_cndmask_b32_e32 v4, 1.0, v5, vcc
	v_mov_b32_e32 v3, s9
	v_fma_f32 v2, v2, v4, 1.0
	v_rcp_f32_e32 v6, v2
	v_add_co_u32_e32 v2, vcc, s8, v7
	v_addc_co_u32_e32 v3, vcc, 0, v3, vcc
	s_and_b64 vcc, exec, s[0:1]
	v_mov_b32_e32 v4, v6
	s_cbranch_vccz .LBB4_2
; %bb.1:
	global_load_dword v4, v7, s[2:3]
	s_waitcnt vmcnt(0)
	v_add_f32_e32 v4, v6, v4
.LBB4_2:
	global_load_dword v2, v[2:3], off offset:256
	s_waitcnt vmcnt(0)
	v_mul_f32_e32 v3, 0xbfb8aa3b, v2
	v_cmp_gt_f32_e32 vcc, s7, v3
	v_cndmask_b32_e32 v1, 0, v1, vcc
	v_fmac_f32_e32 v1, 0xbfb8aa3b, v2
	v_exp_f32_e32 v1, v1
	v_cndmask_b32_e32 v3, 1.0, v5, vcc
	s_andn2_b64 vcc, exec, s[0:1]
	v_fma_f32 v1, v1, v3, 1.0
	v_rcp_f32_e32 v9, v1
	v_mov_b32_e32 v5, v9
	s_cbranch_vccnz .LBB4_4
; %bb.3:
	global_load_dword v1, v7, s[2:3] offset:256
	s_waitcnt vmcnt(0)
	v_add_f32_e32 v5, v9, v1
.LBB4_4:
	s_load_dword s2, s[4:5], 0x28
	s_load_dwordx4 s[8:11], s[4:5], 0x10
	v_mov_b32_e32 v8, 0
	s_waitcnt lgkmcnt(0)
	s_cmp_gt_i32 s2, 0
	s_cbranch_scc0 .LBB4_10
; %bb.5:
	v_mbcnt_lo_u32_b32 v8, -1, 0
	v_add_u32_e32 v2, 64, v0
	v_cmp_lt_f32_e32 vcc, v4, v5
	v_mbcnt_hi_u32_b32 v8, -1, v8
	v_bfrev_b32_e32 v12, 0.5
	v_cndmask_b32_e32 v1, v2, v0, vcc
	v_cndmask_b32_e32 v2, v0, v2, vcc
	;; [unrolled: 1-line block ×6, first 2 shown]
	v_mov_b32_e32 v10, 0
	v_mov_b32_e32 v9, 0
	;; [unrolled: 1-line block ×3, first 2 shown]
	v_lshl_or_b32 v12, v8, 2, v12
	v_mov_b32_e32 v13, v0
	s_mov_b32 s3, s2
	v_mov_b32_e32 v8, 0
.LBB4_6:                                ; =>This Inner Loop Header: Depth=1
	v_cmp_eq_u32_e32 vcc, 1, v10
	v_cndmask_b32_e32 v14, v4, v3, vcc
	v_cmp_gt_u32_e64 s[0:1], 2, v10
	v_cndmask_b32_e64 v14, v11, v14, s[0:1]
	;;#ASMSTART
	v_max_f32 v18, v14, v14 quad_perm:[1,0,3,2] row_mask:0xf bank_mask:0xf bound_ctrl:1
	;;#ASMEND
	;;#ASMSTART
	v_max_f32 v19, v18, v18 quad_perm:[2,3,0,1] row_mask:0xf bank_mask:0xf bound_ctrl:1
	;;#ASMEND
	;;#ASMSTART
	v_max_f32 v18, v19, v19 row_half_mirror row_mask:0xf bank_mask:0xf bound_ctrl:1
	;;#ASMEND
	;;#ASMSTART
	v_max_f32 v19, v18, v18 row_mirror row_mask:0xf bank_mask:0xf bound_ctrl:1
	;;#ASMEND
	;;#ASMSTART
	v_max_f32 v18, v19, v19 row_ror:4 row_mask:0xf bank_mask:0xf bound_ctrl:1
	;;#ASMEND
	;;#ASMSTART
	v_max_f32 v19, v18, v18 row_ror:8 row_mask:0xf bank_mask:0xf bound_ctrl:1
	;;#ASMEND
	;;#ASMSTART
	v_max_f32 v18, v19, v19 row_bcast:15 row_mask:0xf bank_mask:0xf bound_ctrl:1
	;;#ASMEND
	;;#ASMSTART
	v_max_f32 v19, v18, v18 row_bcast:31 row_mask:0xf bank_mask:0xf bound_ctrl:1
	;;#ASMEND
	ds_bpermute_b32 v18, v12, v19
	v_cndmask_b32_e32 v15, v2, v1, vcc
	v_cndmask_b32_e32 v16, v6, v5, vcc
	v_cndmask_b32_e64 v17, 0, v15, s[0:1]
	s_waitcnt lgkmcnt(0)
	v_cmp_eq_f32_e32 vcc, v14, v18
	s_ff1_i32_b64 s7, vcc
	s_cmp_lg_u64 vcc, 0
	s_cselect_b32 s7, s7, 0
	v_readlane_b32 s7, v17, s7
	v_cmp_eq_u32_e32 vcc, s7, v15
	s_and_b64 vcc, s[0:1], vcc
	s_and_b32 s12, s7, 63
	v_cndmask_b32_e32 v15, 0, v16, vcc
	v_addc_co_u32_e32 v10, vcc, 0, v10, vcc
	v_readlane_b32 s0, v15, s12
	s_add_i32 s3, s3, -1
	v_mov_b32_e32 v14, s7
	v_mov_b32_e32 v15, s0
	v_cmp_eq_u32_e32 vcc, 0, v13
	s_cmp_eq_u32 s3, 0
	v_add_u32_e32 v13, -1, v13
	v_cndmask_b32_e32 v9, v9, v15, vcc
	v_cndmask_b32_e32 v8, v8, v14, vcc
	s_cbranch_scc0 .LBB4_6
; %bb.7:
	v_cmp_gt_i32_e32 vcc, s2, v0
	s_and_saveexec_b64 s[0:1], vcc
	s_cbranch_execz .LBB4_9
.LBB4_8:
	s_load_dword s2, s[4:5], 0x30
	s_load_dwordx2 s[0:1], s[4:5], 0x20
	s_ashr_i32 s3, s6, 31
	s_waitcnt lgkmcnt(0)
	v_mul_f32_e32 v0, s2, v9
	s_mul_i32 s1, s6, s1
	s_mul_hi_u32 s2, s6, s0
	s_add_i32 s1, s2, s1
	s_mul_i32 s3, s3, s0
	s_add_i32 s1, s1, s3
	s_mul_i32 s0, s6, s0
	s_lshl_b64 s[0:1], s[0:1], 2
	s_add_u32 s2, s8, s0
	s_addc_u32 s3, s9, s1
	s_add_u32 s0, s10, s0
	s_addc_u32 s1, s11, s1
	global_store_dword v7, v0, s[2:3]
	global_store_dword v7, v8, s[0:1]
.LBB4_9:
	s_endpgm
.LBB4_10:
	v_mov_b32_e32 v9, 0
	v_cmp_gt_i32_e32 vcc, s2, v0
	s_and_saveexec_b64 s[0:1], vcc
	s_cbranch_execnz .LBB4_8
	s_branch .LBB4_9
	.section	.rodata,"a",@progbits
	.p2align	6, 0x0
	.amdhsa_kernel _ZN5aiter24topk_softplus_kernel_optIffLi128ELb0ELi1EEEvPKT_PKT0_PfPimiif
		.amdhsa_group_segment_fixed_size 0
		.amdhsa_private_segment_fixed_size 0
		.amdhsa_kernarg_size 52
		.amdhsa_user_sgpr_count 6
		.amdhsa_user_sgpr_private_segment_buffer 1
		.amdhsa_user_sgpr_dispatch_ptr 0
		.amdhsa_user_sgpr_queue_ptr 0
		.amdhsa_user_sgpr_kernarg_segment_ptr 1
		.amdhsa_user_sgpr_dispatch_id 0
		.amdhsa_user_sgpr_flat_scratch_init 0
		.amdhsa_user_sgpr_kernarg_preload_length 0
		.amdhsa_user_sgpr_kernarg_preload_offset 0
		.amdhsa_user_sgpr_private_segment_size 0
		.amdhsa_uses_dynamic_stack 0
		.amdhsa_system_sgpr_private_segment_wavefront_offset 0
		.amdhsa_system_sgpr_workgroup_id_x 1
		.amdhsa_system_sgpr_workgroup_id_y 0
		.amdhsa_system_sgpr_workgroup_id_z 0
		.amdhsa_system_sgpr_workgroup_info 0
		.amdhsa_system_vgpr_workitem_id 0
		.amdhsa_next_free_vgpr 20
		.amdhsa_next_free_sgpr 13
		.amdhsa_accum_offset 20
		.amdhsa_reserve_vcc 1
		.amdhsa_reserve_flat_scratch 0
		.amdhsa_float_round_mode_32 0
		.amdhsa_float_round_mode_16_64 0
		.amdhsa_float_denorm_mode_32 3
		.amdhsa_float_denorm_mode_16_64 3
		.amdhsa_dx10_clamp 1
		.amdhsa_ieee_mode 1
		.amdhsa_fp16_overflow 0
		.amdhsa_tg_split 0
		.amdhsa_exception_fp_ieee_invalid_op 0
		.amdhsa_exception_fp_denorm_src 0
		.amdhsa_exception_fp_ieee_div_zero 0
		.amdhsa_exception_fp_ieee_overflow 0
		.amdhsa_exception_fp_ieee_underflow 0
		.amdhsa_exception_fp_ieee_inexact 0
		.amdhsa_exception_int_div_zero 0
	.end_amdhsa_kernel
	.section	.text._ZN5aiter24topk_softplus_kernel_optIffLi128ELb0ELi1EEEvPKT_PKT0_PfPimiif,"axG",@progbits,_ZN5aiter24topk_softplus_kernel_optIffLi128ELb0ELi1EEEvPKT_PKT0_PfPimiif,comdat
.Lfunc_end4:
	.size	_ZN5aiter24topk_softplus_kernel_optIffLi128ELb0ELi1EEEvPKT_PKT0_PfPimiif, .Lfunc_end4-_ZN5aiter24topk_softplus_kernel_optIffLi128ELb0ELi1EEEvPKT_PKT0_PfPimiif
                                        ; -- End function
	.section	.AMDGPU.csdata,"",@progbits
; Kernel info:
; codeLenInByte = 696
; NumSgprs: 17
; NumVgprs: 20
; NumAgprs: 0
; TotalNumVgprs: 20
; ScratchSize: 0
; MemoryBound: 0
; FloatMode: 240
; IeeeMode: 1
; LDSByteSize: 0 bytes/workgroup (compile time only)
; SGPRBlocks: 2
; VGPRBlocks: 2
; NumSGPRsForWavesPerEU: 17
; NumVGPRsForWavesPerEU: 20
; AccumOffset: 20
; Occupancy: 8
; WaveLimiterHint : 0
; COMPUTE_PGM_RSRC2:SCRATCH_EN: 0
; COMPUTE_PGM_RSRC2:USER_SGPR: 6
; COMPUTE_PGM_RSRC2:TRAP_HANDLER: 0
; COMPUTE_PGM_RSRC2:TGID_X_EN: 1
; COMPUTE_PGM_RSRC2:TGID_Y_EN: 0
; COMPUTE_PGM_RSRC2:TGID_Z_EN: 0
; COMPUTE_PGM_RSRC2:TIDIG_COMP_CNT: 0
; COMPUTE_PGM_RSRC3_GFX90A:ACCUM_OFFSET: 4
; COMPUTE_PGM_RSRC3_GFX90A:TG_SPLIT: 0
	.section	.text._ZN5aiter24topk_softplus_kernel_optIffLi256ELb1ELi1EEEvPKT_PKT0_PfPimiif,"axG",@progbits,_ZN5aiter24topk_softplus_kernel_optIffLi256ELb1ELi1EEEvPKT_PKT0_PfPimiif,comdat
	.protected	_ZN5aiter24topk_softplus_kernel_optIffLi256ELb1ELi1EEEvPKT_PKT0_PfPimiif ; -- Begin function _ZN5aiter24topk_softplus_kernel_optIffLi256ELb1ELi1EEEvPKT_PKT0_PfPimiif
	.globl	_ZN5aiter24topk_softplus_kernel_optIffLi256ELb1ELi1EEEvPKT_PKT0_PfPimiif
	.p2align	8
	.type	_ZN5aiter24topk_softplus_kernel_optIffLi256ELb1ELi1EEEvPKT_PKT0_PfPimiif,@function
_ZN5aiter24topk_softplus_kernel_optIffLi256ELb1ELi1EEEvPKT_PKT0_PfPimiif: ; @_ZN5aiter24topk_softplus_kernel_optIffLi256ELb1ELi1EEEvPKT_PKT0_PfPimiif
; %bb.0:
	s_load_dwordx4 s[0:3], s[4:5], 0x0
	s_lshl_b32 s8, s6, 8
	s_ashr_i32 s9, s8, 31
	s_lshl_b64 s[8:9], s[8:9], 2
	v_lshlrev_b32_e32 v13, 2, v0
	s_waitcnt lgkmcnt(0)
	s_add_u32 s10, s0, s8
	s_addc_u32 s11, s1, s9
	global_load_dword v2, v13, s[10:11]
	s_mov_b32 s0, 0xc2fc0000
	v_mov_b32_e32 v1, 0x42800000
	v_mov_b32_e32 v3, 0x1f800000
	s_cmp_lg_u64 s[2:3], 0
	v_mov_b32_e32 v5, s11
	s_cselect_b64 s[8:9], -1, 0
	s_waitcnt vmcnt(0)
	v_mul_f32_e32 v4, 0xbfb8aa3b, v2
	v_cmp_gt_f32_e32 vcc, s0, v4
	v_cndmask_b32_e32 v4, 0, v1, vcc
	v_fmac_f32_e32 v4, 0xbfb8aa3b, v2
	v_exp_f32_e32 v2, v4
	v_cndmask_b32_e32 v4, 1.0, v3, vcc
	v_fma_f32 v2, v2, v4, 1.0
	v_rcp_f32_e32 v2, v2
	v_add_co_u32_e32 v4, vcc, s10, v13
	v_addc_co_u32_e32 v5, vcc, 0, v5, vcc
	s_and_b64 vcc, exec, s[8:9]
	v_mov_b32_e32 v10, v2
	s_cbranch_vccz .LBB5_2
; %bb.1:
	global_load_dword v6, v13, s[2:3]
	s_waitcnt vmcnt(0)
	v_add_f32_e32 v10, v2, v6
.LBB5_2:
	global_load_dword v6, v[4:5], off offset:256
	s_waitcnt vmcnt(0)
	v_mul_f32_e32 v7, 0xbfb8aa3b, v6
	v_cmp_gt_f32_e32 vcc, s0, v7
	v_cndmask_b32_e32 v1, 0, v1, vcc
	v_fmac_f32_e32 v1, 0xbfb8aa3b, v6
	v_exp_f32_e32 v1, v1
	v_cndmask_b32_e32 v3, 1.0, v3, vcc
	s_andn2_b64 vcc, exec, s[8:9]
	v_fma_f32 v1, v1, v3, 1.0
	v_rcp_f32_e32 v1, v1
	v_cndmask_b32_e64 v3, 0, 1, s[8:9]
	v_cmp_ne_u32_e64 s[0:1], 1, v3
	v_mov_b32_e32 v14, v1
	s_cbranch_vccnz .LBB5_4
; %bb.3:
	global_load_dword v3, v13, s[2:3] offset:256
	s_waitcnt vmcnt(0)
	v_add_f32_e32 v14, v1, v3
.LBB5_4:
	global_load_dword v6, v[4:5], off offset:512
	s_mov_b32 s7, 0xc2fc0000
	v_mov_b32_e32 v3, 0x1f800000
	s_waitcnt vmcnt(0)
	v_mul_f32_e32 v7, 0xbfb8aa3b, v6
	v_cmp_gt_f32_e32 vcc, s7, v7
	v_mov_b32_e32 v7, 0x42800000
	v_cndmask_b32_e32 v9, 0, v7, vcc
	v_fmac_f32_e32 v9, 0xbfb8aa3b, v6
	v_exp_f32_e32 v6, v9
	v_cndmask_b32_e32 v8, 1.0, v3, vcc
	s_and_b64 vcc, exec, s[0:1]
	v_fma_f32 v6, v6, v8, 1.0
	v_rcp_f32_e32 v8, v6
	v_mov_b32_e32 v6, v8
	s_cbranch_vccnz .LBB5_6
; %bb.5:
	global_load_dword v6, v13, s[2:3] offset:512
	s_waitcnt vmcnt(0)
	v_add_f32_e32 v6, v8, v6
.LBB5_6:
	global_load_dword v4, v[4:5], off offset:768
	s_waitcnt vmcnt(0)
	v_mul_f32_e32 v5, 0xbfb8aa3b, v4
	v_cmp_gt_f32_e32 vcc, s7, v5
	v_cndmask_b32_e32 v5, 0, v7, vcc
	v_fmac_f32_e32 v5, 0xbfb8aa3b, v4
	v_exp_f32_e32 v4, v5
	v_cndmask_b32_e32 v3, 1.0, v3, vcc
	s_and_b64 vcc, exec, s[0:1]
	v_fma_f32 v3, v4, v3, 1.0
	v_rcp_f32_e32 v3, v3
	v_mov_b32_e32 v5, v3
	s_cbranch_vccnz .LBB5_8
; %bb.7:
	global_load_dword v4, v13, s[2:3] offset:768
	s_waitcnt vmcnt(0)
	v_add_f32_e32 v5, v3, v4
.LBB5_8:
	v_add_u32_e32 v4, 64, v0
	v_cmp_lt_f32_e32 vcc, v10, v14
	v_add_u32_e32 v12, 0x80, v0
	v_add_u32_e32 v7, 0xc0, v0
	v_cndmask_b32_e32 v11, v1, v2, vcc
	v_cndmask_b32_e32 v2, v2, v1, vcc
	;; [unrolled: 1-line block ×6, first 2 shown]
	v_cmp_lt_f32_e32 vcc, v6, v5
	v_mov_b32_e32 v16, v6
	s_and_saveexec_b64 s[0:1], vcc
	s_xor_b64 s[0:1], exec, s[0:1]
; %bb.9:
	v_mov_b32_e32 v17, v6
	v_mov_b32_e32 v10, v8
	;; [unrolled: 1-line block ×4, first 2 shown]
	v_swap_b32 v8, v3
	v_swap_b32 v12, v7
	v_mov_b32_e32 v16, v5
	v_mov_b32_e32 v5, v17
; %bb.10:
	s_or_b64 exec, exec, s[0:1]
	v_cmp_lt_f32_e32 vcc, v15, v6
	v_cndmask_b32_e32 v14, v8, v2, vcc
	v_cndmask_b32_e32 v2, v2, v8, vcc
	;; [unrolled: 1-line block ×6, first 2 shown]
	v_cmp_lt_f32_e32 vcc, v9, v5
	v_mov_b32_e32 v15, v9
	s_and_saveexec_b64 s[0:1], vcc
; %bb.11:
	v_mov_b32_e32 v15, v1
	v_mov_b32_e32 v16, v9
	;; [unrolled: 1-line block ×4, first 2 shown]
	v_swap_b32 v11, v3
	v_swap_b32 v1, v7
	v_mov_b32_e32 v15, v5
	v_mov_b32_e32 v5, v16
; %bb.12:
	s_or_b64 exec, exec, s[0:1]
	s_load_dword s2, s[4:5], 0x28
	s_load_dwordx4 s[8:11], s[4:5], 0x10
	v_mov_b32_e32 v16, 0
	s_waitcnt lgkmcnt(0)
	s_cmp_lt_i32 s2, 1
	s_cbranch_scc1 .LBB5_18
; %bb.13:
	v_cmp_lt_f32_e32 vcc, v9, v12
	v_cndmask_b32_e32 v8, v10, v1, vcc
	v_cndmask_b32_e32 v1, v1, v10, vcc
	;; [unrolled: 1-line block ×6, first 2 shown]
	v_mbcnt_lo_u32_b32 v14, -1, 0
	v_mbcnt_hi_u32_b32 v14, -1, v14
	v_bfrev_b32_e32 v15, 0.5
	v_mov_b32_e32 v16, 0
	v_mov_b32_e32 v17, 0
	v_mov_b32_e32 v18, 0xff800000
	v_lshl_or_b32 v19, v14, 2, v15
	v_mov_b32_e32 v20, v0
	s_mov_b32 s3, s2
	v_mov_b32_e32 v14, 0
	v_mov_b32_e32 v15, 0
.LBB5_14:                               ; =>This Inner Loop Header: Depth=1
	v_cmp_eq_u32_e32 vcc, 1, v17
	v_cndmask_b32_e32 v21, v6, v9, vcc
	v_cmp_eq_u32_e64 s[0:1], 2, v17
	v_cndmask_b32_e64 v21, v21, v10, s[0:1]
	v_cndmask_b32_e32 v22, v4, v1, vcc
	v_cndmask_b32_e32 v23, v2, v11, vcc
	v_cmp_eq_u32_e32 vcc, 3, v17
	v_cndmask_b32_e32 v21, v21, v5, vcc
	v_cndmask_b32_e64 v22, v22, v8, s[0:1]
	v_cndmask_b32_e64 v23, v23, v12, s[0:1]
	v_cmp_gt_u32_e64 s[0:1], 4, v17
	v_cndmask_b32_e64 v21, v18, v21, s[0:1]
	;;#ASMSTART
	v_max_f32 v25, v21, v21 quad_perm:[1,0,3,2] row_mask:0xf bank_mask:0xf bound_ctrl:1
	;;#ASMEND
	;;#ASMSTART
	v_max_f32 v26, v25, v25 quad_perm:[2,3,0,1] row_mask:0xf bank_mask:0xf bound_ctrl:1
	;;#ASMEND
	;;#ASMSTART
	v_max_f32 v25, v26, v26 row_half_mirror row_mask:0xf bank_mask:0xf bound_ctrl:1
	;;#ASMEND
	;;#ASMSTART
	v_max_f32 v26, v25, v25 row_mirror row_mask:0xf bank_mask:0xf bound_ctrl:1
	;;#ASMEND
	;;#ASMSTART
	v_max_f32 v25, v26, v26 row_ror:4 row_mask:0xf bank_mask:0xf bound_ctrl:1
	;;#ASMEND
	;;#ASMSTART
	v_max_f32 v26, v25, v25 row_ror:8 row_mask:0xf bank_mask:0xf bound_ctrl:1
	;;#ASMEND
	;;#ASMSTART
	v_max_f32 v25, v26, v26 row_bcast:15 row_mask:0xf bank_mask:0xf bound_ctrl:1
	;;#ASMEND
	;;#ASMSTART
	v_max_f32 v26, v25, v25 row_bcast:31 row_mask:0xf bank_mask:0xf bound_ctrl:1
	;;#ASMEND
	ds_bpermute_b32 v25, v19, v26
	v_cndmask_b32_e32 v22, v22, v7, vcc
	v_cndmask_b32_e32 v23, v23, v3, vcc
	v_cndmask_b32_e64 v24, 0, v22, s[0:1]
	s_waitcnt lgkmcnt(0)
	v_cmp_eq_f32_e32 vcc, v21, v25
	s_ff1_i32_b64 s7, vcc
	s_cmp_lg_u64 vcc, 0
	s_cselect_b32 s7, s7, 0
	v_readlane_b32 s7, v24, s7
	v_cmp_eq_u32_e32 vcc, s7, v22
	s_and_b64 vcc, s[0:1], vcc
	s_and_b32 s12, s7, 63
	v_cndmask_b32_e32 v22, 0, v23, vcc
	v_addc_co_u32_e32 v17, vcc, 0, v17, vcc
	v_readlane_b32 s0, v22, s12
	s_add_i32 s3, s3, -1
	v_mov_b32_e32 v21, s7
	v_mov_b32_e32 v22, s0
	v_cmp_eq_u32_e32 vcc, 0, v20
	s_cmp_eq_u32 s3, 0
	v_add_f32_e32 v16, s0, v16
	v_add_u32_e32 v20, -1, v20
	v_cndmask_b32_e32 v15, v15, v22, vcc
	v_cndmask_b32_e32 v14, v14, v21, vcc
	s_cbranch_scc0 .LBB5_14
; %bb.15:
	v_cmp_gt_i32_e32 vcc, s2, v0
	s_and_saveexec_b64 s[0:1], vcc
	s_cbranch_execz .LBB5_17
.LBB5_16:
	s_load_dword s2, s[4:5], 0x30
	v_max_f32_e32 v0, v16, v16
	v_max_f32_e32 v0, 0x1e3ce508, v0
	s_waitcnt lgkmcnt(0)
	v_div_scale_f32 v1, s[0:1], v0, v0, s2
	v_rcp_f32_e32 v2, v1
	v_div_scale_f32 v3, vcc, s2, v0, s2
	s_load_dwordx2 s[0:1], s[4:5], 0x20
	v_fma_f32 v4, -v1, v2, 1.0
	v_fmac_f32_e32 v2, v4, v2
	v_mul_f32_e32 v4, v3, v2
	v_fma_f32 v5, -v1, v4, v3
	v_fmac_f32_e32 v4, v5, v2
	v_fma_f32 v1, -v1, v4, v3
	v_div_fmas_f32 v1, v1, v2, v4
	v_div_fixup_f32 v0, v1, v0, s2
	s_ashr_i32 s2, s6, 31
	s_waitcnt lgkmcnt(0)
	s_mul_i32 s1, s6, s1
	s_mul_hi_u32 s3, s6, s0
	s_add_i32 s1, s3, s1
	s_mul_i32 s2, s2, s0
	s_add_i32 s1, s1, s2
	s_mul_i32 s0, s6, s0
	s_lshl_b64 s[0:1], s[0:1], 2
	s_add_u32 s2, s8, s0
	s_addc_u32 s3, s9, s1
	s_add_u32 s0, s10, s0
	v_mul_f32_e32 v0, v15, v0
	s_addc_u32 s1, s11, s1
	global_store_dword v13, v0, s[2:3]
	global_store_dword v13, v14, s[0:1]
.LBB5_17:
	s_endpgm
.LBB5_18:
	v_mov_b32_e32 v14, 0
	v_mov_b32_e32 v15, 0
	v_cmp_gt_i32_e32 vcc, s2, v0
	s_and_saveexec_b64 s[0:1], vcc
	s_cbranch_execnz .LBB5_16
	s_branch .LBB5_17
	.section	.rodata,"a",@progbits
	.p2align	6, 0x0
	.amdhsa_kernel _ZN5aiter24topk_softplus_kernel_optIffLi256ELb1ELi1EEEvPKT_PKT0_PfPimiif
		.amdhsa_group_segment_fixed_size 0
		.amdhsa_private_segment_fixed_size 0
		.amdhsa_kernarg_size 52
		.amdhsa_user_sgpr_count 6
		.amdhsa_user_sgpr_private_segment_buffer 1
		.amdhsa_user_sgpr_dispatch_ptr 0
		.amdhsa_user_sgpr_queue_ptr 0
		.amdhsa_user_sgpr_kernarg_segment_ptr 1
		.amdhsa_user_sgpr_dispatch_id 0
		.amdhsa_user_sgpr_flat_scratch_init 0
		.amdhsa_user_sgpr_kernarg_preload_length 0
		.amdhsa_user_sgpr_kernarg_preload_offset 0
		.amdhsa_user_sgpr_private_segment_size 0
		.amdhsa_uses_dynamic_stack 0
		.amdhsa_system_sgpr_private_segment_wavefront_offset 0
		.amdhsa_system_sgpr_workgroup_id_x 1
		.amdhsa_system_sgpr_workgroup_id_y 0
		.amdhsa_system_sgpr_workgroup_id_z 0
		.amdhsa_system_sgpr_workgroup_info 0
		.amdhsa_system_vgpr_workitem_id 0
		.amdhsa_next_free_vgpr 27
		.amdhsa_next_free_sgpr 13
		.amdhsa_accum_offset 28
		.amdhsa_reserve_vcc 1
		.amdhsa_reserve_flat_scratch 0
		.amdhsa_float_round_mode_32 0
		.amdhsa_float_round_mode_16_64 0
		.amdhsa_float_denorm_mode_32 3
		.amdhsa_float_denorm_mode_16_64 3
		.amdhsa_dx10_clamp 1
		.amdhsa_ieee_mode 1
		.amdhsa_fp16_overflow 0
		.amdhsa_tg_split 0
		.amdhsa_exception_fp_ieee_invalid_op 0
		.amdhsa_exception_fp_denorm_src 0
		.amdhsa_exception_fp_ieee_div_zero 0
		.amdhsa_exception_fp_ieee_overflow 0
		.amdhsa_exception_fp_ieee_underflow 0
		.amdhsa_exception_fp_ieee_inexact 0
		.amdhsa_exception_int_div_zero 0
	.end_amdhsa_kernel
	.section	.text._ZN5aiter24topk_softplus_kernel_optIffLi256ELb1ELi1EEEvPKT_PKT0_PfPimiif,"axG",@progbits,_ZN5aiter24topk_softplus_kernel_optIffLi256ELb1ELi1EEEvPKT_PKT0_PfPimiif,comdat
.Lfunc_end5:
	.size	_ZN5aiter24topk_softplus_kernel_optIffLi256ELb1ELi1EEEvPKT_PKT0_PfPimiif, .Lfunc_end5-_ZN5aiter24topk_softplus_kernel_optIffLi256ELb1ELi1EEEvPKT_PKT0_PfPimiif
                                        ; -- End function
	.section	.AMDGPU.csdata,"",@progbits
; Kernel info:
; codeLenInByte = 1224
; NumSgprs: 17
; NumVgprs: 27
; NumAgprs: 0
; TotalNumVgprs: 27
; ScratchSize: 0
; MemoryBound: 0
; FloatMode: 240
; IeeeMode: 1
; LDSByteSize: 0 bytes/workgroup (compile time only)
; SGPRBlocks: 2
; VGPRBlocks: 3
; NumSGPRsForWavesPerEU: 17
; NumVGPRsForWavesPerEU: 27
; AccumOffset: 28
; Occupancy: 8
; WaveLimiterHint : 0
; COMPUTE_PGM_RSRC2:SCRATCH_EN: 0
; COMPUTE_PGM_RSRC2:USER_SGPR: 6
; COMPUTE_PGM_RSRC2:TRAP_HANDLER: 0
; COMPUTE_PGM_RSRC2:TGID_X_EN: 1
; COMPUTE_PGM_RSRC2:TGID_Y_EN: 0
; COMPUTE_PGM_RSRC2:TGID_Z_EN: 0
; COMPUTE_PGM_RSRC2:TIDIG_COMP_CNT: 0
; COMPUTE_PGM_RSRC3_GFX90A:ACCUM_OFFSET: 6
; COMPUTE_PGM_RSRC3_GFX90A:TG_SPLIT: 0
	.section	.text._ZN5aiter24topk_softplus_kernel_optIffLi256ELb0ELi1EEEvPKT_PKT0_PfPimiif,"axG",@progbits,_ZN5aiter24topk_softplus_kernel_optIffLi256ELb0ELi1EEEvPKT_PKT0_PfPimiif,comdat
	.protected	_ZN5aiter24topk_softplus_kernel_optIffLi256ELb0ELi1EEEvPKT_PKT0_PfPimiif ; -- Begin function _ZN5aiter24topk_softplus_kernel_optIffLi256ELb0ELi1EEEvPKT_PKT0_PfPimiif
	.globl	_ZN5aiter24topk_softplus_kernel_optIffLi256ELb0ELi1EEEvPKT_PKT0_PfPimiif
	.p2align	8
	.type	_ZN5aiter24topk_softplus_kernel_optIffLi256ELb0ELi1EEEvPKT_PKT0_PfPimiif,@function
_ZN5aiter24topk_softplus_kernel_optIffLi256ELb0ELi1EEEvPKT_PKT0_PfPimiif: ; @_ZN5aiter24topk_softplus_kernel_optIffLi256ELb0ELi1EEEvPKT_PKT0_PfPimiif
; %bb.0:
	s_load_dwordx4 s[0:3], s[4:5], 0x0
	s_lshl_b32 s8, s6, 8
	s_ashr_i32 s9, s8, 31
	s_lshl_b64 s[8:9], s[8:9], 2
	v_lshlrev_b32_e32 v13, 2, v0
	s_waitcnt lgkmcnt(0)
	s_add_u32 s10, s0, s8
	s_addc_u32 s11, s1, s9
	global_load_dword v2, v13, s[10:11]
	s_mov_b32 s0, 0xc2fc0000
	v_mov_b32_e32 v1, 0x42800000
	v_mov_b32_e32 v3, 0x1f800000
	s_cmp_lg_u64 s[2:3], 0
	v_mov_b32_e32 v5, s11
	s_cselect_b64 s[8:9], -1, 0
	s_waitcnt vmcnt(0)
	v_mul_f32_e32 v4, 0xbfb8aa3b, v2
	v_cmp_gt_f32_e32 vcc, s0, v4
	v_cndmask_b32_e32 v4, 0, v1, vcc
	v_fmac_f32_e32 v4, 0xbfb8aa3b, v2
	v_exp_f32_e32 v2, v4
	v_cndmask_b32_e32 v4, 1.0, v3, vcc
	v_fma_f32 v2, v2, v4, 1.0
	v_rcp_f32_e32 v2, v2
	v_add_co_u32_e32 v4, vcc, s10, v13
	v_addc_co_u32_e32 v5, vcc, 0, v5, vcc
	s_and_b64 vcc, exec, s[8:9]
	v_mov_b32_e32 v10, v2
	s_cbranch_vccz .LBB6_2
; %bb.1:
	global_load_dword v6, v13, s[2:3]
	s_waitcnt vmcnt(0)
	v_add_f32_e32 v10, v2, v6
.LBB6_2:
	global_load_dword v6, v[4:5], off offset:256
	s_waitcnt vmcnt(0)
	v_mul_f32_e32 v7, 0xbfb8aa3b, v6
	v_cmp_gt_f32_e32 vcc, s0, v7
	v_cndmask_b32_e32 v1, 0, v1, vcc
	v_fmac_f32_e32 v1, 0xbfb8aa3b, v6
	v_exp_f32_e32 v1, v1
	v_cndmask_b32_e32 v3, 1.0, v3, vcc
	s_andn2_b64 vcc, exec, s[8:9]
	v_fma_f32 v1, v1, v3, 1.0
	v_rcp_f32_e32 v1, v1
	v_cndmask_b32_e64 v3, 0, 1, s[8:9]
	v_cmp_ne_u32_e64 s[0:1], 1, v3
	v_mov_b32_e32 v14, v1
	s_cbranch_vccnz .LBB6_4
; %bb.3:
	global_load_dword v3, v13, s[2:3] offset:256
	s_waitcnt vmcnt(0)
	v_add_f32_e32 v14, v1, v3
.LBB6_4:
	global_load_dword v6, v[4:5], off offset:512
	s_mov_b32 s7, 0xc2fc0000
	v_mov_b32_e32 v3, 0x1f800000
	s_waitcnt vmcnt(0)
	v_mul_f32_e32 v7, 0xbfb8aa3b, v6
	v_cmp_gt_f32_e32 vcc, s7, v7
	v_mov_b32_e32 v7, 0x42800000
	v_cndmask_b32_e32 v9, 0, v7, vcc
	v_fmac_f32_e32 v9, 0xbfb8aa3b, v6
	v_exp_f32_e32 v6, v9
	v_cndmask_b32_e32 v8, 1.0, v3, vcc
	s_and_b64 vcc, exec, s[0:1]
	v_fma_f32 v6, v6, v8, 1.0
	v_rcp_f32_e32 v8, v6
	v_mov_b32_e32 v6, v8
	s_cbranch_vccnz .LBB6_6
; %bb.5:
	global_load_dword v6, v13, s[2:3] offset:512
	s_waitcnt vmcnt(0)
	v_add_f32_e32 v6, v8, v6
.LBB6_6:
	global_load_dword v4, v[4:5], off offset:768
	s_waitcnt vmcnt(0)
	v_mul_f32_e32 v5, 0xbfb8aa3b, v4
	v_cmp_gt_f32_e32 vcc, s7, v5
	v_cndmask_b32_e32 v5, 0, v7, vcc
	v_fmac_f32_e32 v5, 0xbfb8aa3b, v4
	v_exp_f32_e32 v4, v5
	v_cndmask_b32_e32 v3, 1.0, v3, vcc
	s_and_b64 vcc, exec, s[0:1]
	v_fma_f32 v3, v4, v3, 1.0
	v_rcp_f32_e32 v3, v3
	v_mov_b32_e32 v5, v3
	s_cbranch_vccnz .LBB6_8
; %bb.7:
	global_load_dword v4, v13, s[2:3] offset:768
	s_waitcnt vmcnt(0)
	v_add_f32_e32 v5, v3, v4
.LBB6_8:
	v_add_u32_e32 v4, 64, v0
	v_cmp_lt_f32_e32 vcc, v10, v14
	v_add_u32_e32 v12, 0x80, v0
	v_add_u32_e32 v7, 0xc0, v0
	v_cndmask_b32_e32 v11, v1, v2, vcc
	v_cndmask_b32_e32 v2, v2, v1, vcc
	;; [unrolled: 1-line block ×6, first 2 shown]
	v_cmp_lt_f32_e32 vcc, v6, v5
	v_mov_b32_e32 v16, v6
	s_and_saveexec_b64 s[0:1], vcc
	s_xor_b64 s[0:1], exec, s[0:1]
; %bb.9:
	v_mov_b32_e32 v17, v6
	v_mov_b32_e32 v10, v8
	;; [unrolled: 1-line block ×4, first 2 shown]
	v_swap_b32 v8, v3
	v_swap_b32 v12, v7
	v_mov_b32_e32 v16, v5
	v_mov_b32_e32 v5, v17
; %bb.10:
	s_or_b64 exec, exec, s[0:1]
	v_cmp_lt_f32_e32 vcc, v15, v6
	v_cndmask_b32_e32 v14, v8, v2, vcc
	v_cndmask_b32_e32 v2, v2, v8, vcc
	;; [unrolled: 1-line block ×6, first 2 shown]
	v_cmp_lt_f32_e32 vcc, v9, v5
	v_mov_b32_e32 v15, v9
	s_and_saveexec_b64 s[0:1], vcc
; %bb.11:
	v_mov_b32_e32 v15, v1
	v_mov_b32_e32 v16, v9
	;; [unrolled: 1-line block ×4, first 2 shown]
	v_swap_b32 v11, v3
	v_swap_b32 v1, v7
	v_mov_b32_e32 v15, v5
	v_mov_b32_e32 v5, v16
; %bb.12:
	s_or_b64 exec, exec, s[0:1]
	s_load_dword s2, s[4:5], 0x28
	s_load_dwordx4 s[8:11], s[4:5], 0x10
	s_waitcnt lgkmcnt(0)
	s_cmp_lt_i32 s2, 1
	s_cbranch_scc1 .LBB6_18
; %bb.13:
	v_cmp_lt_f32_e32 vcc, v9, v12
	v_cndmask_b32_e32 v8, v10, v1, vcc
	v_cndmask_b32_e32 v1, v1, v10, vcc
	;; [unrolled: 1-line block ×6, first 2 shown]
	v_mbcnt_lo_u32_b32 v14, -1, 0
	v_mbcnt_hi_u32_b32 v14, -1, v14
	v_bfrev_b32_e32 v18, 0.5
	v_mov_b32_e32 v16, 0
	v_mov_b32_e32 v15, 0
	;; [unrolled: 1-line block ×3, first 2 shown]
	v_lshl_or_b32 v18, v14, 2, v18
	v_mov_b32_e32 v19, v0
	s_mov_b32 s3, s2
	v_mov_b32_e32 v14, 0
.LBB6_14:                               ; =>This Inner Loop Header: Depth=1
	v_cmp_eq_u32_e32 vcc, 1, v16
	v_cndmask_b32_e32 v20, v6, v9, vcc
	v_cmp_eq_u32_e64 s[0:1], 2, v16
	v_cndmask_b32_e64 v20, v20, v10, s[0:1]
	v_cndmask_b32_e32 v21, v4, v1, vcc
	v_cndmask_b32_e32 v22, v2, v11, vcc
	v_cmp_eq_u32_e32 vcc, 3, v16
	v_cndmask_b32_e32 v20, v20, v5, vcc
	v_cndmask_b32_e64 v21, v21, v8, s[0:1]
	v_cndmask_b32_e64 v22, v22, v12, s[0:1]
	v_cmp_gt_u32_e64 s[0:1], 4, v16
	v_cndmask_b32_e64 v20, v17, v20, s[0:1]
	;;#ASMSTART
	v_max_f32 v24, v20, v20 quad_perm:[1,0,3,2] row_mask:0xf bank_mask:0xf bound_ctrl:1
	;;#ASMEND
	;;#ASMSTART
	v_max_f32 v25, v24, v24 quad_perm:[2,3,0,1] row_mask:0xf bank_mask:0xf bound_ctrl:1
	;;#ASMEND
	;;#ASMSTART
	v_max_f32 v24, v25, v25 row_half_mirror row_mask:0xf bank_mask:0xf bound_ctrl:1
	;;#ASMEND
	;;#ASMSTART
	v_max_f32 v25, v24, v24 row_mirror row_mask:0xf bank_mask:0xf bound_ctrl:1
	;;#ASMEND
	;;#ASMSTART
	v_max_f32 v24, v25, v25 row_ror:4 row_mask:0xf bank_mask:0xf bound_ctrl:1
	;;#ASMEND
	;;#ASMSTART
	v_max_f32 v25, v24, v24 row_ror:8 row_mask:0xf bank_mask:0xf bound_ctrl:1
	;;#ASMEND
	;;#ASMSTART
	v_max_f32 v24, v25, v25 row_bcast:15 row_mask:0xf bank_mask:0xf bound_ctrl:1
	;;#ASMEND
	;;#ASMSTART
	v_max_f32 v25, v24, v24 row_bcast:31 row_mask:0xf bank_mask:0xf bound_ctrl:1
	;;#ASMEND
	ds_bpermute_b32 v24, v18, v25
	v_cndmask_b32_e32 v21, v21, v7, vcc
	v_cndmask_b32_e32 v22, v22, v3, vcc
	v_cndmask_b32_e64 v23, 0, v21, s[0:1]
	s_waitcnt lgkmcnt(0)
	v_cmp_eq_f32_e32 vcc, v20, v24
	s_ff1_i32_b64 s7, vcc
	s_cmp_lg_u64 vcc, 0
	s_cselect_b32 s7, s7, 0
	v_readlane_b32 s7, v23, s7
	v_cmp_eq_u32_e32 vcc, s7, v21
	s_and_b64 vcc, s[0:1], vcc
	s_and_b32 s12, s7, 63
	v_cndmask_b32_e32 v21, 0, v22, vcc
	v_addc_co_u32_e32 v16, vcc, 0, v16, vcc
	v_readlane_b32 s0, v21, s12
	s_add_i32 s3, s3, -1
	v_mov_b32_e32 v20, s7
	v_mov_b32_e32 v21, s0
	v_cmp_eq_u32_e32 vcc, 0, v19
	s_cmp_eq_u32 s3, 0
	v_add_u32_e32 v19, -1, v19
	v_cndmask_b32_e32 v15, v15, v21, vcc
	v_cndmask_b32_e32 v14, v14, v20, vcc
	s_cbranch_scc0 .LBB6_14
; %bb.15:
	v_cmp_gt_i32_e32 vcc, s2, v0
	s_and_saveexec_b64 s[0:1], vcc
	s_cbranch_execz .LBB6_17
.LBB6_16:
	s_load_dword s2, s[4:5], 0x30
	s_load_dwordx2 s[0:1], s[4:5], 0x20
	s_ashr_i32 s3, s6, 31
	s_waitcnt lgkmcnt(0)
	v_mul_f32_e32 v0, s2, v15
	s_mul_i32 s1, s6, s1
	s_mul_hi_u32 s2, s6, s0
	s_add_i32 s1, s2, s1
	s_mul_i32 s3, s3, s0
	s_add_i32 s1, s1, s3
	s_mul_i32 s0, s6, s0
	s_lshl_b64 s[0:1], s[0:1], 2
	s_add_u32 s2, s8, s0
	s_addc_u32 s3, s9, s1
	s_add_u32 s0, s10, s0
	s_addc_u32 s1, s11, s1
	global_store_dword v13, v0, s[2:3]
	global_store_dword v13, v14, s[0:1]
.LBB6_17:
	s_endpgm
.LBB6_18:
	v_mov_b32_e32 v14, 0
	v_mov_b32_e32 v15, 0
	v_cmp_gt_i32_e32 vcc, s2, v0
	s_and_saveexec_b64 s[0:1], vcc
	s_cbranch_execnz .LBB6_16
	s_branch .LBB6_17
	.section	.rodata,"a",@progbits
	.p2align	6, 0x0
	.amdhsa_kernel _ZN5aiter24topk_softplus_kernel_optIffLi256ELb0ELi1EEEvPKT_PKT0_PfPimiif
		.amdhsa_group_segment_fixed_size 0
		.amdhsa_private_segment_fixed_size 0
		.amdhsa_kernarg_size 52
		.amdhsa_user_sgpr_count 6
		.amdhsa_user_sgpr_private_segment_buffer 1
		.amdhsa_user_sgpr_dispatch_ptr 0
		.amdhsa_user_sgpr_queue_ptr 0
		.amdhsa_user_sgpr_kernarg_segment_ptr 1
		.amdhsa_user_sgpr_dispatch_id 0
		.amdhsa_user_sgpr_flat_scratch_init 0
		.amdhsa_user_sgpr_kernarg_preload_length 0
		.amdhsa_user_sgpr_kernarg_preload_offset 0
		.amdhsa_user_sgpr_private_segment_size 0
		.amdhsa_uses_dynamic_stack 0
		.amdhsa_system_sgpr_private_segment_wavefront_offset 0
		.amdhsa_system_sgpr_workgroup_id_x 1
		.amdhsa_system_sgpr_workgroup_id_y 0
		.amdhsa_system_sgpr_workgroup_id_z 0
		.amdhsa_system_sgpr_workgroup_info 0
		.amdhsa_system_vgpr_workitem_id 0
		.amdhsa_next_free_vgpr 26
		.amdhsa_next_free_sgpr 13
		.amdhsa_accum_offset 28
		.amdhsa_reserve_vcc 1
		.amdhsa_reserve_flat_scratch 0
		.amdhsa_float_round_mode_32 0
		.amdhsa_float_round_mode_16_64 0
		.amdhsa_float_denorm_mode_32 3
		.amdhsa_float_denorm_mode_16_64 3
		.amdhsa_dx10_clamp 1
		.amdhsa_ieee_mode 1
		.amdhsa_fp16_overflow 0
		.amdhsa_tg_split 0
		.amdhsa_exception_fp_ieee_invalid_op 0
		.amdhsa_exception_fp_denorm_src 0
		.amdhsa_exception_fp_ieee_div_zero 0
		.amdhsa_exception_fp_ieee_overflow 0
		.amdhsa_exception_fp_ieee_underflow 0
		.amdhsa_exception_fp_ieee_inexact 0
		.amdhsa_exception_int_div_zero 0
	.end_amdhsa_kernel
	.section	.text._ZN5aiter24topk_softplus_kernel_optIffLi256ELb0ELi1EEEvPKT_PKT0_PfPimiif,"axG",@progbits,_ZN5aiter24topk_softplus_kernel_optIffLi256ELb0ELi1EEEvPKT_PKT0_PfPimiif,comdat
.Lfunc_end6:
	.size	_ZN5aiter24topk_softplus_kernel_optIffLi256ELb0ELi1EEEvPKT_PKT0_PfPimiif, .Lfunc_end6-_ZN5aiter24topk_softplus_kernel_optIffLi256ELb0ELi1EEEvPKT_PKT0_PfPimiif
                                        ; -- End function
	.section	.AMDGPU.csdata,"",@progbits
; Kernel info:
; codeLenInByte = 1124
; NumSgprs: 17
; NumVgprs: 26
; NumAgprs: 0
; TotalNumVgprs: 26
; ScratchSize: 0
; MemoryBound: 0
; FloatMode: 240
; IeeeMode: 1
; LDSByteSize: 0 bytes/workgroup (compile time only)
; SGPRBlocks: 2
; VGPRBlocks: 3
; NumSGPRsForWavesPerEU: 17
; NumVGPRsForWavesPerEU: 26
; AccumOffset: 28
; Occupancy: 8
; WaveLimiterHint : 0
; COMPUTE_PGM_RSRC2:SCRATCH_EN: 0
; COMPUTE_PGM_RSRC2:USER_SGPR: 6
; COMPUTE_PGM_RSRC2:TRAP_HANDLER: 0
; COMPUTE_PGM_RSRC2:TGID_X_EN: 1
; COMPUTE_PGM_RSRC2:TGID_Y_EN: 0
; COMPUTE_PGM_RSRC2:TGID_Z_EN: 0
; COMPUTE_PGM_RSRC2:TIDIG_COMP_CNT: 0
; COMPUTE_PGM_RSRC3_GFX90A:ACCUM_OFFSET: 6
; COMPUTE_PGM_RSRC3_GFX90A:TG_SPLIT: 0
	.section	.text._ZN5aiter24topk_softplus_kernel_optIffLi384ELb1ELi1EEEvPKT_PKT0_PfPimiif,"axG",@progbits,_ZN5aiter24topk_softplus_kernel_optIffLi384ELb1ELi1EEEvPKT_PKT0_PfPimiif,comdat
	.protected	_ZN5aiter24topk_softplus_kernel_optIffLi384ELb1ELi1EEEvPKT_PKT0_PfPimiif ; -- Begin function _ZN5aiter24topk_softplus_kernel_optIffLi384ELb1ELi1EEEvPKT_PKT0_PfPimiif
	.globl	_ZN5aiter24topk_softplus_kernel_optIffLi384ELb1ELi1EEEvPKT_PKT0_PfPimiif
	.p2align	8
	.type	_ZN5aiter24topk_softplus_kernel_optIffLi384ELb1ELi1EEEvPKT_PKT0_PfPimiif,@function
_ZN5aiter24topk_softplus_kernel_optIffLi384ELb1ELi1EEEvPKT_PKT0_PfPimiif: ; @_ZN5aiter24topk_softplus_kernel_optIffLi384ELb1ELi1EEEvPKT_PKT0_PfPimiif
; %bb.0:
	s_load_dwordx4 s[0:3], s[4:5], 0x0
	s_mul_i32 s8, s6, 0x180
	s_ashr_i32 s9, s8, 31
	s_lshl_b64 s[8:9], s[8:9], 2
	v_lshlrev_b32_e32 v19, 2, v0
	s_waitcnt lgkmcnt(0)
	s_add_u32 s10, s0, s8
	s_addc_u32 s11, s1, s9
	global_load_dword v1, v19, s[10:11]
	s_mov_b32 s0, 0xc2fc0000
	v_mov_b32_e32 v5, 0x42800000
	v_mov_b32_e32 v6, 0x1f800000
	s_cmp_lg_u64 s[2:3], 0
	v_mov_b32_e32 v3, s11
	s_cselect_b64 s[8:9], -1, 0
	s_waitcnt vmcnt(0)
	v_mul_f32_e32 v2, 0xbfb8aa3b, v1
	v_cmp_gt_f32_e32 vcc, s0, v2
	v_cndmask_b32_e32 v2, 0, v5, vcc
	v_fmac_f32_e32 v2, 0xbfb8aa3b, v1
	v_exp_f32_e32 v1, v2
	v_cndmask_b32_e32 v2, 1.0, v6, vcc
	v_fma_f32 v1, v1, v2, 1.0
	v_rcp_f32_e32 v1, v1
	v_add_co_u32_e32 v2, vcc, s10, v19
	v_addc_co_u32_e32 v3, vcc, 0, v3, vcc
	s_and_b64 vcc, exec, s[8:9]
	v_mov_b32_e32 v4, v1
	s_cbranch_vccz .LBB7_2
; %bb.1:
	global_load_dword v4, v19, s[2:3]
	s_waitcnt vmcnt(0)
	v_add_f32_e32 v4, v1, v4
.LBB7_2:
	global_load_dword v7, v[2:3], off offset:256
	s_waitcnt vmcnt(0)
	v_mul_f32_e32 v8, 0xbfb8aa3b, v7
	v_cmp_gt_f32_e32 vcc, s0, v8
	v_cndmask_b32_e32 v5, 0, v5, vcc
	v_fmac_f32_e32 v5, 0xbfb8aa3b, v7
	v_exp_f32_e32 v5, v5
	v_cndmask_b32_e32 v6, 1.0, v6, vcc
	s_andn2_b64 vcc, exec, s[8:9]
	v_fma_f32 v5, v5, v6, 1.0
	v_rcp_f32_e32 v5, v5
	v_cndmask_b32_e64 v6, 0, 1, s[8:9]
	v_cmp_ne_u32_e64 s[0:1], 1, v6
	v_mov_b32_e32 v6, v5
	s_cbranch_vccnz .LBB7_4
; %bb.3:
	global_load_dword v6, v19, s[2:3] offset:256
	s_waitcnt vmcnt(0)
	v_add_f32_e32 v6, v5, v6
.LBB7_4:
	global_load_dword v7, v[2:3], off offset:512
	s_mov_b32 s7, 0xc2fc0000
	v_mov_b32_e32 v10, 0x42800000
	v_mov_b32_e32 v9, 0x1f800000
	s_waitcnt vmcnt(0)
	v_mul_f32_e32 v8, 0xbfb8aa3b, v7
	v_cmp_gt_f32_e32 vcc, s7, v8
	v_cndmask_b32_e32 v11, 0, v10, vcc
	v_fmac_f32_e32 v11, 0xbfb8aa3b, v7
	v_exp_f32_e32 v7, v11
	v_cndmask_b32_e32 v8, 1.0, v9, vcc
	s_and_b64 vcc, exec, s[0:1]
	v_fma_f32 v7, v7, v8, 1.0
	v_rcp_f32_e32 v7, v7
	v_mov_b32_e32 v8, v7
	s_cbranch_vccnz .LBB7_6
; %bb.5:
	global_load_dword v8, v19, s[2:3] offset:512
	s_waitcnt vmcnt(0)
	v_add_f32_e32 v8, v7, v8
.LBB7_6:
	global_load_dword v11, v[2:3], off offset:768
	s_waitcnt vmcnt(0)
	v_mul_f32_e32 v12, 0xbfb8aa3b, v11
	v_cmp_gt_f32_e32 vcc, s7, v12
	v_cndmask_b32_e32 v10, 0, v10, vcc
	v_fmac_f32_e32 v10, 0xbfb8aa3b, v11
	v_exp_f32_e32 v10, v10
	v_cndmask_b32_e32 v9, 1.0, v9, vcc
	s_and_b64 vcc, exec, s[0:1]
	v_fma_f32 v9, v10, v9, 1.0
	v_rcp_f32_e32 v9, v9
	v_mov_b32_e32 v10, v9
	s_cbranch_vccnz .LBB7_8
; %bb.7:
	global_load_dword v10, v19, s[2:3] offset:768
	s_waitcnt vmcnt(0)
	v_add_f32_e32 v10, v9, v10
.LBB7_8:
	global_load_dword v11, v[2:3], off offset:1024
	v_mov_b32_e32 v14, 0x42800000
	v_mov_b32_e32 v13, 0x1f800000
	s_waitcnt vmcnt(0)
	v_mul_f32_e32 v12, 0xbfb8aa3b, v11
	v_cmp_gt_f32_e32 vcc, s7, v12
	v_cndmask_b32_e32 v15, 0, v14, vcc
	v_fmac_f32_e32 v15, 0xbfb8aa3b, v11
	v_exp_f32_e32 v11, v15
	v_cndmask_b32_e32 v12, 1.0, v13, vcc
	s_and_b64 vcc, exec, s[0:1]
	v_fma_f32 v11, v11, v12, 1.0
	v_rcp_f32_e32 v11, v11
	v_mov_b32_e32 v12, v11
	s_cbranch_vccnz .LBB7_10
; %bb.9:
	global_load_dword v12, v19, s[2:3] offset:1024
	s_waitcnt vmcnt(0)
	v_add_f32_e32 v12, v11, v12
.LBB7_10:
	global_load_dword v2, v[2:3], off offset:1280
	s_waitcnt vmcnt(0)
	v_mul_f32_e32 v3, 0xbfb8aa3b, v2
	v_cmp_gt_f32_e32 vcc, s7, v3
	v_cndmask_b32_e32 v3, 1.0, v13, vcc
	v_cndmask_b32_e32 v13, 0, v14, vcc
	v_fmac_f32_e32 v13, 0xbfb8aa3b, v2
	v_exp_f32_e32 v2, v13
	s_and_b64 vcc, exec, s[0:1]
	v_fma_f32 v2, v2, v3, 1.0
	v_rcp_f32_e32 v2, v2
	v_mov_b32_e32 v3, v2
	s_cbranch_vccnz .LBB7_12
; %bb.11:
	global_load_dword v3, v19, s[2:3] offset:1280
	s_waitcnt vmcnt(0)
	v_add_f32_e32 v3, v2, v3
.LBB7_12:
	v_add_u32_e32 v13, 64, v0
	v_cmp_lt_f32_e32 vcc, v4, v6
	v_add_u32_e32 v14, 0x80, v0
	v_add_u32_e32 v15, 0xc0, v0
	v_cndmask_b32_e32 v18, v5, v1, vcc
	v_cndmask_b32_e32 v1, v1, v5, vcc
	;; [unrolled: 1-line block ×6, first 2 shown]
	v_cmp_lt_f32_e32 vcc, v8, v10
	v_add_u32_e32 v16, 0x100, v0
	v_add_u32_e32 v17, 0x140, v0
	v_cndmask_b32_e32 v6, v9, v7, vcc
	v_cndmask_b32_e32 v7, v7, v9, vcc
	v_cndmask_b32_e32 v9, v15, v14, vcc
	v_cndmask_b32_e32 v14, v14, v15, vcc
	v_cndmask_b32_e32 v15, v10, v8, vcc
	v_cndmask_b32_e32 v8, v8, v10, vcc
	v_cmp_lt_f32_e32 vcc, v12, v3
	v_cndmask_b32_e32 v10, v2, v11, vcc
	v_cndmask_b32_e32 v2, v11, v2, vcc
	v_cndmask_b32_e32 v11, v17, v16, vcc
	v_cndmask_b32_e32 v16, v16, v17, vcc
	v_cndmask_b32_e32 v17, v3, v12, vcc
	v_cndmask_b32_e32 v3, v12, v3, vcc
	v_cmp_lt_f32_e32 vcc, v4, v8
	v_cndmask_b32_e32 v12, v7, v1, vcc
	v_cndmask_b32_e32 v1, v1, v7, vcc
	v_cndmask_b32_e32 v7, v14, v13, vcc
	v_cndmask_b32_e32 v13, v13, v14, vcc
	v_cndmask_b32_e32 v14, v8, v4, vcc
	v_cndmask_b32_e32 v8, v4, v8, vcc
	v_cmp_lt_f32_e32 vcc, v20, v3
	v_cndmask_b32_e32 v21, v2, v18, vcc
	v_cndmask_b32_e32 v4, v18, v2, vcc
	v_cndmask_b32_e32 v22, v16, v5, vcc
	v_cndmask_b32_e32 v5, v5, v16, vcc
	v_cndmask_b32_e32 v23, v3, v20, vcc
	v_cndmask_b32_e32 v3, v20, v3, vcc
	v_cmp_lt_f32_e32 vcc, v15, v17
	v_cndmask_b32_e32 v18, v10, v6, vcc
	v_cndmask_b32_e32 v10, v6, v10, vcc
	v_cndmask_b32_e32 v24, v11, v9, vcc
	v_cndmask_b32_e32 v9, v9, v11, vcc
	v_cndmask_b32_e32 v11, v17, v15, vcc
	v_cndmask_b32_e32 v17, v15, v17, vcc
	v_cmp_lt_f32_e32 vcc, v8, v3
	v_cndmask_b32_e32 v2, v1, v4, vcc
	v_cndmask_b32_e32 v1, v4, v1, vcc
	v_cndmask_b32_e32 v4, v13, v5, vcc
	v_cndmask_b32_e32 v13, v5, v13, vcc
	v_cndmask_b32_e32 v6, v8, v3, vcc
	v_cndmask_b32_e32 v25, v3, v8, vcc
	v_cmp_lt_f32_e32 vcc, v14, v17
	v_cndmask_b32_e32 v20, v10, v12, vcc
	v_cndmask_b32_e32 v3, v12, v10, vcc
	v_cndmask_b32_e32 v15, v9, v7, vcc
	v_cndmask_b32_e32 v26, v7, v9, vcc
	v_cndmask_b32_e32 v16, v17, v14, vcc
	v_cndmask_b32_e32 v27, v14, v17, vcc
	v_cmp_lt_f32_e32 vcc, v23, v11
	v_cndmask_b32_e32 v12, v23, v11, vcc
	v_cmp_lt_f32_e64 s[0:1], v25, v27
	v_cndmask_b32_e32 v5, v18, v21, vcc
	v_cndmask_b32_e32 v8, v21, v18, vcc
	;; [unrolled: 1-line block ×3, first 2 shown]
	v_cndmask_b32_e64 v18, v3, v1, s[0:1]
	v_cndmask_b32_e64 v14, v26, v13, s[0:1]
	;; [unrolled: 1-line block ×3, first 2 shown]
	v_cmp_lt_f32_e64 s[2:3], v16, v12
	v_cndmask_b32_e32 v10, v22, v24, vcc
	v_cndmask_b32_e32 v9, v11, v23, vcc
	v_cndmask_b32_e64 v1, v1, v3, s[0:1]
	v_cndmask_b32_e64 v3, v13, v26, s[0:1]
	;; [unrolled: 1-line block ×3, first 2 shown]
	s_and_saveexec_b64 s[0:1], s[2:3]
	s_xor_b64 s[0:1], exec, s[0:1]
; %bb.13:
	v_mov_b32_e32 v13, v20
	v_mov_b32_e32 v21, v15
	;; [unrolled: 1-line block ×3, first 2 shown]
	v_swap_b32 v16, v12
	v_swap_b32 v20, v8
	;; [unrolled: 1-line block ×3, first 2 shown]
; %bb.14:
	s_or_b64 exec, exec, s[0:1]
	s_load_dword s7, s[4:5], 0x28
	s_load_dwordx4 s[16:19], s[4:5], 0x10
	v_mov_b32_e32 v22, 0
	s_waitcnt lgkmcnt(0)
	s_cmp_lt_i32 s7, 1
	s_cbranch_scc1 .LBB7_20
; %bb.15:
	v_cmp_lt_f32_e32 vcc, v17, v16
	v_cndmask_b32_e32 v13, v15, v14, vcc
	v_cndmask_b32_e32 v14, v14, v15, vcc
	;; [unrolled: 1-line block ×6, first 2 shown]
	v_mbcnt_lo_u32_b32 v20, -1, 0
	v_mbcnt_hi_u32_b32 v20, -1, v20
	v_bfrev_b32_e32 v21, 0.5
	v_mov_b32_e32 v22, 0
	v_mov_b32_e32 v23, 0
	;; [unrolled: 1-line block ×3, first 2 shown]
	v_lshl_or_b32 v25, v20, 2, v21
	v_mov_b32_e32 v26, v0
	s_mov_b32 s20, s7
	v_mov_b32_e32 v20, 0
	v_mov_b32_e32 v21, 0
.LBB7_16:                               ; =>This Inner Loop Header: Depth=1
	v_cmp_eq_u32_e32 vcc, 1, v23
	v_cndmask_b32_e32 v27, v6, v11, vcc
	v_cmp_eq_u32_e64 s[0:1], 2, v23
	v_cndmask_b32_e64 v27, v27, v16, s[0:1]
	v_cmp_eq_u32_e64 s[2:3], 3, v23
	v_cndmask_b32_e64 v27, v27, v15, s[2:3]
	;; [unrolled: 2-line block ×4, first 2 shown]
	v_cmp_gt_u32_e64 s[12:13], 6, v23
	v_cndmask_b32_e64 v27, v24, v27, s[12:13]
	;;#ASMSTART
	v_max_f32 v28, v27, v27 quad_perm:[1,0,3,2] row_mask:0xf bank_mask:0xf bound_ctrl:1
	;;#ASMEND
	;;#ASMSTART
	v_max_f32 v29, v28, v28 quad_perm:[2,3,0,1] row_mask:0xf bank_mask:0xf bound_ctrl:1
	;;#ASMEND
	;;#ASMSTART
	v_max_f32 v28, v29, v29 row_half_mirror row_mask:0xf bank_mask:0xf bound_ctrl:1
	;;#ASMEND
	;;#ASMSTART
	v_max_f32 v29, v28, v28 row_mirror row_mask:0xf bank_mask:0xf bound_ctrl:1
	;;#ASMEND
	;;#ASMSTART
	v_max_f32 v28, v29, v29 row_ror:4 row_mask:0xf bank_mask:0xf bound_ctrl:1
	;;#ASMEND
	;;#ASMSTART
	v_max_f32 v29, v28, v28 row_ror:8 row_mask:0xf bank_mask:0xf bound_ctrl:1
	;;#ASMEND
	;;#ASMSTART
	v_max_f32 v28, v29, v29 row_bcast:15 row_mask:0xf bank_mask:0xf bound_ctrl:1
	;;#ASMEND
	;;#ASMSTART
	v_max_f32 v29, v28, v28 row_bcast:31 row_mask:0xf bank_mask:0xf bound_ctrl:1
	;;#ASMEND
	ds_bpermute_b32 v28, v25, v29
	s_waitcnt lgkmcnt(0)
	v_cmp_eq_f32_e64 s[14:15], v27, v28
	v_cndmask_b32_e32 v27, v4, v3, vcc
	v_cndmask_b32_e64 v27, v27, v14, s[0:1]
	v_cndmask_b32_e64 v27, v27, v13, s[2:3]
	;; [unrolled: 1-line block ×4, first 2 shown]
	s_ff1_i32_b64 s21, s[14:15]
	s_cmp_lg_u64 s[14:15], 0
	s_cselect_b32 s14, s21, 0
	v_cndmask_b32_e64 v28, 0, v27, s[12:13]
	v_readlane_b32 s21, v28, s14
	v_cmp_eq_u32_e64 s[14:15], s21, v27
	v_cndmask_b32_e32 v27, v2, v1, vcc
	v_cndmask_b32_e64 v27, v27, v18, s[0:1]
	v_cndmask_b32_e64 v27, v27, v17, s[2:3]
	;; [unrolled: 1-line block ×4, first 2 shown]
	s_and_b64 vcc, s[12:13], s[14:15]
	s_and_b32 s0, s21, 63
	v_cndmask_b32_e32 v27, 0, v27, vcc
	v_readlane_b32 s2, v27, s0
	v_mov_b32_e32 v27, s2
	v_cmp_eq_u32_e64 s[0:1], 0, v26
	v_cndmask_b32_e64 v21, v21, v27, s[0:1]
	v_mov_b32_e32 v27, s21
	s_add_i32 s20, s20, -1
	v_cndmask_b32_e64 v20, v20, v27, s[0:1]
	v_addc_co_u32_e32 v23, vcc, 0, v23, vcc
	s_cmp_eq_u32 s20, 0
	v_add_f32_e32 v22, s2, v22
	v_add_u32_e32 v26, -1, v26
	s_cbranch_scc0 .LBB7_16
; %bb.17:
	v_cmp_gt_i32_e32 vcc, s7, v0
	s_and_saveexec_b64 s[0:1], vcc
	s_cbranch_execz .LBB7_19
.LBB7_18:
	s_load_dword s2, s[4:5], 0x30
	v_max_f32_e32 v0, v22, v22
	v_max_f32_e32 v0, 0x1e3ce508, v0
	s_waitcnt lgkmcnt(0)
	v_div_scale_f32 v1, s[0:1], v0, v0, s2
	v_rcp_f32_e32 v2, v1
	v_div_scale_f32 v3, vcc, s2, v0, s2
	s_load_dwordx2 s[0:1], s[4:5], 0x20
	v_fma_f32 v4, -v1, v2, 1.0
	v_fmac_f32_e32 v2, v4, v2
	v_mul_f32_e32 v4, v3, v2
	v_fma_f32 v5, -v1, v4, v3
	v_fmac_f32_e32 v4, v5, v2
	v_fma_f32 v1, -v1, v4, v3
	v_div_fmas_f32 v1, v1, v2, v4
	v_div_fixup_f32 v0, v1, v0, s2
	s_ashr_i32 s2, s6, 31
	s_waitcnt lgkmcnt(0)
	s_mul_i32 s1, s6, s1
	s_mul_hi_u32 s3, s6, s0
	s_add_i32 s1, s3, s1
	s_mul_i32 s2, s2, s0
	s_add_i32 s1, s1, s2
	s_mul_i32 s0, s6, s0
	s_lshl_b64 s[0:1], s[0:1], 2
	s_add_u32 s2, s16, s0
	s_addc_u32 s3, s17, s1
	s_add_u32 s0, s18, s0
	v_mul_f32_e32 v0, v21, v0
	s_addc_u32 s1, s19, s1
	global_store_dword v19, v0, s[2:3]
	global_store_dword v19, v20, s[0:1]
.LBB7_19:
	s_endpgm
.LBB7_20:
	v_mov_b32_e32 v20, 0
	v_mov_b32_e32 v21, 0
	v_cmp_gt_i32_e32 vcc, s7, v0
	s_and_saveexec_b64 s[0:1], vcc
	s_cbranch_execnz .LBB7_18
	s_branch .LBB7_19
	.section	.rodata,"a",@progbits
	.p2align	6, 0x0
	.amdhsa_kernel _ZN5aiter24topk_softplus_kernel_optIffLi384ELb1ELi1EEEvPKT_PKT0_PfPimiif
		.amdhsa_group_segment_fixed_size 0
		.amdhsa_private_segment_fixed_size 0
		.amdhsa_kernarg_size 52
		.amdhsa_user_sgpr_count 6
		.amdhsa_user_sgpr_private_segment_buffer 1
		.amdhsa_user_sgpr_dispatch_ptr 0
		.amdhsa_user_sgpr_queue_ptr 0
		.amdhsa_user_sgpr_kernarg_segment_ptr 1
		.amdhsa_user_sgpr_dispatch_id 0
		.amdhsa_user_sgpr_flat_scratch_init 0
		.amdhsa_user_sgpr_kernarg_preload_length 0
		.amdhsa_user_sgpr_kernarg_preload_offset 0
		.amdhsa_user_sgpr_private_segment_size 0
		.amdhsa_uses_dynamic_stack 0
		.amdhsa_system_sgpr_private_segment_wavefront_offset 0
		.amdhsa_system_sgpr_workgroup_id_x 1
		.amdhsa_system_sgpr_workgroup_id_y 0
		.amdhsa_system_sgpr_workgroup_id_z 0
		.amdhsa_system_sgpr_workgroup_info 0
		.amdhsa_system_vgpr_workitem_id 0
		.amdhsa_next_free_vgpr 30
		.amdhsa_next_free_sgpr 22
		.amdhsa_accum_offset 32
		.amdhsa_reserve_vcc 1
		.amdhsa_reserve_flat_scratch 0
		.amdhsa_float_round_mode_32 0
		.amdhsa_float_round_mode_16_64 0
		.amdhsa_float_denorm_mode_32 3
		.amdhsa_float_denorm_mode_16_64 3
		.amdhsa_dx10_clamp 1
		.amdhsa_ieee_mode 1
		.amdhsa_fp16_overflow 0
		.amdhsa_tg_split 0
		.amdhsa_exception_fp_ieee_invalid_op 0
		.amdhsa_exception_fp_denorm_src 0
		.amdhsa_exception_fp_ieee_div_zero 0
		.amdhsa_exception_fp_ieee_overflow 0
		.amdhsa_exception_fp_ieee_underflow 0
		.amdhsa_exception_fp_ieee_inexact 0
		.amdhsa_exception_int_div_zero 0
	.end_amdhsa_kernel
	.section	.text._ZN5aiter24topk_softplus_kernel_optIffLi384ELb1ELi1EEEvPKT_PKT0_PfPimiif,"axG",@progbits,_ZN5aiter24topk_softplus_kernel_optIffLi384ELb1ELi1EEEvPKT_PKT0_PfPimiif,comdat
.Lfunc_end7:
	.size	_ZN5aiter24topk_softplus_kernel_optIffLi384ELb1ELi1EEEvPKT_PKT0_PfPimiif, .Lfunc_end7-_ZN5aiter24topk_softplus_kernel_optIffLi384ELb1ELi1EEEvPKT_PKT0_PfPimiif
                                        ; -- End function
	.section	.AMDGPU.csdata,"",@progbits
; Kernel info:
; codeLenInByte = 1724
; NumSgprs: 26
; NumVgprs: 30
; NumAgprs: 0
; TotalNumVgprs: 30
; ScratchSize: 0
; MemoryBound: 0
; FloatMode: 240
; IeeeMode: 1
; LDSByteSize: 0 bytes/workgroup (compile time only)
; SGPRBlocks: 3
; VGPRBlocks: 3
; NumSGPRsForWavesPerEU: 26
; NumVGPRsForWavesPerEU: 30
; AccumOffset: 32
; Occupancy: 8
; WaveLimiterHint : 0
; COMPUTE_PGM_RSRC2:SCRATCH_EN: 0
; COMPUTE_PGM_RSRC2:USER_SGPR: 6
; COMPUTE_PGM_RSRC2:TRAP_HANDLER: 0
; COMPUTE_PGM_RSRC2:TGID_X_EN: 1
; COMPUTE_PGM_RSRC2:TGID_Y_EN: 0
; COMPUTE_PGM_RSRC2:TGID_Z_EN: 0
; COMPUTE_PGM_RSRC2:TIDIG_COMP_CNT: 0
; COMPUTE_PGM_RSRC3_GFX90A:ACCUM_OFFSET: 7
; COMPUTE_PGM_RSRC3_GFX90A:TG_SPLIT: 0
	.section	.text._ZN5aiter24topk_softplus_kernel_optIffLi384ELb0ELi1EEEvPKT_PKT0_PfPimiif,"axG",@progbits,_ZN5aiter24topk_softplus_kernel_optIffLi384ELb0ELi1EEEvPKT_PKT0_PfPimiif,comdat
	.protected	_ZN5aiter24topk_softplus_kernel_optIffLi384ELb0ELi1EEEvPKT_PKT0_PfPimiif ; -- Begin function _ZN5aiter24topk_softplus_kernel_optIffLi384ELb0ELi1EEEvPKT_PKT0_PfPimiif
	.globl	_ZN5aiter24topk_softplus_kernel_optIffLi384ELb0ELi1EEEvPKT_PKT0_PfPimiif
	.p2align	8
	.type	_ZN5aiter24topk_softplus_kernel_optIffLi384ELb0ELi1EEEvPKT_PKT0_PfPimiif,@function
_ZN5aiter24topk_softplus_kernel_optIffLi384ELb0ELi1EEEvPKT_PKT0_PfPimiif: ; @_ZN5aiter24topk_softplus_kernel_optIffLi384ELb0ELi1EEEvPKT_PKT0_PfPimiif
; %bb.0:
	s_load_dwordx4 s[0:3], s[4:5], 0x0
	s_mul_i32 s8, s6, 0x180
	s_ashr_i32 s9, s8, 31
	s_lshl_b64 s[8:9], s[8:9], 2
	v_lshlrev_b32_e32 v19, 2, v0
	s_waitcnt lgkmcnt(0)
	s_add_u32 s10, s0, s8
	s_addc_u32 s11, s1, s9
	global_load_dword v1, v19, s[10:11]
	s_mov_b32 s0, 0xc2fc0000
	v_mov_b32_e32 v5, 0x42800000
	v_mov_b32_e32 v6, 0x1f800000
	s_cmp_lg_u64 s[2:3], 0
	v_mov_b32_e32 v3, s11
	s_cselect_b64 s[8:9], -1, 0
	s_waitcnt vmcnt(0)
	v_mul_f32_e32 v2, 0xbfb8aa3b, v1
	v_cmp_gt_f32_e32 vcc, s0, v2
	v_cndmask_b32_e32 v2, 0, v5, vcc
	v_fmac_f32_e32 v2, 0xbfb8aa3b, v1
	v_exp_f32_e32 v1, v2
	v_cndmask_b32_e32 v2, 1.0, v6, vcc
	v_fma_f32 v1, v1, v2, 1.0
	v_rcp_f32_e32 v1, v1
	v_add_co_u32_e32 v2, vcc, s10, v19
	v_addc_co_u32_e32 v3, vcc, 0, v3, vcc
	s_and_b64 vcc, exec, s[8:9]
	v_mov_b32_e32 v4, v1
	s_cbranch_vccz .LBB8_2
; %bb.1:
	global_load_dword v4, v19, s[2:3]
	s_waitcnt vmcnt(0)
	v_add_f32_e32 v4, v1, v4
.LBB8_2:
	global_load_dword v7, v[2:3], off offset:256
	s_waitcnt vmcnt(0)
	v_mul_f32_e32 v8, 0xbfb8aa3b, v7
	v_cmp_gt_f32_e32 vcc, s0, v8
	v_cndmask_b32_e32 v5, 0, v5, vcc
	v_fmac_f32_e32 v5, 0xbfb8aa3b, v7
	v_exp_f32_e32 v5, v5
	v_cndmask_b32_e32 v6, 1.0, v6, vcc
	s_andn2_b64 vcc, exec, s[8:9]
	v_fma_f32 v5, v5, v6, 1.0
	v_rcp_f32_e32 v5, v5
	v_cndmask_b32_e64 v6, 0, 1, s[8:9]
	v_cmp_ne_u32_e64 s[0:1], 1, v6
	v_mov_b32_e32 v6, v5
	s_cbranch_vccnz .LBB8_4
; %bb.3:
	global_load_dword v6, v19, s[2:3] offset:256
	s_waitcnt vmcnt(0)
	v_add_f32_e32 v6, v5, v6
.LBB8_4:
	global_load_dword v7, v[2:3], off offset:512
	s_mov_b32 s7, 0xc2fc0000
	v_mov_b32_e32 v10, 0x42800000
	v_mov_b32_e32 v9, 0x1f800000
	s_waitcnt vmcnt(0)
	v_mul_f32_e32 v8, 0xbfb8aa3b, v7
	v_cmp_gt_f32_e32 vcc, s7, v8
	v_cndmask_b32_e32 v11, 0, v10, vcc
	v_fmac_f32_e32 v11, 0xbfb8aa3b, v7
	v_exp_f32_e32 v7, v11
	v_cndmask_b32_e32 v8, 1.0, v9, vcc
	s_and_b64 vcc, exec, s[0:1]
	v_fma_f32 v7, v7, v8, 1.0
	v_rcp_f32_e32 v7, v7
	v_mov_b32_e32 v8, v7
	s_cbranch_vccnz .LBB8_6
; %bb.5:
	global_load_dword v8, v19, s[2:3] offset:512
	s_waitcnt vmcnt(0)
	v_add_f32_e32 v8, v7, v8
.LBB8_6:
	global_load_dword v11, v[2:3], off offset:768
	s_waitcnt vmcnt(0)
	v_mul_f32_e32 v12, 0xbfb8aa3b, v11
	v_cmp_gt_f32_e32 vcc, s7, v12
	v_cndmask_b32_e32 v10, 0, v10, vcc
	v_fmac_f32_e32 v10, 0xbfb8aa3b, v11
	v_exp_f32_e32 v10, v10
	v_cndmask_b32_e32 v9, 1.0, v9, vcc
	s_and_b64 vcc, exec, s[0:1]
	v_fma_f32 v9, v10, v9, 1.0
	v_rcp_f32_e32 v9, v9
	v_mov_b32_e32 v10, v9
	s_cbranch_vccnz .LBB8_8
; %bb.7:
	global_load_dword v10, v19, s[2:3] offset:768
	s_waitcnt vmcnt(0)
	v_add_f32_e32 v10, v9, v10
.LBB8_8:
	global_load_dword v11, v[2:3], off offset:1024
	v_mov_b32_e32 v14, 0x42800000
	v_mov_b32_e32 v13, 0x1f800000
	s_waitcnt vmcnt(0)
	v_mul_f32_e32 v12, 0xbfb8aa3b, v11
	v_cmp_gt_f32_e32 vcc, s7, v12
	v_cndmask_b32_e32 v15, 0, v14, vcc
	v_fmac_f32_e32 v15, 0xbfb8aa3b, v11
	v_exp_f32_e32 v11, v15
	v_cndmask_b32_e32 v12, 1.0, v13, vcc
	s_and_b64 vcc, exec, s[0:1]
	v_fma_f32 v11, v11, v12, 1.0
	v_rcp_f32_e32 v11, v11
	v_mov_b32_e32 v12, v11
	s_cbranch_vccnz .LBB8_10
; %bb.9:
	global_load_dword v12, v19, s[2:3] offset:1024
	s_waitcnt vmcnt(0)
	v_add_f32_e32 v12, v11, v12
.LBB8_10:
	global_load_dword v2, v[2:3], off offset:1280
	s_waitcnt vmcnt(0)
	v_mul_f32_e32 v3, 0xbfb8aa3b, v2
	v_cmp_gt_f32_e32 vcc, s7, v3
	v_cndmask_b32_e32 v3, 1.0, v13, vcc
	v_cndmask_b32_e32 v13, 0, v14, vcc
	v_fmac_f32_e32 v13, 0xbfb8aa3b, v2
	v_exp_f32_e32 v2, v13
	s_and_b64 vcc, exec, s[0:1]
	v_fma_f32 v2, v2, v3, 1.0
	v_rcp_f32_e32 v2, v2
	v_mov_b32_e32 v3, v2
	s_cbranch_vccnz .LBB8_12
; %bb.11:
	global_load_dword v3, v19, s[2:3] offset:1280
	s_waitcnt vmcnt(0)
	v_add_f32_e32 v3, v2, v3
.LBB8_12:
	v_add_u32_e32 v13, 64, v0
	v_cmp_lt_f32_e32 vcc, v4, v6
	v_add_u32_e32 v14, 0x80, v0
	v_add_u32_e32 v15, 0xc0, v0
	v_cndmask_b32_e32 v18, v5, v1, vcc
	v_cndmask_b32_e32 v1, v1, v5, vcc
	;; [unrolled: 1-line block ×6, first 2 shown]
	v_cmp_lt_f32_e32 vcc, v8, v10
	v_add_u32_e32 v16, 0x100, v0
	v_add_u32_e32 v17, 0x140, v0
	v_cndmask_b32_e32 v6, v9, v7, vcc
	v_cndmask_b32_e32 v7, v7, v9, vcc
	v_cndmask_b32_e32 v9, v15, v14, vcc
	v_cndmask_b32_e32 v14, v14, v15, vcc
	v_cndmask_b32_e32 v15, v10, v8, vcc
	v_cndmask_b32_e32 v8, v8, v10, vcc
	v_cmp_lt_f32_e32 vcc, v12, v3
	v_cndmask_b32_e32 v10, v2, v11, vcc
	v_cndmask_b32_e32 v2, v11, v2, vcc
	v_cndmask_b32_e32 v11, v17, v16, vcc
	v_cndmask_b32_e32 v16, v16, v17, vcc
	v_cndmask_b32_e32 v17, v3, v12, vcc
	v_cndmask_b32_e32 v3, v12, v3, vcc
	v_cmp_lt_f32_e32 vcc, v4, v8
	;; [unrolled: 7-line block ×7, first 2 shown]
	v_cndmask_b32_e32 v12, v23, v11, vcc
	v_cmp_lt_f32_e64 s[0:1], v25, v27
	v_cndmask_b32_e32 v5, v18, v21, vcc
	v_cndmask_b32_e32 v8, v21, v18, vcc
	;; [unrolled: 1-line block ×3, first 2 shown]
	v_cndmask_b32_e64 v18, v3, v1, s[0:1]
	v_cndmask_b32_e64 v14, v26, v13, s[0:1]
	;; [unrolled: 1-line block ×3, first 2 shown]
	v_cmp_lt_f32_e64 s[2:3], v16, v12
	v_cndmask_b32_e32 v10, v22, v24, vcc
	v_cndmask_b32_e32 v9, v11, v23, vcc
	v_cndmask_b32_e64 v1, v1, v3, s[0:1]
	v_cndmask_b32_e64 v3, v13, v26, s[0:1]
	;; [unrolled: 1-line block ×3, first 2 shown]
	s_and_saveexec_b64 s[0:1], s[2:3]
	s_xor_b64 s[0:1], exec, s[0:1]
; %bb.13:
	v_mov_b32_e32 v13, v20
	v_mov_b32_e32 v21, v15
	v_mov_b32_e32 v22, v16
	v_swap_b32 v16, v12
	v_swap_b32 v20, v8
	;; [unrolled: 1-line block ×3, first 2 shown]
; %bb.14:
	s_or_b64 exec, exec, s[0:1]
	s_load_dword s7, s[4:5], 0x28
	s_load_dwordx4 s[16:19], s[4:5], 0x10
	s_waitcnt lgkmcnt(0)
	s_cmp_lt_i32 s7, 1
	s_cbranch_scc1 .LBB8_20
; %bb.15:
	v_cmp_lt_f32_e32 vcc, v17, v16
	v_cndmask_b32_e32 v13, v15, v14, vcc
	v_cndmask_b32_e32 v14, v14, v15, vcc
	;; [unrolled: 1-line block ×6, first 2 shown]
	v_mbcnt_lo_u32_b32 v20, -1, 0
	v_mbcnt_hi_u32_b32 v20, -1, v20
	v_bfrev_b32_e32 v24, 0.5
	v_mov_b32_e32 v22, 0
	v_mov_b32_e32 v21, 0
	v_mov_b32_e32 v23, 0xff800000
	v_lshl_or_b32 v24, v20, 2, v24
	v_mov_b32_e32 v25, v0
	s_mov_b32 s20, s7
	v_mov_b32_e32 v20, 0
.LBB8_16:                               ; =>This Inner Loop Header: Depth=1
	v_cmp_eq_u32_e32 vcc, 1, v22
	v_cndmask_b32_e32 v26, v6, v11, vcc
	v_cmp_eq_u32_e64 s[0:1], 2, v22
	v_cndmask_b32_e64 v26, v26, v16, s[0:1]
	v_cmp_eq_u32_e64 s[2:3], 3, v22
	v_cndmask_b32_e64 v26, v26, v15, s[2:3]
	;; [unrolled: 2-line block ×4, first 2 shown]
	v_cmp_gt_u32_e64 s[12:13], 6, v22
	v_cndmask_b32_e64 v26, v23, v26, s[12:13]
	;;#ASMSTART
	v_max_f32 v27, v26, v26 quad_perm:[1,0,3,2] row_mask:0xf bank_mask:0xf bound_ctrl:1
	;;#ASMEND
	;;#ASMSTART
	v_max_f32 v28, v27, v27 quad_perm:[2,3,0,1] row_mask:0xf bank_mask:0xf bound_ctrl:1
	;;#ASMEND
	;;#ASMSTART
	v_max_f32 v27, v28, v28 row_half_mirror row_mask:0xf bank_mask:0xf bound_ctrl:1
	;;#ASMEND
	;;#ASMSTART
	v_max_f32 v28, v27, v27 row_mirror row_mask:0xf bank_mask:0xf bound_ctrl:1
	;;#ASMEND
	;;#ASMSTART
	v_max_f32 v27, v28, v28 row_ror:4 row_mask:0xf bank_mask:0xf bound_ctrl:1
	;;#ASMEND
	;;#ASMSTART
	v_max_f32 v28, v27, v27 row_ror:8 row_mask:0xf bank_mask:0xf bound_ctrl:1
	;;#ASMEND
	;;#ASMSTART
	v_max_f32 v27, v28, v28 row_bcast:15 row_mask:0xf bank_mask:0xf bound_ctrl:1
	;;#ASMEND
	;;#ASMSTART
	v_max_f32 v28, v27, v27 row_bcast:31 row_mask:0xf bank_mask:0xf bound_ctrl:1
	;;#ASMEND
	ds_bpermute_b32 v27, v24, v28
	s_waitcnt lgkmcnt(0)
	v_cmp_eq_f32_e64 s[14:15], v26, v27
	v_cndmask_b32_e32 v26, v4, v3, vcc
	v_cndmask_b32_e64 v26, v26, v14, s[0:1]
	v_cndmask_b32_e64 v26, v26, v13, s[2:3]
	;; [unrolled: 1-line block ×4, first 2 shown]
	s_ff1_i32_b64 s21, s[14:15]
	s_cmp_lg_u64 s[14:15], 0
	s_cselect_b32 s14, s21, 0
	v_cndmask_b32_e64 v27, 0, v26, s[12:13]
	v_readlane_b32 s21, v27, s14
	v_cmp_eq_u32_e64 s[14:15], s21, v26
	v_cndmask_b32_e32 v26, v2, v1, vcc
	v_cndmask_b32_e64 v26, v26, v18, s[0:1]
	v_cndmask_b32_e64 v26, v26, v17, s[2:3]
	;; [unrolled: 1-line block ×4, first 2 shown]
	s_and_b64 vcc, s[12:13], s[14:15]
	s_and_b32 s0, s21, 63
	v_cndmask_b32_e32 v26, 0, v26, vcc
	v_readlane_b32 s0, v26, s0
	v_mov_b32_e32 v26, s0
	v_cmp_eq_u32_e64 s[0:1], 0, v25
	v_cndmask_b32_e64 v21, v21, v26, s[0:1]
	v_mov_b32_e32 v26, s21
	s_add_i32 s20, s20, -1
	v_cndmask_b32_e64 v20, v20, v26, s[0:1]
	v_addc_co_u32_e32 v22, vcc, 0, v22, vcc
	s_cmp_eq_u32 s20, 0
	v_add_u32_e32 v25, -1, v25
	s_cbranch_scc0 .LBB8_16
; %bb.17:
	v_cmp_gt_i32_e32 vcc, s7, v0
	s_and_saveexec_b64 s[0:1], vcc
	s_cbranch_execz .LBB8_19
.LBB8_18:
	s_load_dword s2, s[4:5], 0x30
	s_load_dwordx2 s[0:1], s[4:5], 0x20
	s_ashr_i32 s3, s6, 31
	s_waitcnt lgkmcnt(0)
	v_mul_f32_e32 v0, s2, v21
	s_mul_i32 s1, s6, s1
	s_mul_hi_u32 s2, s6, s0
	s_add_i32 s1, s2, s1
	s_mul_i32 s3, s3, s0
	s_add_i32 s1, s1, s3
	s_mul_i32 s0, s6, s0
	s_lshl_b64 s[0:1], s[0:1], 2
	s_add_u32 s2, s16, s0
	s_addc_u32 s3, s17, s1
	s_add_u32 s0, s18, s0
	s_addc_u32 s1, s19, s1
	global_store_dword v19, v0, s[2:3]
	global_store_dword v19, v20, s[0:1]
.LBB8_19:
	s_endpgm
.LBB8_20:
	v_mov_b32_e32 v20, 0
	v_mov_b32_e32 v21, 0
	v_cmp_gt_i32_e32 vcc, s7, v0
	s_and_saveexec_b64 s[0:1], vcc
	s_cbranch_execnz .LBB8_18
	s_branch .LBB8_19
	.section	.rodata,"a",@progbits
	.p2align	6, 0x0
	.amdhsa_kernel _ZN5aiter24topk_softplus_kernel_optIffLi384ELb0ELi1EEEvPKT_PKT0_PfPimiif
		.amdhsa_group_segment_fixed_size 0
		.amdhsa_private_segment_fixed_size 0
		.amdhsa_kernarg_size 52
		.amdhsa_user_sgpr_count 6
		.amdhsa_user_sgpr_private_segment_buffer 1
		.amdhsa_user_sgpr_dispatch_ptr 0
		.amdhsa_user_sgpr_queue_ptr 0
		.amdhsa_user_sgpr_kernarg_segment_ptr 1
		.amdhsa_user_sgpr_dispatch_id 0
		.amdhsa_user_sgpr_flat_scratch_init 0
		.amdhsa_user_sgpr_kernarg_preload_length 0
		.amdhsa_user_sgpr_kernarg_preload_offset 0
		.amdhsa_user_sgpr_private_segment_size 0
		.amdhsa_uses_dynamic_stack 0
		.amdhsa_system_sgpr_private_segment_wavefront_offset 0
		.amdhsa_system_sgpr_workgroup_id_x 1
		.amdhsa_system_sgpr_workgroup_id_y 0
		.amdhsa_system_sgpr_workgroup_id_z 0
		.amdhsa_system_sgpr_workgroup_info 0
		.amdhsa_system_vgpr_workitem_id 0
		.amdhsa_next_free_vgpr 29
		.amdhsa_next_free_sgpr 22
		.amdhsa_accum_offset 32
		.amdhsa_reserve_vcc 1
		.amdhsa_reserve_flat_scratch 0
		.amdhsa_float_round_mode_32 0
		.amdhsa_float_round_mode_16_64 0
		.amdhsa_float_denorm_mode_32 3
		.amdhsa_float_denorm_mode_16_64 3
		.amdhsa_dx10_clamp 1
		.amdhsa_ieee_mode 1
		.amdhsa_fp16_overflow 0
		.amdhsa_tg_split 0
		.amdhsa_exception_fp_ieee_invalid_op 0
		.amdhsa_exception_fp_denorm_src 0
		.amdhsa_exception_fp_ieee_div_zero 0
		.amdhsa_exception_fp_ieee_overflow 0
		.amdhsa_exception_fp_ieee_underflow 0
		.amdhsa_exception_fp_ieee_inexact 0
		.amdhsa_exception_int_div_zero 0
	.end_amdhsa_kernel
	.section	.text._ZN5aiter24topk_softplus_kernel_optIffLi384ELb0ELi1EEEvPKT_PKT0_PfPimiif,"axG",@progbits,_ZN5aiter24topk_softplus_kernel_optIffLi384ELb0ELi1EEEvPKT_PKT0_PfPimiif,comdat
.Lfunc_end8:
	.size	_ZN5aiter24topk_softplus_kernel_optIffLi384ELb0ELi1EEEvPKT_PKT0_PfPimiif, .Lfunc_end8-_ZN5aiter24topk_softplus_kernel_optIffLi384ELb0ELi1EEEvPKT_PKT0_PfPimiif
                                        ; -- End function
	.section	.AMDGPU.csdata,"",@progbits
; Kernel info:
; codeLenInByte = 1624
; NumSgprs: 26
; NumVgprs: 29
; NumAgprs: 0
; TotalNumVgprs: 29
; ScratchSize: 0
; MemoryBound: 0
; FloatMode: 240
; IeeeMode: 1
; LDSByteSize: 0 bytes/workgroup (compile time only)
; SGPRBlocks: 3
; VGPRBlocks: 3
; NumSGPRsForWavesPerEU: 26
; NumVGPRsForWavesPerEU: 29
; AccumOffset: 32
; Occupancy: 8
; WaveLimiterHint : 0
; COMPUTE_PGM_RSRC2:SCRATCH_EN: 0
; COMPUTE_PGM_RSRC2:USER_SGPR: 6
; COMPUTE_PGM_RSRC2:TRAP_HANDLER: 0
; COMPUTE_PGM_RSRC2:TGID_X_EN: 1
; COMPUTE_PGM_RSRC2:TGID_Y_EN: 0
; COMPUTE_PGM_RSRC2:TGID_Z_EN: 0
; COMPUTE_PGM_RSRC2:TIDIG_COMP_CNT: 0
; COMPUTE_PGM_RSRC3_GFX90A:ACCUM_OFFSET: 7
; COMPUTE_PGM_RSRC3_GFX90A:TG_SPLIT: 0
	.section	.text._ZN5aiter20topk_softplus_kernelIffDv4_fLb1ELi1EEEvPKT_PKT0_PfPimiiif,"axG",@progbits,_ZN5aiter20topk_softplus_kernelIffDv4_fLb1ELi1EEEvPKT_PKT0_PfPimiiif,comdat
	.protected	_ZN5aiter20topk_softplus_kernelIffDv4_fLb1ELi1EEEvPKT_PKT0_PfPimiiif ; -- Begin function _ZN5aiter20topk_softplus_kernelIffDv4_fLb1ELi1EEEvPKT_PKT0_PfPimiiif
	.globl	_ZN5aiter20topk_softplus_kernelIffDv4_fLb1ELi1EEEvPKT_PKT0_PfPimiiif
	.p2align	8
	.type	_ZN5aiter20topk_softplus_kernelIffDv4_fLb1ELi1EEEvPKT_PKT0_PfPimiiif,@function
_ZN5aiter20topk_softplus_kernelIffDv4_fLb1ELi1EEEvPKT_PKT0_PfPimiiif: ; @_ZN5aiter20topk_softplus_kernelIffDv4_fLb1ELi1EEEvPKT_PKT0_PfPimiiif
; %bb.0:
	s_load_dwordx2 s[16:17], s[4:5], 0x28
	s_load_dwordx8 s[8:15], s[4:5], 0x0
	v_lshlrev_b32_e32 v1, 2, v0
	s_waitcnt lgkmcnt(0)
	s_ashr_i32 s0, s16, 31
	s_lshr_b32 s0, s0, 30
	s_add_i32 s0, s16, s0
	s_mul_i32 s18, s6, s16
	s_ashr_i32 s7, s0, 2
	s_ashr_i32 s19, s18, 31
	v_cmp_gt_i32_e64 s[0:1], s7, v0
	s_and_saveexec_b64 s[20:21], s[0:1]
	s_cbranch_execz .LBB9_11
; %bb.1:
	s_load_dword s25, s[4:5], 0x44
	s_cmp_lg_u64 s[10:11], 0
	s_cselect_b64 s[2:3], -1, 0
	v_lshlrev_b32_e32 v2, 4, v0
	v_add_u32_e32 v12, 0, v2
	s_waitcnt lgkmcnt(0)
	s_and_b32 s25, s25, 0xffff
	s_add_u32 s26, s10, 4
	s_addc_u32 s27, s11, 0
	s_add_u32 s28, s10, 8
	s_addc_u32 s29, s11, 0
	;; [unrolled: 2-line block ×3, first 2 shown]
	s_lshl_b64 s[34:35], s[18:19], 2
	s_add_u32 s33, s8, s34
	s_addc_u32 s34, s9, s35
	v_mov_b32_e32 v3, s34
	v_add_co_u32_e32 v6, vcc, s33, v2
	v_cndmask_b32_e64 v2, 0, 1, s[2:3]
	s_mov_b64 s[22:23], 0
	s_mov_b32 s24, 0
	v_addc_co_u32_e32 v7, vcc, 0, v3, vcc
	s_lshl_b32 s33, s25, 4
	v_lshlrev_b32_e32 v8, 2, v0
	s_lshl_b32 s34, s25, 2
	v_mov_b32_e32 v9, 0
	s_mov_b32 s35, 0xc2fc0000
	v_mov_b32_e32 v13, 0x1f800000
	v_mov_b32_e32 v14, 0x42800000
	v_cmp_ne_u32_e64 s[2:3], 1, v2
	v_mov_b32_e32 v15, v0
	s_branch .LBB9_3
.LBB9_2:                                ;   in Loop: Header=BB9_3 Depth=1
	ds_write_b128 v12, v[2:5]
	v_mov_b32_e32 v2, s24
	v_add_co_u32_e32 v6, vcc, s33, v6
	v_add_u32_e32 v15, s25, v15
	v_addc_co_u32_e32 v7, vcc, v7, v2, vcc
	v_cmp_le_i32_e32 vcc, s7, v15
	v_add_u32_e32 v8, s34, v8
	s_or_b64 s[22:23], vcc, s[22:23]
	v_add_u32_e32 v12, s33, v12
	s_andn2_b64 exec, exec, s[22:23]
	s_cbranch_execz .LBB9_11
.LBB9_3:                                ; =>This Inner Loop Header: Depth=1
	global_load_dwordx4 v[2:5], v[6:7], off
	s_waitcnt vmcnt(0)
	v_mul_f32_e32 v10, 0xbfb8aa3b, v2
	v_cmp_gt_f32_e32 vcc, s35, v10
	v_cndmask_b32_e32 v11, 0, v14, vcc
	v_fmac_f32_e32 v11, 0xbfb8aa3b, v2
	v_exp_f32_e32 v2, v11
	v_cndmask_b32_e32 v10, 1.0, v13, vcc
	s_and_b64 vcc, exec, s[2:3]
	v_fma_f32 v2, v2, v10, 1.0
	v_rcp_f32_e32 v2, v2
	v_lshlrev_b64 v[10:11], 2, v[8:9]
	s_cbranch_vccnz .LBB9_5
; %bb.4:                                ;   in Loop: Header=BB9_3 Depth=1
	v_mov_b32_e32 v17, s11
	v_add_co_u32_e32 v16, vcc, s10, v10
	v_addc_co_u32_e32 v17, vcc, v17, v11, vcc
	global_load_dword v16, v[16:17], off
	s_waitcnt vmcnt(0)
	v_add_f32_e32 v2, v2, v16
.LBB9_5:                                ;   in Loop: Header=BB9_3 Depth=1
	v_mul_f32_e32 v16, 0xbfb8aa3b, v3
	v_cmp_gt_f32_e32 vcc, s35, v16
	v_cndmask_b32_e32 v17, 0, v14, vcc
	v_fmac_f32_e32 v17, 0xbfb8aa3b, v3
	v_exp_f32_e32 v3, v17
	v_cndmask_b32_e32 v16, 1.0, v13, vcc
	s_and_b64 vcc, exec, s[2:3]
	v_fma_f32 v3, v3, v16, 1.0
	v_rcp_f32_e32 v3, v3
	s_cbranch_vccnz .LBB9_7
; %bb.6:                                ;   in Loop: Header=BB9_3 Depth=1
	v_mov_b32_e32 v17, s27
	v_add_co_u32_e32 v16, vcc, s26, v10
	v_addc_co_u32_e32 v17, vcc, v17, v11, vcc
	global_load_dword v16, v[16:17], off
	s_waitcnt vmcnt(0)
	v_add_f32_e32 v3, v3, v16
.LBB9_7:                                ;   in Loop: Header=BB9_3 Depth=1
	v_mul_f32_e32 v16, 0xbfb8aa3b, v4
	v_cmp_gt_f32_e32 vcc, s35, v16
	v_cndmask_b32_e32 v17, 0, v14, vcc
	v_fmac_f32_e32 v17, 0xbfb8aa3b, v4
	v_exp_f32_e32 v4, v17
	v_cndmask_b32_e32 v16, 1.0, v13, vcc
	s_and_b64 vcc, exec, s[2:3]
	v_fma_f32 v4, v4, v16, 1.0
	v_rcp_f32_e32 v4, v4
	;; [unrolled: 18-line block ×3, first 2 shown]
	s_cbranch_vccnz .LBB9_2
; %bb.10:                               ;   in Loop: Header=BB9_3 Depth=1
	v_mov_b32_e32 v16, s31
	v_add_co_u32_e32 v10, vcc, s30, v10
	v_addc_co_u32_e32 v11, vcc, v16, v11, vcc
	global_load_dword v10, v[10:11], off
	s_waitcnt vmcnt(0)
	v_add_f32_e32 v5, v5, v10
	s_branch .LBB9_2
.LBB9_11:
	s_or_b64 exec, exec, s[20:21]
	v_lshl_add_u32 v2, s7, 2, v0
	v_cmp_gt_i32_e32 vcc, s16, v2
	s_and_saveexec_b64 s[20:21], vcc
	s_cbranch_execz .LBB9_16
; %bb.12:
	s_lshl_b64 s[2:3], s[18:19], 2
	s_load_dword s19, s[4:5], 0x44
	s_add_u32 s18, s8, s2
	s_addc_u32 s23, s9, s3
	s_cmp_lg_u64 s[10:11], 0
	s_cselect_b64 s[2:3], -1, 0
	s_lshl_b32 s22, s7, 4
	s_waitcnt lgkmcnt(0)
	s_and_b32 s19, s19, 0xffff
	s_add_i32 s22, s22, 0
	v_cndmask_b32_e64 v3, 0, 1, s[2:3]
	s_mov_b64 s[8:9], 0
	v_lshl_add_u32 v6, v0, 2, s22
	s_lshl_b32 s22, s19, 2
	v_mov_b32_e32 v7, s23
	s_mov_b32 s23, 0xc2fc0000
	v_mov_b32_e32 v8, 0x42800000
	v_mov_b32_e32 v9, 0x1f800000
	v_cmp_ne_u32_e64 s[2:3], 1, v3
	s_branch .LBB9_14
.LBB9_13:                               ;   in Loop: Header=BB9_14 Depth=1
	v_add_u32_e32 v2, s19, v2
	v_cmp_le_i32_e32 vcc, s16, v2
	s_or_b64 s[8:9], vcc, s[8:9]
	v_add_u32_e32 v6, s22, v6
	s_andn2_b64 exec, exec, s[8:9]
	s_cbranch_execz .LBB9_16
.LBB9_14:                               ; =>This Inner Loop Header: Depth=1
	v_ashrrev_i32_e32 v3, 31, v2
	v_lshlrev_b64 v[4:5], 2, v[2:3]
	v_add_co_u32_e32 v10, vcc, s18, v4
	v_addc_co_u32_e32 v11, vcc, v7, v5, vcc
	global_load_dword v3, v[10:11], off
	s_waitcnt vmcnt(0)
	v_mul_f32_e32 v10, 0xbfb8aa3b, v3
	v_cmp_gt_f32_e32 vcc, s23, v10
	v_cndmask_b32_e32 v10, 0, v8, vcc
	v_fmac_f32_e32 v10, 0xbfb8aa3b, v3
	v_exp_f32_e32 v3, v10
	v_cndmask_b32_e32 v10, 1.0, v9, vcc
	s_and_b64 vcc, exec, s[2:3]
	v_fma_f32 v3, v3, v10, 1.0
	v_rcp_f32_e32 v3, v3
	ds_write_b32 v6, v3
	s_cbranch_vccnz .LBB9_13
; %bb.15:                               ;   in Loop: Header=BB9_14 Depth=1
	v_mov_b32_e32 v10, s11
	v_add_co_u32_e32 v4, vcc, s10, v4
	v_addc_co_u32_e32 v5, vcc, v10, v5, vcc
	global_load_dword v4, v[4:5], off
	s_waitcnt vmcnt(0)
	v_add_f32_e32 v3, v3, v4
	ds_write_b32 v6, v3
	s_branch .LBB9_13
.LBB9_16:
	s_or_b64 exec, exec, s[20:21]
	s_cmp_lt_i32 s17, 1
	v_mov_b32_e32 v3, 0
	s_waitcnt lgkmcnt(0)
	s_barrier
	s_cbranch_scc1 .LBB9_25
; %bb.17:
	s_add_u32 s2, s4, 56
	s_addc_u32 s3, s5, 0
	v_mbcnt_lo_u32_b32 v2, -1, 0
	s_cmp_lg_u64 s[10:11], 0
	v_mbcnt_hi_u32_b32 v2, -1, v2
	v_bfrev_b32_e32 v4, 0.5
	s_cselect_b64 s[8:9], -1, 0
	v_lshl_add_u32 v5, v0, 4, 0
	s_mov_b32 s16, 0
	v_mov_b32_e32 v3, 0
	v_lshl_or_b32 v6, v2, 2, v4
	v_mov_b32_e32 v7, 0xff800000
	v_mov_b32_e32 v2, 0
	;; [unrolled: 1-line block ×3, first 2 shown]
	s_branch .LBB9_19
.LBB9_18:                               ;   in Loop: Header=BB9_19 Depth=1
	s_lshl_b32 s19, s18, 2
	s_add_i32 s19, s19, 0
	v_mov_b32_e32 v8, s19
	ds_write_b32 v8, v7
	v_mov_b32_e32 v8, s18
	v_cmp_eq_u32_e32 vcc, s16, v0
	s_add_i32 s16, s16, 1
	v_cndmask_b32_e32 v2, v2, v8, vcc
	v_cndmask_b32_e32 v3, v3, v10, vcc
	s_cmp_eq_u32 s16, s17
	v_add_f32_e32 v4, v4, v10
	s_cbranch_scc1 .LBB9_26
.LBB9_19:                               ; =>This Loop Header: Depth=1
                                        ;     Child Loop BB9_21 Depth 2
	v_mov_b32_e32 v8, s16
	v_mov_b32_e32 v9, 0xff800000
	s_and_saveexec_b64 s[18:19], s[0:1]
	s_cbranch_execz .LBB9_23
; %bb.20:                               ;   in Loop: Header=BB9_19 Depth=1
	s_load_dword s22, s[2:3], 0xc
	s_mov_b64 s[20:21], 0
	v_mov_b32_e32 v8, s16
	v_mov_b32_e32 v9, 0xff800000
	v_mov_b32_e32 v10, v5
	s_waitcnt lgkmcnt(0)
	s_and_b32 s22, s22, 0xffff
	s_lshl_b32 s23, s22, 2
	s_lshl_b32 s24, s22, 4
	v_mov_b32_e32 v11, v1
	v_mov_b32_e32 v12, v0
.LBB9_21:                               ;   Parent Loop BB9_19 Depth=1
                                        ; =>  This Inner Loop Header: Depth=2
	ds_read_b128 v[14:17], v10
	v_add_u32_e32 v12, s22, v12
	v_cmp_le_i32_e32 vcc, s7, v12
	s_or_b64 s[20:21], vcc, s[20:21]
	v_add_u32_e32 v13, 1, v11
	s_waitcnt lgkmcnt(0)
	v_cmp_gt_f32_e32 vcc, v14, v9
	v_cndmask_b32_e32 v9, v9, v14, vcc
	v_cndmask_b32_e32 v8, v8, v11, vcc
	v_cmp_gt_f32_e32 vcc, v15, v9
	v_cndmask_b32_e32 v9, v9, v15, vcc
	v_cndmask_b32_e32 v8, v8, v13, vcc
	v_cmp_gt_f32_e32 vcc, v16, v9
	v_add_u32_e32 v18, 2, v11
	v_cndmask_b32_e32 v9, v9, v16, vcc
	v_add_u32_e32 v19, 3, v11
	v_cndmask_b32_e32 v8, v8, v18, vcc
	v_cmp_gt_f32_e32 vcc, v17, v9
	v_add_u32_e32 v10, s24, v10
	v_add_u32_e32 v11, s23, v11
	v_cndmask_b32_e32 v9, v9, v17, vcc
	v_cndmask_b32_e32 v8, v8, v19, vcc
	s_andn2_b64 exec, exec, s[20:21]
	s_cbranch_execnz .LBB9_21
; %bb.22:                               ;   in Loop: Header=BB9_19 Depth=1
	s_or_b64 exec, exec, s[20:21]
.LBB9_23:                               ;   in Loop: Header=BB9_19 Depth=1
	s_or_b64 exec, exec, s[18:19]
	;;#ASMSTART
	v_max_f32 v10, v9, v9 quad_perm:[1,0,3,2] row_mask:0xf bank_mask:0xf bound_ctrl:1
	;;#ASMEND
	;;#ASMSTART
	v_max_f32 v11, v10, v10 quad_perm:[2,3,0,1] row_mask:0xf bank_mask:0xf bound_ctrl:1
	;;#ASMEND
	;;#ASMSTART
	v_max_f32 v10, v11, v11 row_half_mirror row_mask:0xf bank_mask:0xf bound_ctrl:1
	;;#ASMEND
	;;#ASMSTART
	v_max_f32 v11, v10, v10 row_mirror row_mask:0xf bank_mask:0xf bound_ctrl:1
	;;#ASMEND
	;;#ASMSTART
	v_max_f32 v10, v11, v11 row_ror:4 row_mask:0xf bank_mask:0xf bound_ctrl:1
	;;#ASMEND
	;;#ASMSTART
	v_max_f32 v11, v10, v10 row_ror:8 row_mask:0xf bank_mask:0xf bound_ctrl:1
	;;#ASMEND
	;;#ASMSTART
	v_max_f32 v10, v11, v11 row_bcast:15 row_mask:0xf bank_mask:0xf bound_ctrl:1
	;;#ASMEND
	;;#ASMSTART
	v_max_f32 v11, v10, v10 row_bcast:31 row_mask:0xf bank_mask:0xf bound_ctrl:1
	;;#ASMEND
	ds_bpermute_b32 v10, v6, v11
	s_waitcnt lgkmcnt(0)
	v_cmp_eq_f32_e32 vcc, v9, v10
	s_ff1_i32_b64 s18, vcc
	s_cmp_lg_u64 vcc, 0
	s_cselect_b32 s18, s18, 0
	s_and_b64 vcc, exec, s[8:9]
	v_readlane_b32 s18, v8, s18
	s_cbranch_vccz .LBB9_18
; %bb.24:                               ;   in Loop: Header=BB9_19 Depth=1
	s_ashr_i32 s19, s18, 31
	s_lshl_b64 s[20:21], s[18:19], 2
	s_add_u32 s20, s10, s20
	s_addc_u32 s21, s11, s21
	s_load_dword s19, s[20:21], 0x0
	s_waitcnt lgkmcnt(0)
	v_subrev_f32_e32 v10, s19, v10
	s_branch .LBB9_18
.LBB9_25:
	v_mov_b32_e32 v2, 0
	v_mov_b32_e32 v4, 0
.LBB9_26:
	v_cmp_gt_i32_e32 vcc, s17, v0
	s_and_saveexec_b64 s[0:1], vcc
	s_cbranch_execz .LBB9_29
; %bb.27:
	s_load_dword s2, s[4:5], 0x34
	v_max_f32_e32 v1, v4, v4
	v_max_f32_e32 v1, 0x1e3ce508, v1
	s_load_dword s3, s[4:5], 0x44
	s_waitcnt lgkmcnt(0)
	v_div_scale_f32 v4, s[0:1], v1, v1, s2
	s_load_dwordx2 s[0:1], s[4:5], 0x20
	v_rcp_f32_e32 v5, v4
	v_div_scale_f32 v6, vcc, s2, v1, s2
	s_and_b32 s3, s3, 0xffff
	v_fma_f32 v7, -v4, v5, 1.0
	v_fmac_f32_e32 v5, v7, v5
	v_mul_f32_e32 v7, v6, v5
	v_fma_f32 v8, -v4, v7, v6
	v_fmac_f32_e32 v7, v8, v5
	v_fma_f32 v4, -v4, v7, v6
	v_div_fmas_f32 v4, v4, v5, v7
	v_div_fixup_f32 v1, v4, v1, s2
	s_ashr_i32 s2, s6, 31
	s_waitcnt lgkmcnt(0)
	s_mul_i32 s1, s6, s1
	s_mul_hi_u32 s4, s6, s0
	s_add_i32 s1, s4, s1
	s_mul_i32 s2, s2, s0
	s_add_i32 s4, s1, s2
	v_mul_f32_e32 v1, v3, v1
	s_mul_i32 s2, s6, s0
	s_mov_b64 s[0:1], 0
	v_mov_b32_e32 v3, s4
	v_mov_b32_e32 v4, s13
	;; [unrolled: 1-line block ×3, first 2 shown]
.LBB9_28:                               ; =>This Inner Loop Header: Depth=1
	v_ashrrev_i32_e32 v7, 31, v0
	v_add_co_u32_e32 v6, vcc, s2, v0
	v_addc_co_u32_e32 v7, vcc, v3, v7, vcc
	v_add_u32_e32 v0, s3, v0
	v_cmp_le_i32_e32 vcc, s17, v0
	v_lshlrev_b64 v[6:7], 2, v[6:7]
	s_or_b64 s[0:1], vcc, s[0:1]
	v_add_co_u32_e32 v8, vcc, s12, v6
	v_addc_co_u32_e32 v9, vcc, v4, v7, vcc
	v_add_co_u32_e32 v6, vcc, s14, v6
	v_addc_co_u32_e32 v7, vcc, v5, v7, vcc
	global_store_dword v[8:9], v1, off
	global_store_dword v[6:7], v2, off
	s_andn2_b64 exec, exec, s[0:1]
	s_cbranch_execnz .LBB9_28
.LBB9_29:
	s_endpgm
	.section	.rodata,"a",@progbits
	.p2align	6, 0x0
	.amdhsa_kernel _ZN5aiter20topk_softplus_kernelIffDv4_fLb1ELi1EEEvPKT_PKT0_PfPimiiif
		.amdhsa_group_segment_fixed_size 0
		.amdhsa_private_segment_fixed_size 0
		.amdhsa_kernarg_size 312
		.amdhsa_user_sgpr_count 6
		.amdhsa_user_sgpr_private_segment_buffer 1
		.amdhsa_user_sgpr_dispatch_ptr 0
		.amdhsa_user_sgpr_queue_ptr 0
		.amdhsa_user_sgpr_kernarg_segment_ptr 1
		.amdhsa_user_sgpr_dispatch_id 0
		.amdhsa_user_sgpr_flat_scratch_init 0
		.amdhsa_user_sgpr_kernarg_preload_length 0
		.amdhsa_user_sgpr_kernarg_preload_offset 0
		.amdhsa_user_sgpr_private_segment_size 0
		.amdhsa_uses_dynamic_stack 0
		.amdhsa_system_sgpr_private_segment_wavefront_offset 0
		.amdhsa_system_sgpr_workgroup_id_x 1
		.amdhsa_system_sgpr_workgroup_id_y 0
		.amdhsa_system_sgpr_workgroup_id_z 0
		.amdhsa_system_sgpr_workgroup_info 0
		.amdhsa_system_vgpr_workitem_id 0
		.amdhsa_next_free_vgpr 20
		.amdhsa_next_free_sgpr 36
		.amdhsa_accum_offset 20
		.amdhsa_reserve_vcc 1
		.amdhsa_reserve_flat_scratch 0
		.amdhsa_float_round_mode_32 0
		.amdhsa_float_round_mode_16_64 0
		.amdhsa_float_denorm_mode_32 3
		.amdhsa_float_denorm_mode_16_64 3
		.amdhsa_dx10_clamp 1
		.amdhsa_ieee_mode 1
		.amdhsa_fp16_overflow 0
		.amdhsa_tg_split 0
		.amdhsa_exception_fp_ieee_invalid_op 0
		.amdhsa_exception_fp_denorm_src 0
		.amdhsa_exception_fp_ieee_div_zero 0
		.amdhsa_exception_fp_ieee_overflow 0
		.amdhsa_exception_fp_ieee_underflow 0
		.amdhsa_exception_fp_ieee_inexact 0
		.amdhsa_exception_int_div_zero 0
	.end_amdhsa_kernel
	.section	.text._ZN5aiter20topk_softplus_kernelIffDv4_fLb1ELi1EEEvPKT_PKT0_PfPimiiif,"axG",@progbits,_ZN5aiter20topk_softplus_kernelIffDv4_fLb1ELi1EEEvPKT_PKT0_PfPimiiif,comdat
.Lfunc_end9:
	.size	_ZN5aiter20topk_softplus_kernelIffDv4_fLb1ELi1EEEvPKT_PKT0_PfPimiiif, .Lfunc_end9-_ZN5aiter20topk_softplus_kernelIffDv4_fLb1ELi1EEEvPKT_PKT0_PfPimiiif
                                        ; -- End function
	.section	.AMDGPU.csdata,"",@progbits
; Kernel info:
; codeLenInByte = 1656
; NumSgprs: 40
; NumVgprs: 20
; NumAgprs: 0
; TotalNumVgprs: 20
; ScratchSize: 0
; MemoryBound: 0
; FloatMode: 240
; IeeeMode: 1
; LDSByteSize: 0 bytes/workgroup (compile time only)
; SGPRBlocks: 4
; VGPRBlocks: 2
; NumSGPRsForWavesPerEU: 40
; NumVGPRsForWavesPerEU: 20
; AccumOffset: 20
; Occupancy: 8
; WaveLimiterHint : 0
; COMPUTE_PGM_RSRC2:SCRATCH_EN: 0
; COMPUTE_PGM_RSRC2:USER_SGPR: 6
; COMPUTE_PGM_RSRC2:TRAP_HANDLER: 0
; COMPUTE_PGM_RSRC2:TGID_X_EN: 1
; COMPUTE_PGM_RSRC2:TGID_Y_EN: 0
; COMPUTE_PGM_RSRC2:TGID_Z_EN: 0
; COMPUTE_PGM_RSRC2:TIDIG_COMP_CNT: 0
; COMPUTE_PGM_RSRC3_GFX90A:ACCUM_OFFSET: 4
; COMPUTE_PGM_RSRC3_GFX90A:TG_SPLIT: 0
	.section	.text._ZN5aiter20topk_softplus_kernelIffDv4_fLb0ELi1EEEvPKT_PKT0_PfPimiiif,"axG",@progbits,_ZN5aiter20topk_softplus_kernelIffDv4_fLb0ELi1EEEvPKT_PKT0_PfPimiiif,comdat
	.protected	_ZN5aiter20topk_softplus_kernelIffDv4_fLb0ELi1EEEvPKT_PKT0_PfPimiiif ; -- Begin function _ZN5aiter20topk_softplus_kernelIffDv4_fLb0ELi1EEEvPKT_PKT0_PfPimiiif
	.globl	_ZN5aiter20topk_softplus_kernelIffDv4_fLb0ELi1EEEvPKT_PKT0_PfPimiiif
	.p2align	8
	.type	_ZN5aiter20topk_softplus_kernelIffDv4_fLb0ELi1EEEvPKT_PKT0_PfPimiiif,@function
_ZN5aiter20topk_softplus_kernelIffDv4_fLb0ELi1EEEvPKT_PKT0_PfPimiiif: ; @_ZN5aiter20topk_softplus_kernelIffDv4_fLb0ELi1EEEvPKT_PKT0_PfPimiiif
; %bb.0:
	s_load_dwordx2 s[16:17], s[4:5], 0x28
	s_load_dwordx8 s[8:15], s[4:5], 0x0
	v_lshlrev_b32_e32 v1, 2, v0
	s_waitcnt lgkmcnt(0)
	s_ashr_i32 s0, s16, 31
	s_lshr_b32 s0, s0, 30
	s_add_i32 s0, s16, s0
	s_mul_i32 s18, s6, s16
	s_ashr_i32 s7, s0, 2
	s_ashr_i32 s19, s18, 31
	v_cmp_gt_i32_e64 s[0:1], s7, v0
	s_and_saveexec_b64 s[20:21], s[0:1]
	s_cbranch_execz .LBB10_11
; %bb.1:
	s_load_dword s25, s[4:5], 0x44
	s_cmp_lg_u64 s[10:11], 0
	s_cselect_b64 s[2:3], -1, 0
	v_lshlrev_b32_e32 v2, 4, v0
	v_add_u32_e32 v12, 0, v2
	s_waitcnt lgkmcnt(0)
	s_and_b32 s25, s25, 0xffff
	s_add_u32 s26, s10, 4
	s_addc_u32 s27, s11, 0
	s_add_u32 s28, s10, 8
	s_addc_u32 s29, s11, 0
	;; [unrolled: 2-line block ×3, first 2 shown]
	s_lshl_b64 s[34:35], s[18:19], 2
	s_add_u32 s33, s8, s34
	s_addc_u32 s34, s9, s35
	v_mov_b32_e32 v3, s34
	v_add_co_u32_e32 v6, vcc, s33, v2
	v_cndmask_b32_e64 v2, 0, 1, s[2:3]
	s_mov_b64 s[22:23], 0
	s_mov_b32 s24, 0
	v_addc_co_u32_e32 v7, vcc, 0, v3, vcc
	s_lshl_b32 s33, s25, 4
	v_lshlrev_b32_e32 v8, 2, v0
	s_lshl_b32 s34, s25, 2
	v_mov_b32_e32 v9, 0
	s_mov_b32 s35, 0xc2fc0000
	v_mov_b32_e32 v13, 0x1f800000
	v_mov_b32_e32 v14, 0x42800000
	v_cmp_ne_u32_e64 s[2:3], 1, v2
	v_mov_b32_e32 v15, v0
	s_branch .LBB10_3
.LBB10_2:                               ;   in Loop: Header=BB10_3 Depth=1
	ds_write_b128 v12, v[2:5]
	v_mov_b32_e32 v2, s24
	v_add_co_u32_e32 v6, vcc, s33, v6
	v_add_u32_e32 v15, s25, v15
	v_addc_co_u32_e32 v7, vcc, v7, v2, vcc
	v_cmp_le_i32_e32 vcc, s7, v15
	v_add_u32_e32 v8, s34, v8
	s_or_b64 s[22:23], vcc, s[22:23]
	v_add_u32_e32 v12, s33, v12
	s_andn2_b64 exec, exec, s[22:23]
	s_cbranch_execz .LBB10_11
.LBB10_3:                               ; =>This Inner Loop Header: Depth=1
	global_load_dwordx4 v[2:5], v[6:7], off
	s_waitcnt vmcnt(0)
	v_mul_f32_e32 v10, 0xbfb8aa3b, v2
	v_cmp_gt_f32_e32 vcc, s35, v10
	v_cndmask_b32_e32 v11, 0, v14, vcc
	v_fmac_f32_e32 v11, 0xbfb8aa3b, v2
	v_exp_f32_e32 v2, v11
	v_cndmask_b32_e32 v10, 1.0, v13, vcc
	s_and_b64 vcc, exec, s[2:3]
	v_fma_f32 v2, v2, v10, 1.0
	v_rcp_f32_e32 v2, v2
	v_lshlrev_b64 v[10:11], 2, v[8:9]
	s_cbranch_vccnz .LBB10_5
; %bb.4:                                ;   in Loop: Header=BB10_3 Depth=1
	v_mov_b32_e32 v17, s11
	v_add_co_u32_e32 v16, vcc, s10, v10
	v_addc_co_u32_e32 v17, vcc, v17, v11, vcc
	global_load_dword v16, v[16:17], off
	s_waitcnt vmcnt(0)
	v_add_f32_e32 v2, v2, v16
.LBB10_5:                               ;   in Loop: Header=BB10_3 Depth=1
	v_mul_f32_e32 v16, 0xbfb8aa3b, v3
	v_cmp_gt_f32_e32 vcc, s35, v16
	v_cndmask_b32_e32 v17, 0, v14, vcc
	v_fmac_f32_e32 v17, 0xbfb8aa3b, v3
	v_exp_f32_e32 v3, v17
	v_cndmask_b32_e32 v16, 1.0, v13, vcc
	s_and_b64 vcc, exec, s[2:3]
	v_fma_f32 v3, v3, v16, 1.0
	v_rcp_f32_e32 v3, v3
	s_cbranch_vccnz .LBB10_7
; %bb.6:                                ;   in Loop: Header=BB10_3 Depth=1
	v_mov_b32_e32 v17, s27
	v_add_co_u32_e32 v16, vcc, s26, v10
	v_addc_co_u32_e32 v17, vcc, v17, v11, vcc
	global_load_dword v16, v[16:17], off
	s_waitcnt vmcnt(0)
	v_add_f32_e32 v3, v3, v16
.LBB10_7:                               ;   in Loop: Header=BB10_3 Depth=1
	v_mul_f32_e32 v16, 0xbfb8aa3b, v4
	v_cmp_gt_f32_e32 vcc, s35, v16
	v_cndmask_b32_e32 v17, 0, v14, vcc
	v_fmac_f32_e32 v17, 0xbfb8aa3b, v4
	v_exp_f32_e32 v4, v17
	v_cndmask_b32_e32 v16, 1.0, v13, vcc
	s_and_b64 vcc, exec, s[2:3]
	v_fma_f32 v4, v4, v16, 1.0
	v_rcp_f32_e32 v4, v4
	;; [unrolled: 18-line block ×3, first 2 shown]
	s_cbranch_vccnz .LBB10_2
; %bb.10:                               ;   in Loop: Header=BB10_3 Depth=1
	v_mov_b32_e32 v16, s31
	v_add_co_u32_e32 v10, vcc, s30, v10
	v_addc_co_u32_e32 v11, vcc, v16, v11, vcc
	global_load_dword v10, v[10:11], off
	s_waitcnt vmcnt(0)
	v_add_f32_e32 v5, v5, v10
	s_branch .LBB10_2
.LBB10_11:
	s_or_b64 exec, exec, s[20:21]
	v_lshl_add_u32 v2, s7, 2, v0
	v_cmp_gt_i32_e32 vcc, s16, v2
	s_and_saveexec_b64 s[20:21], vcc
	s_cbranch_execz .LBB10_16
; %bb.12:
	s_lshl_b64 s[2:3], s[18:19], 2
	s_load_dword s19, s[4:5], 0x44
	s_add_u32 s18, s8, s2
	s_addc_u32 s23, s9, s3
	s_cmp_lg_u64 s[10:11], 0
	s_cselect_b64 s[2:3], -1, 0
	s_lshl_b32 s22, s7, 4
	s_waitcnt lgkmcnt(0)
	s_and_b32 s19, s19, 0xffff
	s_add_i32 s22, s22, 0
	v_cndmask_b32_e64 v3, 0, 1, s[2:3]
	s_mov_b64 s[8:9], 0
	v_lshl_add_u32 v6, v0, 2, s22
	s_lshl_b32 s22, s19, 2
	v_mov_b32_e32 v7, s23
	s_mov_b32 s23, 0xc2fc0000
	v_mov_b32_e32 v8, 0x42800000
	v_mov_b32_e32 v9, 0x1f800000
	v_cmp_ne_u32_e64 s[2:3], 1, v3
	s_branch .LBB10_14
.LBB10_13:                              ;   in Loop: Header=BB10_14 Depth=1
	v_add_u32_e32 v2, s19, v2
	v_cmp_le_i32_e32 vcc, s16, v2
	s_or_b64 s[8:9], vcc, s[8:9]
	v_add_u32_e32 v6, s22, v6
	s_andn2_b64 exec, exec, s[8:9]
	s_cbranch_execz .LBB10_16
.LBB10_14:                              ; =>This Inner Loop Header: Depth=1
	v_ashrrev_i32_e32 v3, 31, v2
	v_lshlrev_b64 v[4:5], 2, v[2:3]
	v_add_co_u32_e32 v10, vcc, s18, v4
	v_addc_co_u32_e32 v11, vcc, v7, v5, vcc
	global_load_dword v3, v[10:11], off
	s_waitcnt vmcnt(0)
	v_mul_f32_e32 v10, 0xbfb8aa3b, v3
	v_cmp_gt_f32_e32 vcc, s23, v10
	v_cndmask_b32_e32 v10, 0, v8, vcc
	v_fmac_f32_e32 v10, 0xbfb8aa3b, v3
	v_exp_f32_e32 v3, v10
	v_cndmask_b32_e32 v10, 1.0, v9, vcc
	s_and_b64 vcc, exec, s[2:3]
	v_fma_f32 v3, v3, v10, 1.0
	v_rcp_f32_e32 v3, v3
	ds_write_b32 v6, v3
	s_cbranch_vccnz .LBB10_13
; %bb.15:                               ;   in Loop: Header=BB10_14 Depth=1
	v_mov_b32_e32 v10, s11
	v_add_co_u32_e32 v4, vcc, s10, v4
	v_addc_co_u32_e32 v5, vcc, v10, v5, vcc
	global_load_dword v4, v[4:5], off
	s_waitcnt vmcnt(0)
	v_add_f32_e32 v3, v3, v4
	ds_write_b32 v6, v3
	s_branch .LBB10_13
.LBB10_16:
	s_or_b64 exec, exec, s[20:21]
	s_cmp_lt_i32 s17, 1
	s_waitcnt lgkmcnt(0)
	s_barrier
	s_cbranch_scc1 .LBB10_25
; %bb.17:
	s_add_u32 s2, s4, 56
	s_addc_u32 s3, s5, 0
	v_mbcnt_lo_u32_b32 v5, -1, 0
	s_cmp_lg_u64 s[10:11], 0
	v_mbcnt_hi_u32_b32 v5, -1, v5
	v_bfrev_b32_e32 v6, 0.5
	s_cselect_b64 s[8:9], -1, 0
	s_mov_b32 s16, 0
	v_mov_b32_e32 v2, 0
	v_lshl_add_u32 v4, v0, 4, 0
	v_mov_b32_e32 v3, 0
	v_lshl_or_b32 v5, v5, 2, v6
	v_mov_b32_e32 v6, 0xff800000
	s_branch .LBB10_19
.LBB10_18:                              ;   in Loop: Header=BB10_19 Depth=1
	s_lshl_b32 s19, s18, 2
	s_add_i32 s19, s19, 0
	v_mov_b32_e32 v7, s19
	ds_write_b32 v7, v6
	v_mov_b32_e32 v7, s18
	v_cmp_eq_u32_e32 vcc, s16, v0
	s_add_i32 s16, s16, 1
	v_cndmask_b32_e32 v2, v2, v7, vcc
	s_cmp_eq_u32 s16, s17
	v_cndmask_b32_e32 v3, v3, v9, vcc
	s_cbranch_scc1 .LBB10_26
.LBB10_19:                              ; =>This Loop Header: Depth=1
                                        ;     Child Loop BB10_21 Depth 2
	v_mov_b32_e32 v7, s16
	v_mov_b32_e32 v8, 0xff800000
	s_and_saveexec_b64 s[18:19], s[0:1]
	s_cbranch_execz .LBB10_23
; %bb.20:                               ;   in Loop: Header=BB10_19 Depth=1
	s_load_dword s22, s[2:3], 0xc
	s_mov_b64 s[20:21], 0
	v_mov_b32_e32 v7, s16
	v_mov_b32_e32 v8, 0xff800000
	;; [unrolled: 1-line block ×3, first 2 shown]
	s_waitcnt lgkmcnt(0)
	s_and_b32 s22, s22, 0xffff
	s_lshl_b32 s23, s22, 2
	s_lshl_b32 s24, s22, 4
	v_mov_b32_e32 v10, v1
	v_mov_b32_e32 v11, v0
.LBB10_21:                              ;   Parent Loop BB10_19 Depth=1
                                        ; =>  This Inner Loop Header: Depth=2
	ds_read_b128 v[12:15], v9
	v_add_u32_e32 v11, s22, v11
	v_cmp_le_i32_e32 vcc, s7, v11
	s_or_b64 s[20:21], vcc, s[20:21]
	v_add_u32_e32 v16, 1, v10
	s_waitcnt lgkmcnt(0)
	v_cmp_gt_f32_e32 vcc, v12, v8
	v_cndmask_b32_e32 v8, v8, v12, vcc
	v_cndmask_b32_e32 v7, v7, v10, vcc
	v_cmp_gt_f32_e32 vcc, v13, v8
	v_cndmask_b32_e32 v8, v8, v13, vcc
	v_cndmask_b32_e32 v7, v7, v16, vcc
	v_cmp_gt_f32_e32 vcc, v14, v8
	v_add_u32_e32 v17, 2, v10
	v_cndmask_b32_e32 v8, v8, v14, vcc
	v_add_u32_e32 v18, 3, v10
	v_cndmask_b32_e32 v7, v7, v17, vcc
	v_cmp_gt_f32_e32 vcc, v15, v8
	v_add_u32_e32 v9, s24, v9
	v_add_u32_e32 v10, s23, v10
	v_cndmask_b32_e32 v8, v8, v15, vcc
	v_cndmask_b32_e32 v7, v7, v18, vcc
	s_andn2_b64 exec, exec, s[20:21]
	s_cbranch_execnz .LBB10_21
; %bb.22:                               ;   in Loop: Header=BB10_19 Depth=1
	s_or_b64 exec, exec, s[20:21]
.LBB10_23:                              ;   in Loop: Header=BB10_19 Depth=1
	s_or_b64 exec, exec, s[18:19]
	;;#ASMSTART
	v_max_f32 v9, v8, v8 quad_perm:[1,0,3,2] row_mask:0xf bank_mask:0xf bound_ctrl:1
	;;#ASMEND
	;;#ASMSTART
	v_max_f32 v10, v9, v9 quad_perm:[2,3,0,1] row_mask:0xf bank_mask:0xf bound_ctrl:1
	;;#ASMEND
	;;#ASMSTART
	v_max_f32 v9, v10, v10 row_half_mirror row_mask:0xf bank_mask:0xf bound_ctrl:1
	;;#ASMEND
	;;#ASMSTART
	v_max_f32 v10, v9, v9 row_mirror row_mask:0xf bank_mask:0xf bound_ctrl:1
	;;#ASMEND
	;;#ASMSTART
	v_max_f32 v9, v10, v10 row_ror:4 row_mask:0xf bank_mask:0xf bound_ctrl:1
	;;#ASMEND
	;;#ASMSTART
	v_max_f32 v10, v9, v9 row_ror:8 row_mask:0xf bank_mask:0xf bound_ctrl:1
	;;#ASMEND
	;;#ASMSTART
	v_max_f32 v9, v10, v10 row_bcast:15 row_mask:0xf bank_mask:0xf bound_ctrl:1
	;;#ASMEND
	;;#ASMSTART
	v_max_f32 v10, v9, v9 row_bcast:31 row_mask:0xf bank_mask:0xf bound_ctrl:1
	;;#ASMEND
	ds_bpermute_b32 v9, v5, v10
	s_waitcnt lgkmcnt(0)
	v_cmp_eq_f32_e32 vcc, v8, v9
	s_ff1_i32_b64 s18, vcc
	s_cmp_lg_u64 vcc, 0
	s_cselect_b32 s18, s18, 0
	s_and_b64 vcc, exec, s[8:9]
	v_readlane_b32 s18, v7, s18
	s_cbranch_vccz .LBB10_18
; %bb.24:                               ;   in Loop: Header=BB10_19 Depth=1
	s_ashr_i32 s19, s18, 31
	s_lshl_b64 s[20:21], s[18:19], 2
	s_add_u32 s20, s10, s20
	s_addc_u32 s21, s11, s21
	s_load_dword s19, s[20:21], 0x0
	s_waitcnt lgkmcnt(0)
	v_subrev_f32_e32 v9, s19, v9
	s_branch .LBB10_18
.LBB10_25:
	v_mov_b32_e32 v3, 0
	v_mov_b32_e32 v2, 0
.LBB10_26:
	v_cmp_gt_i32_e32 vcc, s17, v0
	s_and_saveexec_b64 s[0:1], vcc
	s_cbranch_execz .LBB10_29
; %bb.27:
	s_load_dword s2, s[4:5], 0x34
	s_load_dwordx2 s[0:1], s[4:5], 0x20
	s_ashr_i32 s3, s6, 31
	s_load_dword s4, s[4:5], 0x44
	v_mov_b32_e32 v4, s13
	s_waitcnt lgkmcnt(0)
	v_mul_f32_e32 v1, s2, v3
	s_mul_i32 s1, s6, s1
	s_mul_hi_u32 s2, s6, s0
	s_add_i32 s1, s2, s1
	s_mul_i32 s3, s3, s0
	s_add_i32 s5, s1, s3
	s_mul_i32 s2, s6, s0
	s_and_b32 s3, s4, 0xffff
	s_mov_b64 s[0:1], 0
	v_mov_b32_e32 v3, s5
	v_mov_b32_e32 v5, s15
.LBB10_28:                              ; =>This Inner Loop Header: Depth=1
	v_ashrrev_i32_e32 v7, 31, v0
	v_add_co_u32_e32 v6, vcc, s2, v0
	v_addc_co_u32_e32 v7, vcc, v3, v7, vcc
	v_add_u32_e32 v0, s3, v0
	v_cmp_le_i32_e32 vcc, s17, v0
	v_lshlrev_b64 v[6:7], 2, v[6:7]
	s_or_b64 s[0:1], vcc, s[0:1]
	v_add_co_u32_e32 v8, vcc, s12, v6
	v_addc_co_u32_e32 v9, vcc, v4, v7, vcc
	v_add_co_u32_e32 v6, vcc, s14, v6
	v_addc_co_u32_e32 v7, vcc, v5, v7, vcc
	global_store_dword v[8:9], v1, off
	global_store_dword v[6:7], v2, off
	s_andn2_b64 exec, exec, s[0:1]
	s_cbranch_execnz .LBB10_28
.LBB10_29:
	s_endpgm
	.section	.rodata,"a",@progbits
	.p2align	6, 0x0
	.amdhsa_kernel _ZN5aiter20topk_softplus_kernelIffDv4_fLb0ELi1EEEvPKT_PKT0_PfPimiiif
		.amdhsa_group_segment_fixed_size 0
		.amdhsa_private_segment_fixed_size 0
		.amdhsa_kernarg_size 312
		.amdhsa_user_sgpr_count 6
		.amdhsa_user_sgpr_private_segment_buffer 1
		.amdhsa_user_sgpr_dispatch_ptr 0
		.amdhsa_user_sgpr_queue_ptr 0
		.amdhsa_user_sgpr_kernarg_segment_ptr 1
		.amdhsa_user_sgpr_dispatch_id 0
		.amdhsa_user_sgpr_flat_scratch_init 0
		.amdhsa_user_sgpr_kernarg_preload_length 0
		.amdhsa_user_sgpr_kernarg_preload_offset 0
		.amdhsa_user_sgpr_private_segment_size 0
		.amdhsa_uses_dynamic_stack 0
		.amdhsa_system_sgpr_private_segment_wavefront_offset 0
		.amdhsa_system_sgpr_workgroup_id_x 1
		.amdhsa_system_sgpr_workgroup_id_y 0
		.amdhsa_system_sgpr_workgroup_id_z 0
		.amdhsa_system_sgpr_workgroup_info 0
		.amdhsa_system_vgpr_workitem_id 0
		.amdhsa_next_free_vgpr 19
		.amdhsa_next_free_sgpr 36
		.amdhsa_accum_offset 20
		.amdhsa_reserve_vcc 1
		.amdhsa_reserve_flat_scratch 0
		.amdhsa_float_round_mode_32 0
		.amdhsa_float_round_mode_16_64 0
		.amdhsa_float_denorm_mode_32 3
		.amdhsa_float_denorm_mode_16_64 3
		.amdhsa_dx10_clamp 1
		.amdhsa_ieee_mode 1
		.amdhsa_fp16_overflow 0
		.amdhsa_tg_split 0
		.amdhsa_exception_fp_ieee_invalid_op 0
		.amdhsa_exception_fp_denorm_src 0
		.amdhsa_exception_fp_ieee_div_zero 0
		.amdhsa_exception_fp_ieee_overflow 0
		.amdhsa_exception_fp_ieee_underflow 0
		.amdhsa_exception_fp_ieee_inexact 0
		.amdhsa_exception_int_div_zero 0
	.end_amdhsa_kernel
	.section	.text._ZN5aiter20topk_softplus_kernelIffDv4_fLb0ELi1EEEvPKT_PKT0_PfPimiiif,"axG",@progbits,_ZN5aiter20topk_softplus_kernelIffDv4_fLb0ELi1EEEvPKT_PKT0_PfPimiiif,comdat
.Lfunc_end10:
	.size	_ZN5aiter20topk_softplus_kernelIffDv4_fLb0ELi1EEEvPKT_PKT0_PfPimiiif, .Lfunc_end10-_ZN5aiter20topk_softplus_kernelIffDv4_fLb0ELi1EEEvPKT_PKT0_PfPimiiif
                                        ; -- End function
	.section	.AMDGPU.csdata,"",@progbits
; Kernel info:
; codeLenInByte = 1556
; NumSgprs: 40
; NumVgprs: 19
; NumAgprs: 0
; TotalNumVgprs: 19
; ScratchSize: 0
; MemoryBound: 0
; FloatMode: 240
; IeeeMode: 1
; LDSByteSize: 0 bytes/workgroup (compile time only)
; SGPRBlocks: 4
; VGPRBlocks: 2
; NumSGPRsForWavesPerEU: 40
; NumVGPRsForWavesPerEU: 19
; AccumOffset: 20
; Occupancy: 8
; WaveLimiterHint : 0
; COMPUTE_PGM_RSRC2:SCRATCH_EN: 0
; COMPUTE_PGM_RSRC2:USER_SGPR: 6
; COMPUTE_PGM_RSRC2:TRAP_HANDLER: 0
; COMPUTE_PGM_RSRC2:TGID_X_EN: 1
; COMPUTE_PGM_RSRC2:TGID_Y_EN: 0
; COMPUTE_PGM_RSRC2:TGID_Z_EN: 0
; COMPUTE_PGM_RSRC2:TIDIG_COMP_CNT: 0
; COMPUTE_PGM_RSRC3_GFX90A:ACCUM_OFFSET: 4
; COMPUTE_PGM_RSRC3_GFX90A:TG_SPLIT: 0
	.section	.text._ZN5aiter20topk_softplus_kernelIffDv2_fLb1ELi1EEEvPKT_PKT0_PfPimiiif,"axG",@progbits,_ZN5aiter20topk_softplus_kernelIffDv2_fLb1ELi1EEEvPKT_PKT0_PfPimiiif,comdat
	.protected	_ZN5aiter20topk_softplus_kernelIffDv2_fLb1ELi1EEEvPKT_PKT0_PfPimiiif ; -- Begin function _ZN5aiter20topk_softplus_kernelIffDv2_fLb1ELi1EEEvPKT_PKT0_PfPimiiif
	.globl	_ZN5aiter20topk_softplus_kernelIffDv2_fLb1ELi1EEEvPKT_PKT0_PfPimiiif
	.p2align	8
	.type	_ZN5aiter20topk_softplus_kernelIffDv2_fLb1ELi1EEEvPKT_PKT0_PfPimiiif,@function
_ZN5aiter20topk_softplus_kernelIffDv2_fLb1ELi1EEEvPKT_PKT0_PfPimiiif: ; @_ZN5aiter20topk_softplus_kernelIffDv2_fLb1ELi1EEEvPKT_PKT0_PfPimiiif
; %bb.0:
	s_load_dwordx2 s[16:17], s[4:5], 0x28
	s_load_dwordx8 s[8:15], s[4:5], 0x0
	s_waitcnt lgkmcnt(0)
	s_lshr_b32 s1, s16, 31
	s_mul_i32 s0, s6, s16
	s_add_i32 s1, s16, s1
	s_ashr_i32 s7, s1, 1
	s_ashr_i32 s1, s0, 31
	s_lshl_b64 s[0:1], s[0:1], 2
	s_add_u32 s20, s8, s0
	s_addc_u32 s21, s9, s1
	v_cmp_gt_i32_e64 s[0:1], s7, v0
	s_and_saveexec_b64 s[8:9], s[0:1]
	s_cbranch_execz .LBB11_7
; %bb.1:
	s_load_dword s22, s[4:5], 0x44
	s_cmp_lg_u64 s[10:11], 0
	s_cselect_b64 s[2:3], -1, 0
	s_mov_b32 s25, 0
	v_lshlrev_b32_e32 v2, 3, v0
	s_waitcnt lgkmcnt(0)
	s_and_b32 s22, s22, 0xffff
	v_cndmask_b32_e64 v4, 0, 1, s[2:3]
	s_mov_b64 s[18:19], 0
	v_mov_b32_e32 v1, 0
	s_lshl_b32 s23, s22, 3
	v_add_u32_e32 v3, 0, v2
	v_mov_b32_e32 v6, s21
	s_mov_b32 s24, 0xc2fc0000
	v_mov_b32_e32 v7, 0x42800000
	v_mov_b32_e32 v8, 0x1f800000
	v_cmp_ne_u32_e64 s[2:3], 1, v4
	v_mov_b32_e32 v9, s25
	v_mov_b32_e32 v10, v0
	s_branch .LBB11_3
.LBB11_2:                               ;   in Loop: Header=BB11_3 Depth=1
	v_add_co_u32_e32 v2, vcc, s23, v2
	v_add_u32_e32 v10, s22, v10
	v_addc_co_u32_e32 v1, vcc, v1, v9, vcc
	v_cmp_le_i32_e32 vcc, s7, v10
	ds_write_b64 v3, v[4:5]
	s_or_b64 s[18:19], vcc, s[18:19]
	v_add_u32_e32 v3, s23, v3
	s_andn2_b64 exec, exec, s[18:19]
	s_cbranch_execz .LBB11_7
.LBB11_3:                               ; =>This Inner Loop Header: Depth=1
	v_add_co_u32_e32 v4, vcc, s20, v2
	v_addc_co_u32_e32 v5, vcc, v6, v1, vcc
	global_load_dwordx2 v[4:5], v[4:5], off
	s_waitcnt vmcnt(0)
	v_mul_f32_e32 v11, 0xbfb8aa3b, v4
	v_cmp_gt_f32_e32 vcc, s24, v11
	v_cndmask_b32_e32 v11, 0, v7, vcc
	v_fmac_f32_e32 v11, 0xbfb8aa3b, v4
	v_exp_f32_e32 v4, v11
	v_cndmask_b32_e32 v11, 1.0, v8, vcc
	s_and_b64 vcc, exec, s[2:3]
	v_fma_f32 v4, v4, v11, 1.0
	v_rcp_f32_e32 v4, v4
	s_cbranch_vccnz .LBB11_5
; %bb.4:                                ;   in Loop: Header=BB11_3 Depth=1
	v_mov_b32_e32 v11, s11
	v_add_co_u32_e32 v12, vcc, s10, v2
	v_addc_co_u32_e32 v13, vcc, v11, v1, vcc
	global_load_dword v11, v[12:13], off
	s_waitcnt vmcnt(0)
	v_add_f32_e32 v4, v4, v11
.LBB11_5:                               ;   in Loop: Header=BB11_3 Depth=1
	v_mul_f32_e32 v11, 0xbfb8aa3b, v5
	v_cmp_gt_f32_e32 vcc, s24, v11
	v_cndmask_b32_e32 v12, 0, v7, vcc
	v_fmac_f32_e32 v12, 0xbfb8aa3b, v5
	v_exp_f32_e32 v5, v12
	v_cndmask_b32_e32 v11, 1.0, v8, vcc
	s_and_b64 vcc, exec, s[2:3]
	v_fma_f32 v5, v5, v11, 1.0
	v_rcp_f32_e32 v5, v5
	s_cbranch_vccnz .LBB11_2
; %bb.6:                                ;   in Loop: Header=BB11_3 Depth=1
	v_mov_b32_e32 v11, s11
	v_add_co_u32_e32 v12, vcc, s10, v2
	v_addc_co_u32_e32 v13, vcc, v11, v1, vcc
	global_load_dword v11, v[12:13], off offset:4
	s_waitcnt vmcnt(0)
	v_add_f32_e32 v5, v5, v11
	s_branch .LBB11_2
.LBB11_7:
	s_or_b64 exec, exec, s[8:9]
	v_lshl_add_u32 v2, s7, 1, v0
	v_cmp_gt_i32_e32 vcc, s16, v2
	s_and_saveexec_b64 s[8:9], vcc
	s_cbranch_execz .LBB11_12
; %bb.8:
	s_load_dword s22, s[4:5], 0x44
	s_cmp_lg_u64 s[10:11], 0
	s_cselect_b64 s[2:3], -1, 0
	s_lshl_b32 s23, s7, 3
	s_add_i32 s23, s23, 0
	s_waitcnt lgkmcnt(0)
	s_and_b32 s22, s22, 0xffff
	v_cndmask_b32_e64 v3, 0, 1, s[2:3]
	s_mov_b64 s[18:19], 0
	v_lshl_add_u32 v1, v0, 2, s23
	s_lshl_b32 s23, s22, 2
	v_mov_b32_e32 v6, s21
	s_mov_b32 s21, 0xc2fc0000
	v_mov_b32_e32 v7, 0x42800000
	v_mov_b32_e32 v8, 0x1f800000
	v_cmp_ne_u32_e64 s[2:3], 1, v3
	s_branch .LBB11_10
.LBB11_9:                               ;   in Loop: Header=BB11_10 Depth=1
	v_add_u32_e32 v2, s22, v2
	v_cmp_le_i32_e32 vcc, s16, v2
	s_or_b64 s[18:19], vcc, s[18:19]
	v_add_u32_e32 v1, s23, v1
	s_andn2_b64 exec, exec, s[18:19]
	s_cbranch_execz .LBB11_12
.LBB11_10:                              ; =>This Inner Loop Header: Depth=1
	v_ashrrev_i32_e32 v3, 31, v2
	v_lshlrev_b64 v[4:5], 2, v[2:3]
	v_add_co_u32_e32 v10, vcc, s20, v4
	v_addc_co_u32_e32 v11, vcc, v6, v5, vcc
	global_load_dword v3, v[10:11], off
	s_waitcnt vmcnt(0)
	v_mul_f32_e32 v9, 0xbfb8aa3b, v3
	v_cmp_gt_f32_e32 vcc, s21, v9
	v_cndmask_b32_e32 v9, 0, v7, vcc
	v_fmac_f32_e32 v9, 0xbfb8aa3b, v3
	v_exp_f32_e32 v3, v9
	v_cndmask_b32_e32 v9, 1.0, v8, vcc
	s_and_b64 vcc, exec, s[2:3]
	v_fma_f32 v3, v3, v9, 1.0
	v_rcp_f32_e32 v3, v3
	ds_write_b32 v1, v3
	s_cbranch_vccnz .LBB11_9
; %bb.11:                               ;   in Loop: Header=BB11_10 Depth=1
	v_mov_b32_e32 v9, s11
	v_add_co_u32_e32 v4, vcc, s10, v4
	v_addc_co_u32_e32 v5, vcc, v9, v5, vcc
	global_load_dword v4, v[4:5], off
	s_waitcnt vmcnt(0)
	v_add_f32_e32 v3, v3, v4
	ds_write_b32 v1, v3
	s_branch .LBB11_9
.LBB11_12:
	s_or_b64 exec, exec, s[8:9]
	s_cmp_lt_i32 s17, 1
	v_mov_b32_e32 v2, 0
	s_waitcnt lgkmcnt(0)
	s_barrier
	s_cbranch_scc1 .LBB11_21
; %bb.13:
	s_add_u32 s2, s4, 56
	s_addc_u32 s3, s5, 0
	v_mbcnt_lo_u32_b32 v1, -1, 0
	s_cmp_lg_u64 s[10:11], 0
	v_mbcnt_hi_u32_b32 v1, -1, v1
	v_bfrev_b32_e32 v3, 0.5
	s_cselect_b64 s[8:9], -1, 0
	v_lshlrev_b32_e32 v4, 1, v0
	v_lshl_add_u32 v5, v0, 3, 0
	s_mov_b32 s16, 0
	v_mov_b32_e32 v2, 0
	v_lshl_or_b32 v6, v1, 2, v3
	v_mov_b32_e32 v7, 0xff800000
	v_mov_b32_e32 v1, 0
	;; [unrolled: 1-line block ×3, first 2 shown]
	s_branch .LBB11_15
.LBB11_14:                              ;   in Loop: Header=BB11_15 Depth=1
	s_lshl_b32 s19, s18, 2
	s_add_i32 s19, s19, 0
	v_mov_b32_e32 v8, s19
	ds_write_b32 v8, v7
	v_mov_b32_e32 v8, s18
	v_cmp_eq_u32_e32 vcc, s16, v0
	s_add_i32 s16, s16, 1
	v_cndmask_b32_e32 v1, v1, v8, vcc
	v_cndmask_b32_e32 v2, v2, v10, vcc
	s_cmp_eq_u32 s16, s17
	v_add_f32_e32 v3, v3, v10
	s_cbranch_scc1 .LBB11_22
.LBB11_15:                              ; =>This Loop Header: Depth=1
                                        ;     Child Loop BB11_17 Depth 2
	v_mov_b32_e32 v8, s16
	v_mov_b32_e32 v9, 0xff800000
	s_and_saveexec_b64 s[18:19], s[0:1]
	s_cbranch_execz .LBB11_19
; %bb.16:                               ;   in Loop: Header=BB11_15 Depth=1
	s_load_dword s22, s[2:3], 0xc
	s_mov_b64 s[20:21], 0
	v_mov_b32_e32 v8, s16
	v_mov_b32_e32 v9, 0xff800000
	;; [unrolled: 1-line block ×3, first 2 shown]
	s_waitcnt lgkmcnt(0)
	s_and_b32 s22, s22, 0xffff
	s_lshl_b32 s23, s22, 1
	s_lshl_b32 s24, s22, 3
	v_mov_b32_e32 v11, v4
	v_mov_b32_e32 v12, v0
.LBB11_17:                              ;   Parent Loop BB11_15 Depth=1
                                        ; =>  This Inner Loop Header: Depth=2
	ds_read_b64 v[14:15], v10
	v_add_u32_e32 v12, s22, v12
	v_cmp_le_i32_e32 vcc, s7, v12
	s_or_b64 s[20:21], vcc, s[20:21]
	v_add_u32_e32 v13, 1, v11
	s_waitcnt lgkmcnt(0)
	v_cmp_gt_f32_e32 vcc, v14, v9
	v_cndmask_b32_e32 v9, v9, v14, vcc
	v_cndmask_b32_e32 v8, v8, v11, vcc
	v_cmp_gt_f32_e32 vcc, v15, v9
	v_add_u32_e32 v10, s24, v10
	v_cndmask_b32_e32 v9, v9, v15, vcc
	v_add_u32_e32 v11, s23, v11
	v_cndmask_b32_e32 v8, v8, v13, vcc
	s_andn2_b64 exec, exec, s[20:21]
	s_cbranch_execnz .LBB11_17
; %bb.18:                               ;   in Loop: Header=BB11_15 Depth=1
	s_or_b64 exec, exec, s[20:21]
.LBB11_19:                              ;   in Loop: Header=BB11_15 Depth=1
	s_or_b64 exec, exec, s[18:19]
	;;#ASMSTART
	v_max_f32 v10, v9, v9 quad_perm:[1,0,3,2] row_mask:0xf bank_mask:0xf bound_ctrl:1
	;;#ASMEND
	;;#ASMSTART
	v_max_f32 v11, v10, v10 quad_perm:[2,3,0,1] row_mask:0xf bank_mask:0xf bound_ctrl:1
	;;#ASMEND
	;;#ASMSTART
	v_max_f32 v10, v11, v11 row_half_mirror row_mask:0xf bank_mask:0xf bound_ctrl:1
	;;#ASMEND
	;;#ASMSTART
	v_max_f32 v11, v10, v10 row_mirror row_mask:0xf bank_mask:0xf bound_ctrl:1
	;;#ASMEND
	;;#ASMSTART
	v_max_f32 v10, v11, v11 row_ror:4 row_mask:0xf bank_mask:0xf bound_ctrl:1
	;;#ASMEND
	;;#ASMSTART
	v_max_f32 v11, v10, v10 row_ror:8 row_mask:0xf bank_mask:0xf bound_ctrl:1
	;;#ASMEND
	;;#ASMSTART
	v_max_f32 v10, v11, v11 row_bcast:15 row_mask:0xf bank_mask:0xf bound_ctrl:1
	;;#ASMEND
	;;#ASMSTART
	v_max_f32 v11, v10, v10 row_bcast:31 row_mask:0xf bank_mask:0xf bound_ctrl:1
	;;#ASMEND
	ds_bpermute_b32 v10, v6, v11
	s_waitcnt lgkmcnt(0)
	v_cmp_eq_f32_e32 vcc, v9, v10
	s_ff1_i32_b64 s18, vcc
	s_cmp_lg_u64 vcc, 0
	s_cselect_b32 s18, s18, 0
	s_and_b64 vcc, exec, s[8:9]
	v_readlane_b32 s18, v8, s18
	s_cbranch_vccz .LBB11_14
; %bb.20:                               ;   in Loop: Header=BB11_15 Depth=1
	s_ashr_i32 s19, s18, 31
	s_lshl_b64 s[20:21], s[18:19], 2
	s_add_u32 s20, s10, s20
	s_addc_u32 s21, s11, s21
	s_load_dword s19, s[20:21], 0x0
	s_waitcnt lgkmcnt(0)
	v_subrev_f32_e32 v10, s19, v10
	s_branch .LBB11_14
.LBB11_21:
	v_mov_b32_e32 v1, 0
	v_mov_b32_e32 v3, 0
.LBB11_22:
	v_cmp_gt_i32_e32 vcc, s17, v0
	s_and_saveexec_b64 s[0:1], vcc
	s_cbranch_execz .LBB11_25
; %bb.23:
	s_load_dword s2, s[4:5], 0x34
	v_max_f32_e32 v3, v3, v3
	v_max_f32_e32 v3, 0x1e3ce508, v3
	s_load_dword s3, s[4:5], 0x44
	s_waitcnt lgkmcnt(0)
	v_div_scale_f32 v4, s[0:1], v3, v3, s2
	s_load_dwordx2 s[0:1], s[4:5], 0x20
	v_rcp_f32_e32 v5, v4
	v_div_scale_f32 v6, vcc, s2, v3, s2
	s_and_b32 s3, s3, 0xffff
	v_fma_f32 v7, -v4, v5, 1.0
	v_fmac_f32_e32 v5, v7, v5
	v_mul_f32_e32 v7, v6, v5
	v_fma_f32 v8, -v4, v7, v6
	v_fmac_f32_e32 v7, v8, v5
	v_fma_f32 v4, -v4, v7, v6
	v_div_fmas_f32 v4, v4, v5, v7
	v_div_fixup_f32 v3, v4, v3, s2
	s_ashr_i32 s2, s6, 31
	s_waitcnt lgkmcnt(0)
	s_mul_i32 s1, s6, s1
	s_mul_hi_u32 s4, s6, s0
	s_add_i32 s1, s4, s1
	s_mul_i32 s2, s2, s0
	s_add_i32 s4, s1, s2
	v_mul_f32_e32 v2, v2, v3
	s_mul_i32 s2, s6, s0
	s_mov_b64 s[0:1], 0
	v_mov_b32_e32 v3, s4
	v_mov_b32_e32 v4, s13
	;; [unrolled: 1-line block ×3, first 2 shown]
.LBB11_24:                              ; =>This Inner Loop Header: Depth=1
	v_ashrrev_i32_e32 v7, 31, v0
	v_add_co_u32_e32 v6, vcc, s2, v0
	v_addc_co_u32_e32 v7, vcc, v3, v7, vcc
	v_add_u32_e32 v0, s3, v0
	v_cmp_le_i32_e32 vcc, s17, v0
	v_lshlrev_b64 v[6:7], 2, v[6:7]
	s_or_b64 s[0:1], vcc, s[0:1]
	v_add_co_u32_e32 v8, vcc, s12, v6
	v_addc_co_u32_e32 v9, vcc, v4, v7, vcc
	v_add_co_u32_e32 v6, vcc, s14, v6
	v_addc_co_u32_e32 v7, vcc, v5, v7, vcc
	global_store_dword v[8:9], v2, off
	global_store_dword v[6:7], v1, off
	s_andn2_b64 exec, exec, s[0:1]
	s_cbranch_execnz .LBB11_24
.LBB11_25:
	s_endpgm
	.section	.rodata,"a",@progbits
	.p2align	6, 0x0
	.amdhsa_kernel _ZN5aiter20topk_softplus_kernelIffDv2_fLb1ELi1EEEvPKT_PKT0_PfPimiiif
		.amdhsa_group_segment_fixed_size 0
		.amdhsa_private_segment_fixed_size 0
		.amdhsa_kernarg_size 312
		.amdhsa_user_sgpr_count 6
		.amdhsa_user_sgpr_private_segment_buffer 1
		.amdhsa_user_sgpr_dispatch_ptr 0
		.amdhsa_user_sgpr_queue_ptr 0
		.amdhsa_user_sgpr_kernarg_segment_ptr 1
		.amdhsa_user_sgpr_dispatch_id 0
		.amdhsa_user_sgpr_flat_scratch_init 0
		.amdhsa_user_sgpr_kernarg_preload_length 0
		.amdhsa_user_sgpr_kernarg_preload_offset 0
		.amdhsa_user_sgpr_private_segment_size 0
		.amdhsa_uses_dynamic_stack 0
		.amdhsa_system_sgpr_private_segment_wavefront_offset 0
		.amdhsa_system_sgpr_workgroup_id_x 1
		.amdhsa_system_sgpr_workgroup_id_y 0
		.amdhsa_system_sgpr_workgroup_id_z 0
		.amdhsa_system_sgpr_workgroup_info 0
		.amdhsa_system_vgpr_workitem_id 0
		.amdhsa_next_free_vgpr 16
		.amdhsa_next_free_sgpr 26
		.amdhsa_accum_offset 16
		.amdhsa_reserve_vcc 1
		.amdhsa_reserve_flat_scratch 0
		.amdhsa_float_round_mode_32 0
		.amdhsa_float_round_mode_16_64 0
		.amdhsa_float_denorm_mode_32 3
		.amdhsa_float_denorm_mode_16_64 3
		.amdhsa_dx10_clamp 1
		.amdhsa_ieee_mode 1
		.amdhsa_fp16_overflow 0
		.amdhsa_tg_split 0
		.amdhsa_exception_fp_ieee_invalid_op 0
		.amdhsa_exception_fp_denorm_src 0
		.amdhsa_exception_fp_ieee_div_zero 0
		.amdhsa_exception_fp_ieee_overflow 0
		.amdhsa_exception_fp_ieee_underflow 0
		.amdhsa_exception_fp_ieee_inexact 0
		.amdhsa_exception_int_div_zero 0
	.end_amdhsa_kernel
	.section	.text._ZN5aiter20topk_softplus_kernelIffDv2_fLb1ELi1EEEvPKT_PKT0_PfPimiiif,"axG",@progbits,_ZN5aiter20topk_softplus_kernelIffDv2_fLb1ELi1EEEvPKT_PKT0_PfPimiiif,comdat
.Lfunc_end11:
	.size	_ZN5aiter20topk_softplus_kernelIffDv2_fLb1ELi1EEEvPKT_PKT0_PfPimiiif, .Lfunc_end11-_ZN5aiter20topk_softplus_kernelIffDv2_fLb1ELi1EEEvPKT_PKT0_PfPimiiif
                                        ; -- End function
	.section	.AMDGPU.csdata,"",@progbits
; Kernel info:
; codeLenInByte = 1404
; NumSgprs: 30
; NumVgprs: 16
; NumAgprs: 0
; TotalNumVgprs: 16
; ScratchSize: 0
; MemoryBound: 0
; FloatMode: 240
; IeeeMode: 1
; LDSByteSize: 0 bytes/workgroup (compile time only)
; SGPRBlocks: 3
; VGPRBlocks: 1
; NumSGPRsForWavesPerEU: 30
; NumVGPRsForWavesPerEU: 16
; AccumOffset: 16
; Occupancy: 8
; WaveLimiterHint : 0
; COMPUTE_PGM_RSRC2:SCRATCH_EN: 0
; COMPUTE_PGM_RSRC2:USER_SGPR: 6
; COMPUTE_PGM_RSRC2:TRAP_HANDLER: 0
; COMPUTE_PGM_RSRC2:TGID_X_EN: 1
; COMPUTE_PGM_RSRC2:TGID_Y_EN: 0
; COMPUTE_PGM_RSRC2:TGID_Z_EN: 0
; COMPUTE_PGM_RSRC2:TIDIG_COMP_CNT: 0
; COMPUTE_PGM_RSRC3_GFX90A:ACCUM_OFFSET: 3
; COMPUTE_PGM_RSRC3_GFX90A:TG_SPLIT: 0
	.section	.text._ZN5aiter20topk_softplus_kernelIffDv2_fLb0ELi1EEEvPKT_PKT0_PfPimiiif,"axG",@progbits,_ZN5aiter20topk_softplus_kernelIffDv2_fLb0ELi1EEEvPKT_PKT0_PfPimiiif,comdat
	.protected	_ZN5aiter20topk_softplus_kernelIffDv2_fLb0ELi1EEEvPKT_PKT0_PfPimiiif ; -- Begin function _ZN5aiter20topk_softplus_kernelIffDv2_fLb0ELi1EEEvPKT_PKT0_PfPimiiif
	.globl	_ZN5aiter20topk_softplus_kernelIffDv2_fLb0ELi1EEEvPKT_PKT0_PfPimiiif
	.p2align	8
	.type	_ZN5aiter20topk_softplus_kernelIffDv2_fLb0ELi1EEEvPKT_PKT0_PfPimiiif,@function
_ZN5aiter20topk_softplus_kernelIffDv2_fLb0ELi1EEEvPKT_PKT0_PfPimiiif: ; @_ZN5aiter20topk_softplus_kernelIffDv2_fLb0ELi1EEEvPKT_PKT0_PfPimiiif
; %bb.0:
	s_load_dwordx2 s[16:17], s[4:5], 0x28
	s_load_dwordx8 s[8:15], s[4:5], 0x0
	s_waitcnt lgkmcnt(0)
	s_lshr_b32 s1, s16, 31
	s_mul_i32 s0, s6, s16
	s_add_i32 s1, s16, s1
	s_ashr_i32 s7, s1, 1
	s_ashr_i32 s1, s0, 31
	s_lshl_b64 s[0:1], s[0:1], 2
	s_add_u32 s20, s8, s0
	s_addc_u32 s21, s9, s1
	v_cmp_gt_i32_e64 s[0:1], s7, v0
	s_and_saveexec_b64 s[8:9], s[0:1]
	s_cbranch_execz .LBB12_7
; %bb.1:
	s_load_dword s22, s[4:5], 0x44
	s_cmp_lg_u64 s[10:11], 0
	s_cselect_b64 s[2:3], -1, 0
	s_mov_b32 s25, 0
	v_lshlrev_b32_e32 v2, 3, v0
	s_waitcnt lgkmcnt(0)
	s_and_b32 s22, s22, 0xffff
	v_cndmask_b32_e64 v4, 0, 1, s[2:3]
	s_mov_b64 s[18:19], 0
	v_mov_b32_e32 v1, 0
	s_lshl_b32 s23, s22, 3
	v_add_u32_e32 v3, 0, v2
	v_mov_b32_e32 v6, s21
	s_mov_b32 s24, 0xc2fc0000
	v_mov_b32_e32 v7, 0x42800000
	v_mov_b32_e32 v8, 0x1f800000
	v_cmp_ne_u32_e64 s[2:3], 1, v4
	v_mov_b32_e32 v9, s25
	v_mov_b32_e32 v10, v0
	s_branch .LBB12_3
.LBB12_2:                               ;   in Loop: Header=BB12_3 Depth=1
	v_add_co_u32_e32 v2, vcc, s23, v2
	v_add_u32_e32 v10, s22, v10
	v_addc_co_u32_e32 v1, vcc, v1, v9, vcc
	v_cmp_le_i32_e32 vcc, s7, v10
	ds_write_b64 v3, v[4:5]
	s_or_b64 s[18:19], vcc, s[18:19]
	v_add_u32_e32 v3, s23, v3
	s_andn2_b64 exec, exec, s[18:19]
	s_cbranch_execz .LBB12_7
.LBB12_3:                               ; =>This Inner Loop Header: Depth=1
	v_add_co_u32_e32 v4, vcc, s20, v2
	v_addc_co_u32_e32 v5, vcc, v6, v1, vcc
	global_load_dwordx2 v[4:5], v[4:5], off
	s_waitcnt vmcnt(0)
	v_mul_f32_e32 v11, 0xbfb8aa3b, v4
	v_cmp_gt_f32_e32 vcc, s24, v11
	v_cndmask_b32_e32 v11, 0, v7, vcc
	v_fmac_f32_e32 v11, 0xbfb8aa3b, v4
	v_exp_f32_e32 v4, v11
	v_cndmask_b32_e32 v11, 1.0, v8, vcc
	s_and_b64 vcc, exec, s[2:3]
	v_fma_f32 v4, v4, v11, 1.0
	v_rcp_f32_e32 v4, v4
	s_cbranch_vccnz .LBB12_5
; %bb.4:                                ;   in Loop: Header=BB12_3 Depth=1
	v_mov_b32_e32 v11, s11
	v_add_co_u32_e32 v12, vcc, s10, v2
	v_addc_co_u32_e32 v13, vcc, v11, v1, vcc
	global_load_dword v11, v[12:13], off
	s_waitcnt vmcnt(0)
	v_add_f32_e32 v4, v4, v11
.LBB12_5:                               ;   in Loop: Header=BB12_3 Depth=1
	v_mul_f32_e32 v11, 0xbfb8aa3b, v5
	v_cmp_gt_f32_e32 vcc, s24, v11
	v_cndmask_b32_e32 v12, 0, v7, vcc
	v_fmac_f32_e32 v12, 0xbfb8aa3b, v5
	v_exp_f32_e32 v5, v12
	v_cndmask_b32_e32 v11, 1.0, v8, vcc
	s_and_b64 vcc, exec, s[2:3]
	v_fma_f32 v5, v5, v11, 1.0
	v_rcp_f32_e32 v5, v5
	s_cbranch_vccnz .LBB12_2
; %bb.6:                                ;   in Loop: Header=BB12_3 Depth=1
	v_mov_b32_e32 v11, s11
	v_add_co_u32_e32 v12, vcc, s10, v2
	v_addc_co_u32_e32 v13, vcc, v11, v1, vcc
	global_load_dword v11, v[12:13], off offset:4
	s_waitcnt vmcnt(0)
	v_add_f32_e32 v5, v5, v11
	s_branch .LBB12_2
.LBB12_7:
	s_or_b64 exec, exec, s[8:9]
	v_lshl_add_u32 v2, s7, 1, v0
	v_cmp_gt_i32_e32 vcc, s16, v2
	s_and_saveexec_b64 s[8:9], vcc
	s_cbranch_execz .LBB12_12
; %bb.8:
	s_load_dword s22, s[4:5], 0x44
	s_cmp_lg_u64 s[10:11], 0
	s_cselect_b64 s[2:3], -1, 0
	s_lshl_b32 s23, s7, 3
	s_add_i32 s23, s23, 0
	s_waitcnt lgkmcnt(0)
	s_and_b32 s22, s22, 0xffff
	v_cndmask_b32_e64 v3, 0, 1, s[2:3]
	s_mov_b64 s[18:19], 0
	v_lshl_add_u32 v1, v0, 2, s23
	s_lshl_b32 s23, s22, 2
	v_mov_b32_e32 v6, s21
	s_mov_b32 s21, 0xc2fc0000
	v_mov_b32_e32 v7, 0x42800000
	v_mov_b32_e32 v8, 0x1f800000
	v_cmp_ne_u32_e64 s[2:3], 1, v3
	s_branch .LBB12_10
.LBB12_9:                               ;   in Loop: Header=BB12_10 Depth=1
	v_add_u32_e32 v2, s22, v2
	v_cmp_le_i32_e32 vcc, s16, v2
	s_or_b64 s[18:19], vcc, s[18:19]
	v_add_u32_e32 v1, s23, v1
	s_andn2_b64 exec, exec, s[18:19]
	s_cbranch_execz .LBB12_12
.LBB12_10:                              ; =>This Inner Loop Header: Depth=1
	v_ashrrev_i32_e32 v3, 31, v2
	v_lshlrev_b64 v[4:5], 2, v[2:3]
	v_add_co_u32_e32 v10, vcc, s20, v4
	v_addc_co_u32_e32 v11, vcc, v6, v5, vcc
	global_load_dword v3, v[10:11], off
	s_waitcnt vmcnt(0)
	v_mul_f32_e32 v9, 0xbfb8aa3b, v3
	v_cmp_gt_f32_e32 vcc, s21, v9
	v_cndmask_b32_e32 v9, 0, v7, vcc
	v_fmac_f32_e32 v9, 0xbfb8aa3b, v3
	v_exp_f32_e32 v3, v9
	v_cndmask_b32_e32 v9, 1.0, v8, vcc
	s_and_b64 vcc, exec, s[2:3]
	v_fma_f32 v3, v3, v9, 1.0
	v_rcp_f32_e32 v3, v3
	ds_write_b32 v1, v3
	s_cbranch_vccnz .LBB12_9
; %bb.11:                               ;   in Loop: Header=BB12_10 Depth=1
	v_mov_b32_e32 v9, s11
	v_add_co_u32_e32 v4, vcc, s10, v4
	v_addc_co_u32_e32 v5, vcc, v9, v5, vcc
	global_load_dword v4, v[4:5], off
	s_waitcnt vmcnt(0)
	v_add_f32_e32 v3, v3, v4
	ds_write_b32 v1, v3
	s_branch .LBB12_9
.LBB12_12:
	s_or_b64 exec, exec, s[8:9]
	s_cmp_lt_i32 s17, 1
	s_waitcnt lgkmcnt(0)
	s_barrier
	s_cbranch_scc1 .LBB12_21
; %bb.13:
	s_add_u32 s2, s4, 56
	s_addc_u32 s3, s5, 0
	v_mbcnt_lo_u32_b32 v5, -1, 0
	s_cmp_lg_u64 s[10:11], 0
	v_mbcnt_hi_u32_b32 v5, -1, v5
	v_bfrev_b32_e32 v6, 0.5
	s_cselect_b64 s[8:9], -1, 0
	v_lshlrev_b32_e32 v3, 1, v0
	s_mov_b32 s16, 0
	v_mov_b32_e32 v1, 0
	v_lshl_add_u32 v4, v0, 3, 0
	v_mov_b32_e32 v2, 0
	v_lshl_or_b32 v5, v5, 2, v6
	v_mov_b32_e32 v6, 0xff800000
	s_branch .LBB12_15
.LBB12_14:                              ;   in Loop: Header=BB12_15 Depth=1
	s_lshl_b32 s19, s18, 2
	s_add_i32 s19, s19, 0
	v_mov_b32_e32 v7, s19
	ds_write_b32 v7, v6
	v_mov_b32_e32 v7, s18
	v_cmp_eq_u32_e32 vcc, s16, v0
	s_add_i32 s16, s16, 1
	v_cndmask_b32_e32 v1, v1, v7, vcc
	s_cmp_eq_u32 s16, s17
	v_cndmask_b32_e32 v2, v2, v9, vcc
	s_cbranch_scc1 .LBB12_22
.LBB12_15:                              ; =>This Loop Header: Depth=1
                                        ;     Child Loop BB12_17 Depth 2
	v_mov_b32_e32 v7, s16
	v_mov_b32_e32 v8, 0xff800000
	s_and_saveexec_b64 s[18:19], s[0:1]
	s_cbranch_execz .LBB12_19
; %bb.16:                               ;   in Loop: Header=BB12_15 Depth=1
	s_load_dword s22, s[2:3], 0xc
	s_mov_b64 s[20:21], 0
	v_mov_b32_e32 v7, s16
	v_mov_b32_e32 v8, 0xff800000
	;; [unrolled: 1-line block ×3, first 2 shown]
	s_waitcnt lgkmcnt(0)
	s_and_b32 s22, s22, 0xffff
	s_lshl_b32 s23, s22, 1
	s_lshl_b32 s24, s22, 3
	v_mov_b32_e32 v10, v3
	v_mov_b32_e32 v11, v0
.LBB12_17:                              ;   Parent Loop BB12_15 Depth=1
                                        ; =>  This Inner Loop Header: Depth=2
	ds_read_b64 v[12:13], v9
	v_add_u32_e32 v11, s22, v11
	v_cmp_le_i32_e32 vcc, s7, v11
	s_or_b64 s[20:21], vcc, s[20:21]
	v_add_u32_e32 v14, 1, v10
	s_waitcnt lgkmcnt(0)
	v_cmp_gt_f32_e32 vcc, v12, v8
	v_cndmask_b32_e32 v8, v8, v12, vcc
	v_cndmask_b32_e32 v7, v7, v10, vcc
	v_cmp_gt_f32_e32 vcc, v13, v8
	v_add_u32_e32 v9, s24, v9
	v_cndmask_b32_e32 v8, v8, v13, vcc
	v_add_u32_e32 v10, s23, v10
	v_cndmask_b32_e32 v7, v7, v14, vcc
	s_andn2_b64 exec, exec, s[20:21]
	s_cbranch_execnz .LBB12_17
; %bb.18:                               ;   in Loop: Header=BB12_15 Depth=1
	s_or_b64 exec, exec, s[20:21]
.LBB12_19:                              ;   in Loop: Header=BB12_15 Depth=1
	s_or_b64 exec, exec, s[18:19]
	;;#ASMSTART
	v_max_f32 v9, v8, v8 quad_perm:[1,0,3,2] row_mask:0xf bank_mask:0xf bound_ctrl:1
	;;#ASMEND
	;;#ASMSTART
	v_max_f32 v10, v9, v9 quad_perm:[2,3,0,1] row_mask:0xf bank_mask:0xf bound_ctrl:1
	;;#ASMEND
	;;#ASMSTART
	v_max_f32 v9, v10, v10 row_half_mirror row_mask:0xf bank_mask:0xf bound_ctrl:1
	;;#ASMEND
	;;#ASMSTART
	v_max_f32 v10, v9, v9 row_mirror row_mask:0xf bank_mask:0xf bound_ctrl:1
	;;#ASMEND
	;;#ASMSTART
	v_max_f32 v9, v10, v10 row_ror:4 row_mask:0xf bank_mask:0xf bound_ctrl:1
	;;#ASMEND
	;;#ASMSTART
	v_max_f32 v10, v9, v9 row_ror:8 row_mask:0xf bank_mask:0xf bound_ctrl:1
	;;#ASMEND
	;;#ASMSTART
	v_max_f32 v9, v10, v10 row_bcast:15 row_mask:0xf bank_mask:0xf bound_ctrl:1
	;;#ASMEND
	;;#ASMSTART
	v_max_f32 v10, v9, v9 row_bcast:31 row_mask:0xf bank_mask:0xf bound_ctrl:1
	;;#ASMEND
	ds_bpermute_b32 v9, v5, v10
	s_waitcnt lgkmcnt(0)
	v_cmp_eq_f32_e32 vcc, v8, v9
	s_ff1_i32_b64 s18, vcc
	s_cmp_lg_u64 vcc, 0
	s_cselect_b32 s18, s18, 0
	s_and_b64 vcc, exec, s[8:9]
	v_readlane_b32 s18, v7, s18
	s_cbranch_vccz .LBB12_14
; %bb.20:                               ;   in Loop: Header=BB12_15 Depth=1
	s_ashr_i32 s19, s18, 31
	s_lshl_b64 s[20:21], s[18:19], 2
	s_add_u32 s20, s10, s20
	s_addc_u32 s21, s11, s21
	s_load_dword s19, s[20:21], 0x0
	s_waitcnt lgkmcnt(0)
	v_subrev_f32_e32 v9, s19, v9
	s_branch .LBB12_14
.LBB12_21:
	v_mov_b32_e32 v2, 0
	v_mov_b32_e32 v1, 0
.LBB12_22:
	v_cmp_gt_i32_e32 vcc, s17, v0
	s_and_saveexec_b64 s[0:1], vcc
	s_cbranch_execz .LBB12_25
; %bb.23:
	s_load_dword s2, s[4:5], 0x34
	s_load_dwordx2 s[0:1], s[4:5], 0x20
	s_ashr_i32 s3, s6, 31
	s_load_dword s4, s[4:5], 0x44
	v_mov_b32_e32 v4, s13
	s_waitcnt lgkmcnt(0)
	v_mul_f32_e32 v2, s2, v2
	s_mul_i32 s1, s6, s1
	s_mul_hi_u32 s2, s6, s0
	s_add_i32 s1, s2, s1
	s_mul_i32 s3, s3, s0
	s_add_i32 s5, s1, s3
	s_mul_i32 s2, s6, s0
	s_and_b32 s3, s4, 0xffff
	s_mov_b64 s[0:1], 0
	v_mov_b32_e32 v3, s5
	v_mov_b32_e32 v5, s15
.LBB12_24:                              ; =>This Inner Loop Header: Depth=1
	v_ashrrev_i32_e32 v7, 31, v0
	v_add_co_u32_e32 v6, vcc, s2, v0
	v_addc_co_u32_e32 v7, vcc, v3, v7, vcc
	v_add_u32_e32 v0, s3, v0
	v_cmp_le_i32_e32 vcc, s17, v0
	v_lshlrev_b64 v[6:7], 2, v[6:7]
	s_or_b64 s[0:1], vcc, s[0:1]
	v_add_co_u32_e32 v8, vcc, s12, v6
	v_addc_co_u32_e32 v9, vcc, v4, v7, vcc
	v_add_co_u32_e32 v6, vcc, s14, v6
	v_addc_co_u32_e32 v7, vcc, v5, v7, vcc
	global_store_dword v[8:9], v2, off
	global_store_dword v[6:7], v1, off
	s_andn2_b64 exec, exec, s[0:1]
	s_cbranch_execnz .LBB12_24
.LBB12_25:
	s_endpgm
	.section	.rodata,"a",@progbits
	.p2align	6, 0x0
	.amdhsa_kernel _ZN5aiter20topk_softplus_kernelIffDv2_fLb0ELi1EEEvPKT_PKT0_PfPimiiif
		.amdhsa_group_segment_fixed_size 0
		.amdhsa_private_segment_fixed_size 0
		.amdhsa_kernarg_size 312
		.amdhsa_user_sgpr_count 6
		.amdhsa_user_sgpr_private_segment_buffer 1
		.amdhsa_user_sgpr_dispatch_ptr 0
		.amdhsa_user_sgpr_queue_ptr 0
		.amdhsa_user_sgpr_kernarg_segment_ptr 1
		.amdhsa_user_sgpr_dispatch_id 0
		.amdhsa_user_sgpr_flat_scratch_init 0
		.amdhsa_user_sgpr_kernarg_preload_length 0
		.amdhsa_user_sgpr_kernarg_preload_offset 0
		.amdhsa_user_sgpr_private_segment_size 0
		.amdhsa_uses_dynamic_stack 0
		.amdhsa_system_sgpr_private_segment_wavefront_offset 0
		.amdhsa_system_sgpr_workgroup_id_x 1
		.amdhsa_system_sgpr_workgroup_id_y 0
		.amdhsa_system_sgpr_workgroup_id_z 0
		.amdhsa_system_sgpr_workgroup_info 0
		.amdhsa_system_vgpr_workitem_id 0
		.amdhsa_next_free_vgpr 15
		.amdhsa_next_free_sgpr 26
		.amdhsa_accum_offset 16
		.amdhsa_reserve_vcc 1
		.amdhsa_reserve_flat_scratch 0
		.amdhsa_float_round_mode_32 0
		.amdhsa_float_round_mode_16_64 0
		.amdhsa_float_denorm_mode_32 3
		.amdhsa_float_denorm_mode_16_64 3
		.amdhsa_dx10_clamp 1
		.amdhsa_ieee_mode 1
		.amdhsa_fp16_overflow 0
		.amdhsa_tg_split 0
		.amdhsa_exception_fp_ieee_invalid_op 0
		.amdhsa_exception_fp_denorm_src 0
		.amdhsa_exception_fp_ieee_div_zero 0
		.amdhsa_exception_fp_ieee_overflow 0
		.amdhsa_exception_fp_ieee_underflow 0
		.amdhsa_exception_fp_ieee_inexact 0
		.amdhsa_exception_int_div_zero 0
	.end_amdhsa_kernel
	.section	.text._ZN5aiter20topk_softplus_kernelIffDv2_fLb0ELi1EEEvPKT_PKT0_PfPimiiif,"axG",@progbits,_ZN5aiter20topk_softplus_kernelIffDv2_fLb0ELi1EEEvPKT_PKT0_PfPimiiif,comdat
.Lfunc_end12:
	.size	_ZN5aiter20topk_softplus_kernelIffDv2_fLb0ELi1EEEvPKT_PKT0_PfPimiiif, .Lfunc_end12-_ZN5aiter20topk_softplus_kernelIffDv2_fLb0ELi1EEEvPKT_PKT0_PfPimiiif
                                        ; -- End function
	.section	.AMDGPU.csdata,"",@progbits
; Kernel info:
; codeLenInByte = 1304
; NumSgprs: 30
; NumVgprs: 15
; NumAgprs: 0
; TotalNumVgprs: 15
; ScratchSize: 0
; MemoryBound: 0
; FloatMode: 240
; IeeeMode: 1
; LDSByteSize: 0 bytes/workgroup (compile time only)
; SGPRBlocks: 3
; VGPRBlocks: 1
; NumSGPRsForWavesPerEU: 30
; NumVGPRsForWavesPerEU: 15
; AccumOffset: 16
; Occupancy: 8
; WaveLimiterHint : 0
; COMPUTE_PGM_RSRC2:SCRATCH_EN: 0
; COMPUTE_PGM_RSRC2:USER_SGPR: 6
; COMPUTE_PGM_RSRC2:TRAP_HANDLER: 0
; COMPUTE_PGM_RSRC2:TGID_X_EN: 1
; COMPUTE_PGM_RSRC2:TGID_Y_EN: 0
; COMPUTE_PGM_RSRC2:TGID_Z_EN: 0
; COMPUTE_PGM_RSRC2:TIDIG_COMP_CNT: 0
; COMPUTE_PGM_RSRC3_GFX90A:ACCUM_OFFSET: 3
; COMPUTE_PGM_RSRC3_GFX90A:TG_SPLIT: 0
	.section	.text._ZN5aiter20topk_softplus_kernelIffDv1_fLb1ELi1EEEvPKT_PKT0_PfPimiiif,"axG",@progbits,_ZN5aiter20topk_softplus_kernelIffDv1_fLb1ELi1EEEvPKT_PKT0_PfPimiiif,comdat
	.protected	_ZN5aiter20topk_softplus_kernelIffDv1_fLb1ELi1EEEvPKT_PKT0_PfPimiiif ; -- Begin function _ZN5aiter20topk_softplus_kernelIffDv1_fLb1ELi1EEEvPKT_PKT0_PfPimiiif
	.globl	_ZN5aiter20topk_softplus_kernelIffDv1_fLb1ELi1EEEvPKT_PKT0_PfPimiiif
	.p2align	8
	.type	_ZN5aiter20topk_softplus_kernelIffDv1_fLb1ELi1EEEvPKT_PKT0_PfPimiiif,@function
_ZN5aiter20topk_softplus_kernelIffDv1_fLb1ELi1EEEvPKT_PKT0_PfPimiiif: ; @_ZN5aiter20topk_softplus_kernelIffDv1_fLb1ELi1EEEvPKT_PKT0_PfPimiiif
; %bb.0:
	s_load_dwordx2 s[16:17], s[4:5], 0x28
	s_load_dwordx8 s[8:15], s[4:5], 0x0
	v_lshl_add_u32 v1, v0, 2, 0
	s_waitcnt lgkmcnt(0)
	s_mul_i32 s2, s6, s16
	s_ashr_i32 s3, s2, 31
	s_lshl_b64 s[2:3], s[2:3], 2
	s_add_u32 s7, s8, s2
	v_cmp_gt_i32_e64 s[0:1], s16, v0
	s_addc_u32 s20, s9, s3
	s_and_saveexec_b64 s[8:9], s[0:1]
	s_cbranch_execz .LBB13_5
; %bb.1:
	s_load_dword s21, s[4:5], 0x44
	s_cmp_lg_u64 s[10:11], 0
	s_cselect_b64 s[2:3], -1, 0
	v_cndmask_b32_e64 v2, 0, 1, s[2:3]
	s_mov_b64 s[18:19], 0
	s_waitcnt lgkmcnt(0)
	s_and_b32 s21, s21, 0xffff
	v_lshl_add_u32 v6, v0, 2, 0
	s_lshl_b32 s22, s21, 2
	v_mov_b32_e32 v7, s20
	s_mov_b32 s23, 0xc2fc0000
	v_mov_b32_e32 v8, 0x42800000
	v_mov_b32_e32 v9, 0x1f800000
	v_cmp_ne_u32_e64 s[2:3], 1, v2
	v_mov_b32_e32 v2, v0
	s_branch .LBB13_3
.LBB13_2:                               ;   in Loop: Header=BB13_3 Depth=1
	v_add_u32_e32 v2, s21, v2
	v_cmp_le_i32_e32 vcc, s16, v2
	ds_write_b32 v6, v3
	s_or_b64 s[18:19], vcc, s[18:19]
	v_add_u32_e32 v6, s22, v6
	s_andn2_b64 exec, exec, s[18:19]
	s_cbranch_execz .LBB13_5
.LBB13_3:                               ; =>This Inner Loop Header: Depth=1
	v_ashrrev_i32_e32 v3, 31, v2
	v_lshlrev_b64 v[4:5], 2, v[2:3]
	v_add_co_u32_e32 v10, vcc, s7, v4
	v_addc_co_u32_e32 v11, vcc, v7, v5, vcc
	global_load_dword v3, v[10:11], off
	s_waitcnt vmcnt(0)
	v_mul_f32_e32 v10, 0xbfb8aa3b, v3
	v_cmp_gt_f32_e32 vcc, s23, v10
	v_cndmask_b32_e32 v10, 0, v8, vcc
	v_fmac_f32_e32 v10, 0xbfb8aa3b, v3
	v_exp_f32_e32 v3, v10
	v_cndmask_b32_e32 v10, 1.0, v9, vcc
	s_and_b64 vcc, exec, s[2:3]
	v_fma_f32 v3, v3, v10, 1.0
	v_rcp_f32_e32 v3, v3
	s_cbranch_vccnz .LBB13_2
; %bb.4:                                ;   in Loop: Header=BB13_3 Depth=1
	v_mov_b32_e32 v10, s11
	v_add_co_u32_e32 v4, vcc, s10, v4
	v_addc_co_u32_e32 v5, vcc, v10, v5, vcc
	global_load_dword v4, v[4:5], off
	s_waitcnt vmcnt(0)
	v_add_f32_e32 v3, v3, v4
	s_branch .LBB13_2
.LBB13_5:
	s_or_b64 exec, exec, s[8:9]
	v_add_u32_e32 v2, s16, v0
	v_cmp_gt_i32_e32 vcc, s16, v2
	s_and_saveexec_b64 s[8:9], vcc
	s_cbranch_execz .LBB13_10
; %bb.6:
	s_load_dword s21, s[4:5], 0x44
	s_cmp_lg_u64 s[10:11], 0
	s_cselect_b64 s[2:3], -1, 0
	v_cndmask_b32_e64 v3, 0, 1, s[2:3]
	s_mov_b64 s[18:19], 0
	s_waitcnt lgkmcnt(0)
	s_and_b32 s21, s21, 0xffff
	v_lshl_add_u32 v6, v2, 2, 0
	s_lshl_b32 s22, s21, 2
	v_mov_b32_e32 v7, s20
	s_mov_b32 s20, 0xc2fc0000
	v_mov_b32_e32 v8, 0x42800000
	v_mov_b32_e32 v9, 0x1f800000
	v_cmp_ne_u32_e64 s[2:3], 1, v3
	s_branch .LBB13_8
.LBB13_7:                               ;   in Loop: Header=BB13_8 Depth=1
	v_add_u32_e32 v2, s21, v2
	v_cmp_le_i32_e32 vcc, s16, v2
	s_or_b64 s[18:19], vcc, s[18:19]
	v_add_u32_e32 v6, s22, v6
	s_andn2_b64 exec, exec, s[18:19]
	s_cbranch_execz .LBB13_10
.LBB13_8:                               ; =>This Inner Loop Header: Depth=1
	v_ashrrev_i32_e32 v3, 31, v2
	v_lshlrev_b64 v[4:5], 2, v[2:3]
	v_add_co_u32_e32 v10, vcc, s7, v4
	v_addc_co_u32_e32 v11, vcc, v7, v5, vcc
	global_load_dword v3, v[10:11], off
	s_waitcnt vmcnt(0)
	v_mul_f32_e32 v10, 0xbfb8aa3b, v3
	v_cmp_gt_f32_e32 vcc, s20, v10
	v_cndmask_b32_e32 v10, 0, v8, vcc
	v_fmac_f32_e32 v10, 0xbfb8aa3b, v3
	v_exp_f32_e32 v3, v10
	v_cndmask_b32_e32 v10, 1.0, v9, vcc
	s_and_b64 vcc, exec, s[2:3]
	v_fma_f32 v3, v3, v10, 1.0
	v_rcp_f32_e32 v3, v3
	ds_write_b32 v6, v3
	s_cbranch_vccnz .LBB13_7
; %bb.9:                                ;   in Loop: Header=BB13_8 Depth=1
	v_mov_b32_e32 v10, s11
	v_add_co_u32_e32 v4, vcc, s10, v4
	v_addc_co_u32_e32 v5, vcc, v10, v5, vcc
	global_load_dword v4, v[4:5], off
	s_waitcnt vmcnt(0)
	v_add_f32_e32 v3, v3, v4
	ds_write_b32 v6, v3
	s_branch .LBB13_7
.LBB13_10:
	s_or_b64 exec, exec, s[8:9]
	s_cmp_lt_i32 s17, 1
	v_mov_b32_e32 v3, 0
	s_waitcnt lgkmcnt(0)
	s_barrier
	s_cbranch_scc1 .LBB13_19
; %bb.11:
	s_add_u32 s2, s4, 56
	s_addc_u32 s3, s5, 0
	v_mbcnt_lo_u32_b32 v2, -1, 0
	s_cmp_lg_u64 s[10:11], 0
	v_mbcnt_hi_u32_b32 v2, -1, v2
	v_bfrev_b32_e32 v4, 0.5
	s_cselect_b64 s[8:9], -1, 0
	s_mov_b32 s7, 0
	v_mov_b32_e32 v3, 0
	v_lshl_or_b32 v5, v2, 2, v4
	v_mov_b32_e32 v6, 0xff800000
	v_mov_b32_e32 v2, 0
	;; [unrolled: 1-line block ×3, first 2 shown]
	s_branch .LBB13_13
.LBB13_12:                              ;   in Loop: Header=BB13_13 Depth=1
	s_lshl_b32 s19, s18, 2
	s_add_i32 s19, s19, 0
	v_mov_b32_e32 v7, s19
	ds_write_b32 v7, v6
	v_mov_b32_e32 v7, s18
	v_cmp_eq_u32_e32 vcc, s7, v0
	s_add_i32 s7, s7, 1
	v_cndmask_b32_e32 v2, v2, v7, vcc
	v_cndmask_b32_e32 v3, v3, v9, vcc
	s_cmp_eq_u32 s7, s17
	v_add_f32_e32 v4, v4, v9
	s_cbranch_scc1 .LBB13_20
.LBB13_13:                              ; =>This Loop Header: Depth=1
                                        ;     Child Loop BB13_15 Depth 2
	v_mov_b32_e32 v7, s7
	v_mov_b32_e32 v8, 0xff800000
	s_and_saveexec_b64 s[18:19], s[0:1]
	s_cbranch_execz .LBB13_17
; %bb.14:                               ;   in Loop: Header=BB13_13 Depth=1
	s_load_dword s22, s[2:3], 0xc
	s_mov_b64 s[20:21], 0
	v_mov_b32_e32 v7, s7
	v_mov_b32_e32 v8, 0xff800000
	;; [unrolled: 1-line block ×3, first 2 shown]
	s_waitcnt lgkmcnt(0)
	s_and_b32 s22, s22, 0xffff
	s_lshl_b32 s23, s22, 2
	v_mov_b32_e32 v10, v0
.LBB13_15:                              ;   Parent Loop BB13_13 Depth=1
                                        ; =>  This Inner Loop Header: Depth=2
	ds_read_b32 v11, v9
	v_add_u32_e32 v9, s23, v9
	s_waitcnt lgkmcnt(0)
	v_cmp_gt_f32_e32 vcc, v11, v8
	v_cndmask_b32_e32 v7, v7, v10, vcc
	v_add_u32_e32 v10, s22, v10
	v_cndmask_b32_e32 v8, v8, v11, vcc
	v_cmp_le_i32_e32 vcc, s16, v10
	s_or_b64 s[20:21], vcc, s[20:21]
	s_andn2_b64 exec, exec, s[20:21]
	s_cbranch_execnz .LBB13_15
; %bb.16:                               ;   in Loop: Header=BB13_13 Depth=1
	s_or_b64 exec, exec, s[20:21]
.LBB13_17:                              ;   in Loop: Header=BB13_13 Depth=1
	s_or_b64 exec, exec, s[18:19]
	;;#ASMSTART
	v_max_f32 v9, v8, v8 quad_perm:[1,0,3,2] row_mask:0xf bank_mask:0xf bound_ctrl:1
	;;#ASMEND
	;;#ASMSTART
	v_max_f32 v10, v9, v9 quad_perm:[2,3,0,1] row_mask:0xf bank_mask:0xf bound_ctrl:1
	;;#ASMEND
	;;#ASMSTART
	v_max_f32 v9, v10, v10 row_half_mirror row_mask:0xf bank_mask:0xf bound_ctrl:1
	;;#ASMEND
	;;#ASMSTART
	v_max_f32 v10, v9, v9 row_mirror row_mask:0xf bank_mask:0xf bound_ctrl:1
	;;#ASMEND
	;;#ASMSTART
	v_max_f32 v9, v10, v10 row_ror:4 row_mask:0xf bank_mask:0xf bound_ctrl:1
	;;#ASMEND
	;;#ASMSTART
	v_max_f32 v10, v9, v9 row_ror:8 row_mask:0xf bank_mask:0xf bound_ctrl:1
	;;#ASMEND
	;;#ASMSTART
	v_max_f32 v9, v10, v10 row_bcast:15 row_mask:0xf bank_mask:0xf bound_ctrl:1
	;;#ASMEND
	;;#ASMSTART
	v_max_f32 v10, v9, v9 row_bcast:31 row_mask:0xf bank_mask:0xf bound_ctrl:1
	;;#ASMEND
	ds_bpermute_b32 v9, v5, v10
	s_waitcnt lgkmcnt(0)
	v_cmp_eq_f32_e32 vcc, v8, v9
	s_ff1_i32_b64 s18, vcc
	s_cmp_lg_u64 vcc, 0
	s_cselect_b32 s18, s18, 0
	s_and_b64 vcc, exec, s[8:9]
	v_readlane_b32 s18, v7, s18
	s_cbranch_vccz .LBB13_12
; %bb.18:                               ;   in Loop: Header=BB13_13 Depth=1
	s_ashr_i32 s19, s18, 31
	s_lshl_b64 s[20:21], s[18:19], 2
	s_add_u32 s20, s10, s20
	s_addc_u32 s21, s11, s21
	s_load_dword s19, s[20:21], 0x0
	s_waitcnt lgkmcnt(0)
	v_subrev_f32_e32 v9, s19, v9
	s_branch .LBB13_12
.LBB13_19:
	v_mov_b32_e32 v2, 0
	v_mov_b32_e32 v4, 0
.LBB13_20:
	v_cmp_gt_i32_e32 vcc, s17, v0
	s_and_saveexec_b64 s[0:1], vcc
	s_cbranch_execz .LBB13_23
; %bb.21:
	s_load_dword s2, s[4:5], 0x34
	v_max_f32_e32 v1, v4, v4
	v_max_f32_e32 v1, 0x1e3ce508, v1
	s_load_dword s3, s[4:5], 0x44
	s_waitcnt lgkmcnt(0)
	v_div_scale_f32 v4, s[0:1], v1, v1, s2
	s_load_dwordx2 s[0:1], s[4:5], 0x20
	v_rcp_f32_e32 v5, v4
	v_div_scale_f32 v6, vcc, s2, v1, s2
	s_and_b32 s3, s3, 0xffff
	v_fma_f32 v7, -v4, v5, 1.0
	v_fmac_f32_e32 v5, v7, v5
	v_mul_f32_e32 v7, v6, v5
	v_fma_f32 v8, -v4, v7, v6
	v_fmac_f32_e32 v7, v8, v5
	v_fma_f32 v4, -v4, v7, v6
	v_div_fmas_f32 v4, v4, v5, v7
	v_div_fixup_f32 v1, v4, v1, s2
	s_ashr_i32 s2, s6, 31
	s_waitcnt lgkmcnt(0)
	s_mul_i32 s1, s6, s1
	s_mul_hi_u32 s4, s6, s0
	s_add_i32 s1, s4, s1
	s_mul_i32 s2, s2, s0
	s_add_i32 s4, s1, s2
	v_mul_f32_e32 v1, v3, v1
	s_mul_i32 s2, s6, s0
	s_mov_b64 s[0:1], 0
	v_mov_b32_e32 v3, s4
	v_mov_b32_e32 v4, s13
	;; [unrolled: 1-line block ×3, first 2 shown]
.LBB13_22:                              ; =>This Inner Loop Header: Depth=1
	v_ashrrev_i32_e32 v7, 31, v0
	v_add_co_u32_e32 v6, vcc, s2, v0
	v_addc_co_u32_e32 v7, vcc, v3, v7, vcc
	v_add_u32_e32 v0, s3, v0
	v_cmp_le_i32_e32 vcc, s17, v0
	v_lshlrev_b64 v[6:7], 2, v[6:7]
	s_or_b64 s[0:1], vcc, s[0:1]
	v_add_co_u32_e32 v8, vcc, s12, v6
	v_addc_co_u32_e32 v9, vcc, v4, v7, vcc
	v_add_co_u32_e32 v6, vcc, s14, v6
	v_addc_co_u32_e32 v7, vcc, v5, v7, vcc
	global_store_dword v[8:9], v1, off
	global_store_dword v[6:7], v2, off
	s_andn2_b64 exec, exec, s[0:1]
	s_cbranch_execnz .LBB13_22
.LBB13_23:
	s_endpgm
	.section	.rodata,"a",@progbits
	.p2align	6, 0x0
	.amdhsa_kernel _ZN5aiter20topk_softplus_kernelIffDv1_fLb1ELi1EEEvPKT_PKT0_PfPimiiif
		.amdhsa_group_segment_fixed_size 0
		.amdhsa_private_segment_fixed_size 0
		.amdhsa_kernarg_size 312
		.amdhsa_user_sgpr_count 6
		.amdhsa_user_sgpr_private_segment_buffer 1
		.amdhsa_user_sgpr_dispatch_ptr 0
		.amdhsa_user_sgpr_queue_ptr 0
		.amdhsa_user_sgpr_kernarg_segment_ptr 1
		.amdhsa_user_sgpr_dispatch_id 0
		.amdhsa_user_sgpr_flat_scratch_init 0
		.amdhsa_user_sgpr_kernarg_preload_length 0
		.amdhsa_user_sgpr_kernarg_preload_offset 0
		.amdhsa_user_sgpr_private_segment_size 0
		.amdhsa_uses_dynamic_stack 0
		.amdhsa_system_sgpr_private_segment_wavefront_offset 0
		.amdhsa_system_sgpr_workgroup_id_x 1
		.amdhsa_system_sgpr_workgroup_id_y 0
		.amdhsa_system_sgpr_workgroup_id_z 0
		.amdhsa_system_sgpr_workgroup_info 0
		.amdhsa_system_vgpr_workitem_id 0
		.amdhsa_next_free_vgpr 12
		.amdhsa_next_free_sgpr 24
		.amdhsa_accum_offset 12
		.amdhsa_reserve_vcc 1
		.amdhsa_reserve_flat_scratch 0
		.amdhsa_float_round_mode_32 0
		.amdhsa_float_round_mode_16_64 0
		.amdhsa_float_denorm_mode_32 3
		.amdhsa_float_denorm_mode_16_64 3
		.amdhsa_dx10_clamp 1
		.amdhsa_ieee_mode 1
		.amdhsa_fp16_overflow 0
		.amdhsa_tg_split 0
		.amdhsa_exception_fp_ieee_invalid_op 0
		.amdhsa_exception_fp_denorm_src 0
		.amdhsa_exception_fp_ieee_div_zero 0
		.amdhsa_exception_fp_ieee_overflow 0
		.amdhsa_exception_fp_ieee_underflow 0
		.amdhsa_exception_fp_ieee_inexact 0
		.amdhsa_exception_int_div_zero 0
	.end_amdhsa_kernel
	.section	.text._ZN5aiter20topk_softplus_kernelIffDv1_fLb1ELi1EEEvPKT_PKT0_PfPimiiif,"axG",@progbits,_ZN5aiter20topk_softplus_kernelIffDv1_fLb1ELi1EEEvPKT_PKT0_PfPimiiif,comdat
.Lfunc_end13:
	.size	_ZN5aiter20topk_softplus_kernelIffDv1_fLb1ELi1EEEvPKT_PKT0_PfPimiiif, .Lfunc_end13-_ZN5aiter20topk_softplus_kernelIffDv1_fLb1ELi1EEEvPKT_PKT0_PfPimiiif
                                        ; -- End function
	.section	.AMDGPU.csdata,"",@progbits
; Kernel info:
; codeLenInByte = 1260
; NumSgprs: 28
; NumVgprs: 12
; NumAgprs: 0
; TotalNumVgprs: 12
; ScratchSize: 0
; MemoryBound: 0
; FloatMode: 240
; IeeeMode: 1
; LDSByteSize: 0 bytes/workgroup (compile time only)
; SGPRBlocks: 3
; VGPRBlocks: 1
; NumSGPRsForWavesPerEU: 28
; NumVGPRsForWavesPerEU: 12
; AccumOffset: 12
; Occupancy: 8
; WaveLimiterHint : 0
; COMPUTE_PGM_RSRC2:SCRATCH_EN: 0
; COMPUTE_PGM_RSRC2:USER_SGPR: 6
; COMPUTE_PGM_RSRC2:TRAP_HANDLER: 0
; COMPUTE_PGM_RSRC2:TGID_X_EN: 1
; COMPUTE_PGM_RSRC2:TGID_Y_EN: 0
; COMPUTE_PGM_RSRC2:TGID_Z_EN: 0
; COMPUTE_PGM_RSRC2:TIDIG_COMP_CNT: 0
; COMPUTE_PGM_RSRC3_GFX90A:ACCUM_OFFSET: 2
; COMPUTE_PGM_RSRC3_GFX90A:TG_SPLIT: 0
	.section	.text._ZN5aiter20topk_softplus_kernelIffDv1_fLb0ELi1EEEvPKT_PKT0_PfPimiiif,"axG",@progbits,_ZN5aiter20topk_softplus_kernelIffDv1_fLb0ELi1EEEvPKT_PKT0_PfPimiiif,comdat
	.protected	_ZN5aiter20topk_softplus_kernelIffDv1_fLb0ELi1EEEvPKT_PKT0_PfPimiiif ; -- Begin function _ZN5aiter20topk_softplus_kernelIffDv1_fLb0ELi1EEEvPKT_PKT0_PfPimiiif
	.globl	_ZN5aiter20topk_softplus_kernelIffDv1_fLb0ELi1EEEvPKT_PKT0_PfPimiiif
	.p2align	8
	.type	_ZN5aiter20topk_softplus_kernelIffDv1_fLb0ELi1EEEvPKT_PKT0_PfPimiiif,@function
_ZN5aiter20topk_softplus_kernelIffDv1_fLb0ELi1EEEvPKT_PKT0_PfPimiiif: ; @_ZN5aiter20topk_softplus_kernelIffDv1_fLb0ELi1EEEvPKT_PKT0_PfPimiiif
; %bb.0:
	s_load_dwordx2 s[16:17], s[4:5], 0x28
	s_load_dwordx8 s[8:15], s[4:5], 0x0
	v_lshl_add_u32 v1, v0, 2, 0
	s_waitcnt lgkmcnt(0)
	s_mul_i32 s2, s6, s16
	s_ashr_i32 s3, s2, 31
	s_lshl_b64 s[2:3], s[2:3], 2
	s_add_u32 s7, s8, s2
	v_cmp_gt_i32_e64 s[0:1], s16, v0
	s_addc_u32 s20, s9, s3
	s_and_saveexec_b64 s[8:9], s[0:1]
	s_cbranch_execz .LBB14_5
; %bb.1:
	s_load_dword s21, s[4:5], 0x44
	s_cmp_lg_u64 s[10:11], 0
	s_cselect_b64 s[2:3], -1, 0
	v_cndmask_b32_e64 v2, 0, 1, s[2:3]
	s_mov_b64 s[18:19], 0
	s_waitcnt lgkmcnt(0)
	s_and_b32 s21, s21, 0xffff
	v_lshl_add_u32 v6, v0, 2, 0
	s_lshl_b32 s22, s21, 2
	v_mov_b32_e32 v7, s20
	s_mov_b32 s23, 0xc2fc0000
	v_mov_b32_e32 v8, 0x42800000
	v_mov_b32_e32 v9, 0x1f800000
	v_cmp_ne_u32_e64 s[2:3], 1, v2
	v_mov_b32_e32 v2, v0
	s_branch .LBB14_3
.LBB14_2:                               ;   in Loop: Header=BB14_3 Depth=1
	v_add_u32_e32 v2, s21, v2
	v_cmp_le_i32_e32 vcc, s16, v2
	ds_write_b32 v6, v3
	s_or_b64 s[18:19], vcc, s[18:19]
	v_add_u32_e32 v6, s22, v6
	s_andn2_b64 exec, exec, s[18:19]
	s_cbranch_execz .LBB14_5
.LBB14_3:                               ; =>This Inner Loop Header: Depth=1
	v_ashrrev_i32_e32 v3, 31, v2
	v_lshlrev_b64 v[4:5], 2, v[2:3]
	v_add_co_u32_e32 v10, vcc, s7, v4
	v_addc_co_u32_e32 v11, vcc, v7, v5, vcc
	global_load_dword v3, v[10:11], off
	s_waitcnt vmcnt(0)
	v_mul_f32_e32 v10, 0xbfb8aa3b, v3
	v_cmp_gt_f32_e32 vcc, s23, v10
	v_cndmask_b32_e32 v10, 0, v8, vcc
	v_fmac_f32_e32 v10, 0xbfb8aa3b, v3
	v_exp_f32_e32 v3, v10
	v_cndmask_b32_e32 v10, 1.0, v9, vcc
	s_and_b64 vcc, exec, s[2:3]
	v_fma_f32 v3, v3, v10, 1.0
	v_rcp_f32_e32 v3, v3
	s_cbranch_vccnz .LBB14_2
; %bb.4:                                ;   in Loop: Header=BB14_3 Depth=1
	v_mov_b32_e32 v10, s11
	v_add_co_u32_e32 v4, vcc, s10, v4
	v_addc_co_u32_e32 v5, vcc, v10, v5, vcc
	global_load_dword v4, v[4:5], off
	s_waitcnt vmcnt(0)
	v_add_f32_e32 v3, v3, v4
	s_branch .LBB14_2
.LBB14_5:
	s_or_b64 exec, exec, s[8:9]
	v_add_u32_e32 v2, s16, v0
	v_cmp_gt_i32_e32 vcc, s16, v2
	s_and_saveexec_b64 s[8:9], vcc
	s_cbranch_execz .LBB14_10
; %bb.6:
	s_load_dword s21, s[4:5], 0x44
	s_cmp_lg_u64 s[10:11], 0
	s_cselect_b64 s[2:3], -1, 0
	v_cndmask_b32_e64 v3, 0, 1, s[2:3]
	s_mov_b64 s[18:19], 0
	s_waitcnt lgkmcnt(0)
	s_and_b32 s21, s21, 0xffff
	v_lshl_add_u32 v6, v2, 2, 0
	s_lshl_b32 s22, s21, 2
	v_mov_b32_e32 v7, s20
	s_mov_b32 s20, 0xc2fc0000
	v_mov_b32_e32 v8, 0x42800000
	v_mov_b32_e32 v9, 0x1f800000
	v_cmp_ne_u32_e64 s[2:3], 1, v3
	s_branch .LBB14_8
.LBB14_7:                               ;   in Loop: Header=BB14_8 Depth=1
	v_add_u32_e32 v2, s21, v2
	v_cmp_le_i32_e32 vcc, s16, v2
	s_or_b64 s[18:19], vcc, s[18:19]
	v_add_u32_e32 v6, s22, v6
	s_andn2_b64 exec, exec, s[18:19]
	s_cbranch_execz .LBB14_10
.LBB14_8:                               ; =>This Inner Loop Header: Depth=1
	v_ashrrev_i32_e32 v3, 31, v2
	v_lshlrev_b64 v[4:5], 2, v[2:3]
	v_add_co_u32_e32 v10, vcc, s7, v4
	v_addc_co_u32_e32 v11, vcc, v7, v5, vcc
	global_load_dword v3, v[10:11], off
	s_waitcnt vmcnt(0)
	v_mul_f32_e32 v10, 0xbfb8aa3b, v3
	v_cmp_gt_f32_e32 vcc, s20, v10
	v_cndmask_b32_e32 v10, 0, v8, vcc
	v_fmac_f32_e32 v10, 0xbfb8aa3b, v3
	v_exp_f32_e32 v3, v10
	v_cndmask_b32_e32 v10, 1.0, v9, vcc
	s_and_b64 vcc, exec, s[2:3]
	v_fma_f32 v3, v3, v10, 1.0
	v_rcp_f32_e32 v3, v3
	ds_write_b32 v6, v3
	s_cbranch_vccnz .LBB14_7
; %bb.9:                                ;   in Loop: Header=BB14_8 Depth=1
	v_mov_b32_e32 v10, s11
	v_add_co_u32_e32 v4, vcc, s10, v4
	v_addc_co_u32_e32 v5, vcc, v10, v5, vcc
	global_load_dword v4, v[4:5], off
	s_waitcnt vmcnt(0)
	v_add_f32_e32 v3, v3, v4
	ds_write_b32 v6, v3
	s_branch .LBB14_7
.LBB14_10:
	s_or_b64 exec, exec, s[8:9]
	s_cmp_lt_i32 s17, 1
	s_waitcnt lgkmcnt(0)
	s_barrier
	s_cbranch_scc1 .LBB14_19
; %bb.11:
	s_add_u32 s2, s4, 56
	s_addc_u32 s3, s5, 0
	v_mbcnt_lo_u32_b32 v4, -1, 0
	s_cmp_lg_u64 s[10:11], 0
	v_mbcnt_hi_u32_b32 v4, -1, v4
	v_bfrev_b32_e32 v5, 0.5
	s_cselect_b64 s[8:9], -1, 0
	s_mov_b32 s7, 0
	v_mov_b32_e32 v2, 0
	v_mov_b32_e32 v3, 0
	v_lshl_or_b32 v4, v4, 2, v5
	v_mov_b32_e32 v5, 0xff800000
	s_branch .LBB14_13
.LBB14_12:                              ;   in Loop: Header=BB14_13 Depth=1
	s_lshl_b32 s19, s18, 2
	s_add_i32 s19, s19, 0
	v_mov_b32_e32 v6, s19
	ds_write_b32 v6, v5
	v_mov_b32_e32 v6, s18
	v_cmp_eq_u32_e32 vcc, s7, v0
	s_add_i32 s7, s7, 1
	v_cndmask_b32_e32 v2, v2, v6, vcc
	s_cmp_eq_u32 s7, s17
	v_cndmask_b32_e32 v3, v3, v8, vcc
	s_cbranch_scc1 .LBB14_20
.LBB14_13:                              ; =>This Loop Header: Depth=1
                                        ;     Child Loop BB14_15 Depth 2
	v_mov_b32_e32 v6, s7
	v_mov_b32_e32 v7, 0xff800000
	s_and_saveexec_b64 s[18:19], s[0:1]
	s_cbranch_execz .LBB14_17
; %bb.14:                               ;   in Loop: Header=BB14_13 Depth=1
	s_load_dword s22, s[2:3], 0xc
	s_mov_b64 s[20:21], 0
	v_mov_b32_e32 v6, s7
	v_mov_b32_e32 v7, 0xff800000
	v_mov_b32_e32 v8, v1
	s_waitcnt lgkmcnt(0)
	s_and_b32 s22, s22, 0xffff
	s_lshl_b32 s23, s22, 2
	v_mov_b32_e32 v9, v0
.LBB14_15:                              ;   Parent Loop BB14_13 Depth=1
                                        ; =>  This Inner Loop Header: Depth=2
	ds_read_b32 v10, v8
	v_add_u32_e32 v8, s23, v8
	s_waitcnt lgkmcnt(0)
	v_cmp_gt_f32_e32 vcc, v10, v7
	v_cndmask_b32_e32 v6, v6, v9, vcc
	v_add_u32_e32 v9, s22, v9
	v_cndmask_b32_e32 v7, v7, v10, vcc
	v_cmp_le_i32_e32 vcc, s16, v9
	s_or_b64 s[20:21], vcc, s[20:21]
	s_andn2_b64 exec, exec, s[20:21]
	s_cbranch_execnz .LBB14_15
; %bb.16:                               ;   in Loop: Header=BB14_13 Depth=1
	s_or_b64 exec, exec, s[20:21]
.LBB14_17:                              ;   in Loop: Header=BB14_13 Depth=1
	s_or_b64 exec, exec, s[18:19]
	;;#ASMSTART
	v_max_f32 v8, v7, v7 quad_perm:[1,0,3,2] row_mask:0xf bank_mask:0xf bound_ctrl:1
	;;#ASMEND
	;;#ASMSTART
	v_max_f32 v9, v8, v8 quad_perm:[2,3,0,1] row_mask:0xf bank_mask:0xf bound_ctrl:1
	;;#ASMEND
	;;#ASMSTART
	v_max_f32 v8, v9, v9 row_half_mirror row_mask:0xf bank_mask:0xf bound_ctrl:1
	;;#ASMEND
	;;#ASMSTART
	v_max_f32 v9, v8, v8 row_mirror row_mask:0xf bank_mask:0xf bound_ctrl:1
	;;#ASMEND
	;;#ASMSTART
	v_max_f32 v8, v9, v9 row_ror:4 row_mask:0xf bank_mask:0xf bound_ctrl:1
	;;#ASMEND
	;;#ASMSTART
	v_max_f32 v9, v8, v8 row_ror:8 row_mask:0xf bank_mask:0xf bound_ctrl:1
	;;#ASMEND
	;;#ASMSTART
	v_max_f32 v8, v9, v9 row_bcast:15 row_mask:0xf bank_mask:0xf bound_ctrl:1
	;;#ASMEND
	;;#ASMSTART
	v_max_f32 v9, v8, v8 row_bcast:31 row_mask:0xf bank_mask:0xf bound_ctrl:1
	;;#ASMEND
	ds_bpermute_b32 v8, v4, v9
	s_waitcnt lgkmcnt(0)
	v_cmp_eq_f32_e32 vcc, v7, v8
	s_ff1_i32_b64 s18, vcc
	s_cmp_lg_u64 vcc, 0
	s_cselect_b32 s18, s18, 0
	s_and_b64 vcc, exec, s[8:9]
	v_readlane_b32 s18, v6, s18
	s_cbranch_vccz .LBB14_12
; %bb.18:                               ;   in Loop: Header=BB14_13 Depth=1
	s_ashr_i32 s19, s18, 31
	s_lshl_b64 s[20:21], s[18:19], 2
	s_add_u32 s20, s10, s20
	s_addc_u32 s21, s11, s21
	s_load_dword s19, s[20:21], 0x0
	s_waitcnt lgkmcnt(0)
	v_subrev_f32_e32 v8, s19, v8
	s_branch .LBB14_12
.LBB14_19:
	v_mov_b32_e32 v3, 0
	v_mov_b32_e32 v2, 0
.LBB14_20:
	v_cmp_gt_i32_e32 vcc, s17, v0
	s_and_saveexec_b64 s[0:1], vcc
	s_cbranch_execz .LBB14_23
; %bb.21:
	s_load_dword s2, s[4:5], 0x34
	s_load_dwordx2 s[0:1], s[4:5], 0x20
	s_ashr_i32 s3, s6, 31
	s_load_dword s4, s[4:5], 0x44
	v_mov_b32_e32 v4, s13
	s_waitcnt lgkmcnt(0)
	v_mul_f32_e32 v1, s2, v3
	s_mul_i32 s1, s6, s1
	s_mul_hi_u32 s2, s6, s0
	s_add_i32 s1, s2, s1
	s_mul_i32 s3, s3, s0
	s_add_i32 s5, s1, s3
	s_mul_i32 s2, s6, s0
	s_and_b32 s3, s4, 0xffff
	s_mov_b64 s[0:1], 0
	v_mov_b32_e32 v3, s5
	v_mov_b32_e32 v5, s15
.LBB14_22:                              ; =>This Inner Loop Header: Depth=1
	v_ashrrev_i32_e32 v7, 31, v0
	v_add_co_u32_e32 v6, vcc, s2, v0
	v_addc_co_u32_e32 v7, vcc, v3, v7, vcc
	v_add_u32_e32 v0, s3, v0
	v_cmp_le_i32_e32 vcc, s17, v0
	v_lshlrev_b64 v[6:7], 2, v[6:7]
	s_or_b64 s[0:1], vcc, s[0:1]
	v_add_co_u32_e32 v8, vcc, s12, v6
	v_addc_co_u32_e32 v9, vcc, v4, v7, vcc
	v_add_co_u32_e32 v6, vcc, s14, v6
	v_addc_co_u32_e32 v7, vcc, v5, v7, vcc
	global_store_dword v[8:9], v1, off
	global_store_dword v[6:7], v2, off
	s_andn2_b64 exec, exec, s[0:1]
	s_cbranch_execnz .LBB14_22
.LBB14_23:
	s_endpgm
	.section	.rodata,"a",@progbits
	.p2align	6, 0x0
	.amdhsa_kernel _ZN5aiter20topk_softplus_kernelIffDv1_fLb0ELi1EEEvPKT_PKT0_PfPimiiif
		.amdhsa_group_segment_fixed_size 0
		.amdhsa_private_segment_fixed_size 0
		.amdhsa_kernarg_size 312
		.amdhsa_user_sgpr_count 6
		.amdhsa_user_sgpr_private_segment_buffer 1
		.amdhsa_user_sgpr_dispatch_ptr 0
		.amdhsa_user_sgpr_queue_ptr 0
		.amdhsa_user_sgpr_kernarg_segment_ptr 1
		.amdhsa_user_sgpr_dispatch_id 0
		.amdhsa_user_sgpr_flat_scratch_init 0
		.amdhsa_user_sgpr_kernarg_preload_length 0
		.amdhsa_user_sgpr_kernarg_preload_offset 0
		.amdhsa_user_sgpr_private_segment_size 0
		.amdhsa_uses_dynamic_stack 0
		.amdhsa_system_sgpr_private_segment_wavefront_offset 0
		.amdhsa_system_sgpr_workgroup_id_x 1
		.amdhsa_system_sgpr_workgroup_id_y 0
		.amdhsa_system_sgpr_workgroup_id_z 0
		.amdhsa_system_sgpr_workgroup_info 0
		.amdhsa_system_vgpr_workitem_id 0
		.amdhsa_next_free_vgpr 12
		.amdhsa_next_free_sgpr 24
		.amdhsa_accum_offset 12
		.amdhsa_reserve_vcc 1
		.amdhsa_reserve_flat_scratch 0
		.amdhsa_float_round_mode_32 0
		.amdhsa_float_round_mode_16_64 0
		.amdhsa_float_denorm_mode_32 3
		.amdhsa_float_denorm_mode_16_64 3
		.amdhsa_dx10_clamp 1
		.amdhsa_ieee_mode 1
		.amdhsa_fp16_overflow 0
		.amdhsa_tg_split 0
		.amdhsa_exception_fp_ieee_invalid_op 0
		.amdhsa_exception_fp_denorm_src 0
		.amdhsa_exception_fp_ieee_div_zero 0
		.amdhsa_exception_fp_ieee_overflow 0
		.amdhsa_exception_fp_ieee_underflow 0
		.amdhsa_exception_fp_ieee_inexact 0
		.amdhsa_exception_int_div_zero 0
	.end_amdhsa_kernel
	.section	.text._ZN5aiter20topk_softplus_kernelIffDv1_fLb0ELi1EEEvPKT_PKT0_PfPimiiif,"axG",@progbits,_ZN5aiter20topk_softplus_kernelIffDv1_fLb0ELi1EEEvPKT_PKT0_PfPimiiif,comdat
.Lfunc_end14:
	.size	_ZN5aiter20topk_softplus_kernelIffDv1_fLb0ELi1EEEvPKT_PKT0_PfPimiiif, .Lfunc_end14-_ZN5aiter20topk_softplus_kernelIffDv1_fLb0ELi1EEEvPKT_PKT0_PfPimiiif
                                        ; -- End function
	.section	.AMDGPU.csdata,"",@progbits
; Kernel info:
; codeLenInByte = 1160
; NumSgprs: 28
; NumVgprs: 12
; NumAgprs: 0
; TotalNumVgprs: 12
; ScratchSize: 0
; MemoryBound: 0
; FloatMode: 240
; IeeeMode: 1
; LDSByteSize: 0 bytes/workgroup (compile time only)
; SGPRBlocks: 3
; VGPRBlocks: 1
; NumSGPRsForWavesPerEU: 28
; NumVGPRsForWavesPerEU: 12
; AccumOffset: 12
; Occupancy: 8
; WaveLimiterHint : 0
; COMPUTE_PGM_RSRC2:SCRATCH_EN: 0
; COMPUTE_PGM_RSRC2:USER_SGPR: 6
; COMPUTE_PGM_RSRC2:TRAP_HANDLER: 0
; COMPUTE_PGM_RSRC2:TGID_X_EN: 1
; COMPUTE_PGM_RSRC2:TGID_Y_EN: 0
; COMPUTE_PGM_RSRC2:TGID_Z_EN: 0
; COMPUTE_PGM_RSRC2:TIDIG_COMP_CNT: 0
; COMPUTE_PGM_RSRC3_GFX90A:ACCUM_OFFSET: 2
; COMPUTE_PGM_RSRC3_GFX90A:TG_SPLIT: 0
	.section	.text._ZN5aiter20topk_softplus_kernelIffDv4_fLb1ELi2EEEvPKT_PKT0_PfPimiiif,"axG",@progbits,_ZN5aiter20topk_softplus_kernelIffDv4_fLb1ELi2EEEvPKT_PKT0_PfPimiiif,comdat
	.protected	_ZN5aiter20topk_softplus_kernelIffDv4_fLb1ELi2EEEvPKT_PKT0_PfPimiiif ; -- Begin function _ZN5aiter20topk_softplus_kernelIffDv4_fLb1ELi2EEEvPKT_PKT0_PfPimiiif
	.globl	_ZN5aiter20topk_softplus_kernelIffDv4_fLb1ELi2EEEvPKT_PKT0_PfPimiiif
	.p2align	8
	.type	_ZN5aiter20topk_softplus_kernelIffDv4_fLb1ELi2EEEvPKT_PKT0_PfPimiiif,@function
_ZN5aiter20topk_softplus_kernelIffDv4_fLb1ELi2EEEvPKT_PKT0_PfPimiiif: ; @_ZN5aiter20topk_softplus_kernelIffDv4_fLb1ELi2EEEvPKT_PKT0_PfPimiiif
; %bb.0:
	s_load_dwordx2 s[16:17], s[4:5], 0x28
	s_load_dwordx8 s[8:15], s[4:5], 0x0
	s_waitcnt lgkmcnt(0)
	s_ashr_i32 s0, s16, 31
	s_lshr_b32 s0, s0, 30
	s_add_i32 s0, s16, s0
	s_mul_i32 s2, s6, s16
	s_ashr_i32 s7, s0, 2
	s_ashr_i32 s3, s2, 31
	v_cmp_gt_i32_e64 s[0:1], s7, v0
	s_and_saveexec_b64 s[18:19], s[0:1]
	s_cbranch_execz .LBB15_3
; %bb.1:
	s_load_dword s22, s[4:5], 0x44
	s_lshl_b64 s[20:21], s[2:3], 2
	v_lshlrev_b32_e32 v1, 4, v0
	s_mov_b32 s24, 0
	v_mov_b32_e32 v4, s24
	s_waitcnt lgkmcnt(0)
	s_and_b32 s22, s22, 0xffff
	s_add_u32 s20, s8, s20
	s_addc_u32 s21, s9, s21
	v_mov_b32_e32 v3, s21
	v_add_co_u32_e32 v2, vcc, s20, v1
	v_addc_co_u32_e32 v3, vcc, 0, v3, vcc
	s_lshl_b32 s23, s22, 4
	v_add_u32_e32 v1, 0, v1
	s_mov_b64 s[20:21], 0
	v_mov_b32_e32 v5, v0
.LBB15_2:                               ; =>This Inner Loop Header: Depth=1
	global_load_dwordx4 v[6:9], v[2:3], off
	v_add_co_u32_e32 v2, vcc, s23, v2
	v_add_u32_e32 v5, s22, v5
	v_addc_co_u32_e32 v3, vcc, v3, v4, vcc
	v_cmp_le_i32_e32 vcc, s7, v5
	s_or_b64 s[20:21], vcc, s[20:21]
	s_waitcnt vmcnt(0)
	ds_write_b128 v1, v[6:9]
	v_add_u32_e32 v1, s23, v1
	s_andn2_b64 exec, exec, s[20:21]
	s_cbranch_execnz .LBB15_2
.LBB15_3:
	s_or_b64 exec, exec, s[18:19]
	v_lshl_add_u32 v2, s7, 2, v0
	v_cmp_gt_i32_e32 vcc, s16, v2
	s_and_saveexec_b64 s[18:19], vcc
	s_cbranch_execz .LBB15_6
; %bb.4:
	s_load_dword s20, s[4:5], 0x44
	s_lshl_b64 s[2:3], s[2:3], 2
	s_add_u32 s8, s8, s2
	s_addc_u32 s21, s9, s3
	s_lshl_b32 s2, s7, 4
	s_waitcnt lgkmcnt(0)
	s_and_b32 s9, s20, 0xffff
	s_add_i32 s2, s2, 0
	v_lshl_add_u32 v1, v0, 2, s2
	s_lshl_b32 s20, s9, 2
	s_mov_b64 s[2:3], 0
	v_mov_b32_e32 v4, s21
.LBB15_5:                               ; =>This Inner Loop Header: Depth=1
	v_ashrrev_i32_e32 v3, 31, v2
	v_lshlrev_b64 v[6:7], 2, v[2:3]
	v_add_co_u32_e32 v6, vcc, s8, v6
	v_addc_co_u32_e32 v7, vcc, v4, v7, vcc
	global_load_dword v3, v[6:7], off
	v_add_u32_e32 v2, s9, v2
	v_cmp_le_i32_e32 vcc, s16, v2
	s_or_b64 s[2:3], vcc, s[2:3]
	s_waitcnt vmcnt(0)
	ds_write_b32 v1, v3
	v_add_u32_e32 v1, s20, v1
	s_andn2_b64 exec, exec, s[2:3]
	s_cbranch_execnz .LBB15_5
.LBB15_6:
	s_or_b64 exec, exec, s[18:19]
	v_cmp_gt_i32_e32 vcc, s16, v0
	v_mov_b32_e32 v1, 0xff800000
	s_waitcnt lgkmcnt(0)
	s_barrier
	s_and_saveexec_b64 s[8:9], vcc
	s_cbranch_execz .LBB15_10
; %bb.7:
	s_load_dword s2, s[4:5], 0x44
	v_lshl_add_u32 v2, v0, 2, 0
	s_mov_b64 s[18:19], 0
	v_mov_b32_e32 v1, 0xff800000
	v_mov_b32_e32 v3, v0
	s_waitcnt lgkmcnt(0)
	s_and_b32 s20, s2, 0xffff
	s_lshl_b32 s21, s20, 2
.LBB15_8:                               ; =>This Inner Loop Header: Depth=1
	ds_read_b32 v4, v2
	v_add_u32_e32 v3, s20, v3
	v_max_f32_e32 v1, v1, v1
	v_cmp_le_i32_e64 s[2:3], s16, v3
	v_add_u32_e32 v2, s21, v2
	s_waitcnt lgkmcnt(0)
	v_max_f32_e32 v4, v4, v4
	s_or_b64 s[18:19], s[2:3], s[18:19]
	v_max_f32_e32 v1, v1, v4
	s_andn2_b64 exec, exec, s[18:19]
	s_cbranch_execnz .LBB15_8
; %bb.9:
	s_or_b64 exec, exec, s[18:19]
.LBB15_10:
	s_or_b64 exec, exec, s[8:9]
	;;#ASMSTART
	v_max_f32 v2, v1, v1 quad_perm:[1,0,3,2] row_mask:0xf bank_mask:0xf bound_ctrl:1
	;;#ASMEND
	;;#ASMSTART
	v_max_f32 v1, v2, v2 quad_perm:[2,3,0,1] row_mask:0xf bank_mask:0xf bound_ctrl:1
	;;#ASMEND
	;;#ASMSTART
	v_max_f32 v2, v1, v1 row_half_mirror row_mask:0xf bank_mask:0xf bound_ctrl:1
	;;#ASMEND
	;;#ASMSTART
	v_max_f32 v1, v2, v2 row_mirror row_mask:0xf bank_mask:0xf bound_ctrl:1
	;;#ASMEND
	;;#ASMSTART
	v_max_f32 v2, v1, v1 row_ror:4 row_mask:0xf bank_mask:0xf bound_ctrl:1
	;;#ASMEND
	;;#ASMSTART
	v_max_f32 v1, v2, v2 row_ror:8 row_mask:0xf bank_mask:0xf bound_ctrl:1
	;;#ASMEND
	;;#ASMSTART
	v_max_f32 v2, v1, v1 row_bcast:15 row_mask:0xf bank_mask:0xf bound_ctrl:1
	;;#ASMEND
	v_mbcnt_lo_u32_b32 v1, -1, 0
	;;#ASMSTART
	v_max_f32 v3, v2, v2 row_bcast:31 row_mask:0xf bank_mask:0xf bound_ctrl:1
	;;#ASMEND
	v_mbcnt_hi_u32_b32 v1, -1, v1
	v_bfrev_b32_e32 v2, 0.5
	v_lshl_or_b32 v1, v1, 2, v2
	ds_bpermute_b32 v3, v1, v3
	v_mov_b32_e32 v2, 0
	s_and_saveexec_b64 s[18:19], vcc
	s_cbranch_execz .LBB15_14
; %bb.11:
	s_load_dword s2, s[4:5], 0x44
	v_lshl_add_u32 v4, v0, 2, 0
	s_mov_b64 s[20:21], 0
	v_mov_b32_e32 v2, 0
	s_mov_b32 s22, 0xc2fc0000
	s_waitcnt lgkmcnt(0)
	s_and_b32 s23, s2, 0xffff
	s_lshl_b32 s24, s23, 2
	v_mov_b32_e32 v5, 0x42800000
	v_mov_b32_e32 v6, 0x1f800000
	;; [unrolled: 1-line block ×3, first 2 shown]
.LBB15_12:                              ; =>This Inner Loop Header: Depth=1
	ds_read_b32 v8, v4
	v_add_u32_e32 v7, s23, v7
	v_cmp_le_i32_e64 s[8:9], s16, v7
	s_or_b64 s[20:21], s[8:9], s[20:21]
	s_waitcnt lgkmcnt(0)
	v_sub_f32_e32 v8, v8, v3
	v_mul_f32_e32 v9, 0x3fb8aa3b, v8
	v_cmp_gt_f32_e64 s[2:3], s22, v9
	v_cndmask_b32_e64 v9, 0, v5, s[2:3]
	v_fmac_f32_e32 v9, 0x3fb8aa3b, v8
	v_exp_f32_e32 v8, v9
	v_cndmask_b32_e64 v9, 1.0, v6, s[2:3]
	v_mul_f32_e32 v10, v8, v9
	v_fmac_f32_e32 v2, v8, v9
	ds_write_b32 v4, v10
	v_add_u32_e32 v4, s24, v4
	s_andn2_b64 exec, exec, s[20:21]
	s_cbranch_execnz .LBB15_12
; %bb.13:
	s_or_b64 exec, exec, s[20:21]
.LBB15_14:
	s_or_b64 exec, exec, s[18:19]
	s_waitcnt lgkmcnt(0)
	v_mov_b32_dpp v3, v2 quad_perm:[1,0,3,2] row_mask:0xf bank_mask:0xf
	v_add_f32_e32 v2, v2, v3
	s_nop 1
	v_mov_b32_dpp v3, v2 quad_perm:[2,3,0,1] row_mask:0xf bank_mask:0xf
	v_add_f32_e32 v2, v2, v3
	s_nop 1
	v_mov_b32_dpp v3, v2 row_half_mirror row_mask:0xf bank_mask:0xf
	v_add_f32_e32 v2, v2, v3
	s_nop 1
	v_mov_b32_dpp v3, v2 row_mirror row_mask:0xf bank_mask:0xf
	v_add_f32_e32 v2, v2, v3
	s_nop 1
	v_mov_b32_dpp v3, v2 row_bcast:15 row_mask:0xf bank_mask:0xf
	v_add_f32_e32 v2, v2, v3
	s_nop 1
	v_mov_b32_dpp v3, v2 row_bcast:31 row_mask:0xf bank_mask:0xf
	v_add_f32_e32 v2, v2, v3
	ds_bpermute_b32 v2, v1, v2
	s_and_saveexec_b64 s[8:9], vcc
	s_cbranch_execz .LBB15_19
; %bb.15:
	s_load_dword s20, s[4:5], 0x44
	s_waitcnt lgkmcnt(0)
	v_rcp_f32_e32 v4, v2
	s_cmp_lg_u64 s[10:11], 0
	s_cselect_b64 s[2:3], -1, 0
	v_cndmask_b32_e64 v2, 0, 1, s[2:3]
	s_and_b32 s20, s20, 0xffff
	s_mov_b64 s[18:19], 0
	v_lshl_add_u32 v5, v0, 2, 0
	s_lshl_b32 s21, s20, 2
	v_cmp_ne_u32_e64 s[2:3], 1, v2
	v_mov_b32_e32 v2, v0
	s_branch .LBB15_17
.LBB15_16:                              ;   in Loop: Header=BB15_17 Depth=1
	v_add_u32_e32 v2, s20, v2
	v_cmp_le_i32_e32 vcc, s16, v2
	s_or_b64 s[18:19], vcc, s[18:19]
	v_add_u32_e32 v5, s21, v5
	s_andn2_b64 exec, exec, s[18:19]
	s_cbranch_execz .LBB15_19
.LBB15_17:                              ; =>This Inner Loop Header: Depth=1
	ds_read_b32 v3, v5
	s_and_b64 vcc, exec, s[2:3]
	s_waitcnt lgkmcnt(0)
	v_mul_f32_e32 v6, v4, v3
	ds_write_b32 v5, v6
	s_cbranch_vccnz .LBB15_16
; %bb.18:                               ;   in Loop: Header=BB15_17 Depth=1
	v_ashrrev_i32_e32 v3, 31, v2
	v_lshlrev_b64 v[8:9], 2, v[2:3]
	v_mov_b32_e32 v3, s11
	v_add_co_u32_e32 v8, vcc, s10, v8
	v_addc_co_u32_e32 v9, vcc, v3, v9, vcc
	global_load_dword v3, v[8:9], off
	s_waitcnt vmcnt(0)
	v_add_f32_e32 v3, v6, v3
	ds_write_b32 v5, v3
	s_branch .LBB15_16
.LBB15_19:
	s_or_b64 exec, exec, s[8:9]
	s_cmp_lt_i32 s17, 1
	v_mov_b32_e32 v3, 0
	s_waitcnt lgkmcnt(0)
	s_barrier
	s_cbranch_scc1 .LBB15_28
; %bb.20:
	s_add_u32 s2, s4, 56
	s_addc_u32 s3, s5, 0
	s_cmp_lg_u64 s[10:11], 0
	s_cselect_b64 s[8:9], -1, 0
	v_lshlrev_b32_e32 v5, 2, v0
	v_lshl_add_u32 v6, v0, 4, 0
	s_mov_b32 s16, 0
	v_mov_b32_e32 v3, 0
	v_mov_b32_e32 v7, 0xff800000
	;; [unrolled: 1-line block ×4, first 2 shown]
	s_branch .LBB15_22
.LBB15_21:                              ;   in Loop: Header=BB15_22 Depth=1
	s_lshl_b32 s19, s18, 2
	s_add_i32 s19, s19, 0
	v_mov_b32_e32 v8, s19
	ds_write_b32 v8, v7
	v_mov_b32_e32 v8, s18
	v_cmp_eq_u32_e32 vcc, s16, v0
	s_add_i32 s16, s16, 1
	v_cndmask_b32_e32 v2, v2, v8, vcc
	v_cndmask_b32_e32 v3, v3, v10, vcc
	s_cmp_eq_u32 s16, s17
	v_add_f32_e32 v4, v4, v10
	s_cbranch_scc1 .LBB15_29
.LBB15_22:                              ; =>This Loop Header: Depth=1
                                        ;     Child Loop BB15_24 Depth 2
	v_mov_b32_e32 v8, s16
	v_mov_b32_e32 v9, 0xff800000
	s_and_saveexec_b64 s[18:19], s[0:1]
	s_cbranch_execz .LBB15_26
; %bb.23:                               ;   in Loop: Header=BB15_22 Depth=1
	s_load_dword s22, s[2:3], 0xc
	s_mov_b64 s[20:21], 0
	v_mov_b32_e32 v8, s16
	v_mov_b32_e32 v9, 0xff800000
	v_mov_b32_e32 v10, v6
	s_waitcnt lgkmcnt(0)
	s_and_b32 s22, s22, 0xffff
	s_lshl_b32 s23, s22, 2
	s_lshl_b32 s24, s22, 4
	v_mov_b32_e32 v11, v5
	v_mov_b32_e32 v12, v0
.LBB15_24:                              ;   Parent Loop BB15_22 Depth=1
                                        ; =>  This Inner Loop Header: Depth=2
	ds_read_b128 v[14:17], v10
	v_add_u32_e32 v12, s22, v12
	v_cmp_le_i32_e32 vcc, s7, v12
	s_or_b64 s[20:21], vcc, s[20:21]
	v_add_u32_e32 v13, 1, v11
	s_waitcnt lgkmcnt(0)
	v_cmp_gt_f32_e32 vcc, v14, v9
	v_cndmask_b32_e32 v9, v9, v14, vcc
	v_cndmask_b32_e32 v8, v8, v11, vcc
	v_cmp_gt_f32_e32 vcc, v15, v9
	v_cndmask_b32_e32 v9, v9, v15, vcc
	v_cndmask_b32_e32 v8, v8, v13, vcc
	v_cmp_gt_f32_e32 vcc, v16, v9
	v_add_u32_e32 v18, 2, v11
	v_cndmask_b32_e32 v9, v9, v16, vcc
	v_add_u32_e32 v19, 3, v11
	v_cndmask_b32_e32 v8, v8, v18, vcc
	v_cmp_gt_f32_e32 vcc, v17, v9
	v_add_u32_e32 v10, s24, v10
	v_add_u32_e32 v11, s23, v11
	v_cndmask_b32_e32 v9, v9, v17, vcc
	v_cndmask_b32_e32 v8, v8, v19, vcc
	s_andn2_b64 exec, exec, s[20:21]
	s_cbranch_execnz .LBB15_24
; %bb.25:                               ;   in Loop: Header=BB15_22 Depth=1
	s_or_b64 exec, exec, s[20:21]
.LBB15_26:                              ;   in Loop: Header=BB15_22 Depth=1
	s_or_b64 exec, exec, s[18:19]
	;;#ASMSTART
	v_max_f32 v10, v9, v9 quad_perm:[1,0,3,2] row_mask:0xf bank_mask:0xf bound_ctrl:1
	;;#ASMEND
	;;#ASMSTART
	v_max_f32 v11, v10, v10 quad_perm:[2,3,0,1] row_mask:0xf bank_mask:0xf bound_ctrl:1
	;;#ASMEND
	;;#ASMSTART
	v_max_f32 v10, v11, v11 row_half_mirror row_mask:0xf bank_mask:0xf bound_ctrl:1
	;;#ASMEND
	;;#ASMSTART
	v_max_f32 v11, v10, v10 row_mirror row_mask:0xf bank_mask:0xf bound_ctrl:1
	;;#ASMEND
	;;#ASMSTART
	v_max_f32 v10, v11, v11 row_ror:4 row_mask:0xf bank_mask:0xf bound_ctrl:1
	;;#ASMEND
	;;#ASMSTART
	v_max_f32 v11, v10, v10 row_ror:8 row_mask:0xf bank_mask:0xf bound_ctrl:1
	;;#ASMEND
	;;#ASMSTART
	v_max_f32 v10, v11, v11 row_bcast:15 row_mask:0xf bank_mask:0xf bound_ctrl:1
	;;#ASMEND
	;;#ASMSTART
	v_max_f32 v11, v10, v10 row_bcast:31 row_mask:0xf bank_mask:0xf bound_ctrl:1
	;;#ASMEND
	ds_bpermute_b32 v10, v1, v11
	s_waitcnt lgkmcnt(0)
	v_cmp_eq_f32_e32 vcc, v9, v10
	s_ff1_i32_b64 s18, vcc
	s_cmp_lg_u64 vcc, 0
	s_cselect_b32 s18, s18, 0
	s_and_b64 vcc, exec, s[8:9]
	v_readlane_b32 s18, v8, s18
	s_cbranch_vccz .LBB15_21
; %bb.27:                               ;   in Loop: Header=BB15_22 Depth=1
	s_ashr_i32 s19, s18, 31
	s_lshl_b64 s[20:21], s[18:19], 2
	s_add_u32 s20, s10, s20
	s_addc_u32 s21, s11, s21
	s_load_dword s19, s[20:21], 0x0
	s_waitcnt lgkmcnt(0)
	v_subrev_f32_e32 v10, s19, v10
	s_branch .LBB15_21
.LBB15_28:
	v_mov_b32_e32 v2, 0
	v_mov_b32_e32 v4, 0
.LBB15_29:
	v_cmp_gt_i32_e32 vcc, s17, v0
	s_and_saveexec_b64 s[0:1], vcc
	s_cbranch_execz .LBB15_32
; %bb.30:
	s_load_dword s2, s[4:5], 0x34
	v_max_f32_e32 v1, v4, v4
	v_max_f32_e32 v1, 0x1e3ce508, v1
	s_load_dword s3, s[4:5], 0x44
	s_waitcnt lgkmcnt(0)
	v_div_scale_f32 v4, s[0:1], v1, v1, s2
	s_load_dwordx2 s[0:1], s[4:5], 0x20
	v_rcp_f32_e32 v5, v4
	v_div_scale_f32 v6, vcc, s2, v1, s2
	s_and_b32 s3, s3, 0xffff
	v_fma_f32 v7, -v4, v5, 1.0
	v_fmac_f32_e32 v5, v7, v5
	v_mul_f32_e32 v7, v6, v5
	v_fma_f32 v8, -v4, v7, v6
	v_fmac_f32_e32 v7, v8, v5
	v_fma_f32 v4, -v4, v7, v6
	v_div_fmas_f32 v4, v4, v5, v7
	v_div_fixup_f32 v1, v4, v1, s2
	s_ashr_i32 s2, s6, 31
	s_waitcnt lgkmcnt(0)
	s_mul_i32 s1, s6, s1
	s_mul_hi_u32 s4, s6, s0
	s_add_i32 s1, s4, s1
	s_mul_i32 s2, s2, s0
	s_add_i32 s4, s1, s2
	v_mul_f32_e32 v1, v3, v1
	s_mul_i32 s2, s6, s0
	s_mov_b64 s[0:1], 0
	v_mov_b32_e32 v3, s4
	v_mov_b32_e32 v4, s13
	v_mov_b32_e32 v5, s15
.LBB15_31:                              ; =>This Inner Loop Header: Depth=1
	v_ashrrev_i32_e32 v7, 31, v0
	v_add_co_u32_e32 v6, vcc, s2, v0
	v_addc_co_u32_e32 v7, vcc, v3, v7, vcc
	v_add_u32_e32 v0, s3, v0
	v_cmp_le_i32_e32 vcc, s17, v0
	v_lshlrev_b64 v[6:7], 2, v[6:7]
	s_or_b64 s[0:1], vcc, s[0:1]
	v_add_co_u32_e32 v8, vcc, s12, v6
	v_addc_co_u32_e32 v9, vcc, v4, v7, vcc
	v_add_co_u32_e32 v6, vcc, s14, v6
	v_addc_co_u32_e32 v7, vcc, v5, v7, vcc
	global_store_dword v[8:9], v1, off
	global_store_dword v[6:7], v2, off
	s_andn2_b64 exec, exec, s[0:1]
	s_cbranch_execnz .LBB15_31
.LBB15_32:
	s_endpgm
	.section	.rodata,"a",@progbits
	.p2align	6, 0x0
	.amdhsa_kernel _ZN5aiter20topk_softplus_kernelIffDv4_fLb1ELi2EEEvPKT_PKT0_PfPimiiif
		.amdhsa_group_segment_fixed_size 0
		.amdhsa_private_segment_fixed_size 0
		.amdhsa_kernarg_size 312
		.amdhsa_user_sgpr_count 6
		.amdhsa_user_sgpr_private_segment_buffer 1
		.amdhsa_user_sgpr_dispatch_ptr 0
		.amdhsa_user_sgpr_queue_ptr 0
		.amdhsa_user_sgpr_kernarg_segment_ptr 1
		.amdhsa_user_sgpr_dispatch_id 0
		.amdhsa_user_sgpr_flat_scratch_init 0
		.amdhsa_user_sgpr_kernarg_preload_length 0
		.amdhsa_user_sgpr_kernarg_preload_offset 0
		.amdhsa_user_sgpr_private_segment_size 0
		.amdhsa_uses_dynamic_stack 0
		.amdhsa_system_sgpr_private_segment_wavefront_offset 0
		.amdhsa_system_sgpr_workgroup_id_x 1
		.amdhsa_system_sgpr_workgroup_id_y 0
		.amdhsa_system_sgpr_workgroup_id_z 0
		.amdhsa_system_sgpr_workgroup_info 0
		.amdhsa_system_vgpr_workitem_id 0
		.amdhsa_next_free_vgpr 20
		.amdhsa_next_free_sgpr 25
		.amdhsa_accum_offset 20
		.amdhsa_reserve_vcc 1
		.amdhsa_reserve_flat_scratch 0
		.amdhsa_float_round_mode_32 0
		.amdhsa_float_round_mode_16_64 0
		.amdhsa_float_denorm_mode_32 3
		.amdhsa_float_denorm_mode_16_64 3
		.amdhsa_dx10_clamp 1
		.amdhsa_ieee_mode 1
		.amdhsa_fp16_overflow 0
		.amdhsa_tg_split 0
		.amdhsa_exception_fp_ieee_invalid_op 0
		.amdhsa_exception_fp_denorm_src 0
		.amdhsa_exception_fp_ieee_div_zero 0
		.amdhsa_exception_fp_ieee_overflow 0
		.amdhsa_exception_fp_ieee_underflow 0
		.amdhsa_exception_fp_ieee_inexact 0
		.amdhsa_exception_int_div_zero 0
	.end_amdhsa_kernel
	.section	.text._ZN5aiter20topk_softplus_kernelIffDv4_fLb1ELi2EEEvPKT_PKT0_PfPimiiif,"axG",@progbits,_ZN5aiter20topk_softplus_kernelIffDv4_fLb1ELi2EEEvPKT_PKT0_PfPimiiif,comdat
.Lfunc_end15:
	.size	_ZN5aiter20topk_softplus_kernelIffDv4_fLb1ELi2EEEvPKT_PKT0_PfPimiiif, .Lfunc_end15-_ZN5aiter20topk_softplus_kernelIffDv4_fLb1ELi2EEEvPKT_PKT0_PfPimiiif
                                        ; -- End function
	.section	.AMDGPU.csdata,"",@progbits
; Kernel info:
; codeLenInByte = 1784
; NumSgprs: 29
; NumVgprs: 20
; NumAgprs: 0
; TotalNumVgprs: 20
; ScratchSize: 0
; MemoryBound: 0
; FloatMode: 240
; IeeeMode: 1
; LDSByteSize: 0 bytes/workgroup (compile time only)
; SGPRBlocks: 3
; VGPRBlocks: 2
; NumSGPRsForWavesPerEU: 29
; NumVGPRsForWavesPerEU: 20
; AccumOffset: 20
; Occupancy: 8
; WaveLimiterHint : 0
; COMPUTE_PGM_RSRC2:SCRATCH_EN: 0
; COMPUTE_PGM_RSRC2:USER_SGPR: 6
; COMPUTE_PGM_RSRC2:TRAP_HANDLER: 0
; COMPUTE_PGM_RSRC2:TGID_X_EN: 1
; COMPUTE_PGM_RSRC2:TGID_Y_EN: 0
; COMPUTE_PGM_RSRC2:TGID_Z_EN: 0
; COMPUTE_PGM_RSRC2:TIDIG_COMP_CNT: 0
; COMPUTE_PGM_RSRC3_GFX90A:ACCUM_OFFSET: 4
; COMPUTE_PGM_RSRC3_GFX90A:TG_SPLIT: 0
	.section	.text._ZN5aiter20topk_softplus_kernelIffDv4_fLb0ELi2EEEvPKT_PKT0_PfPimiiif,"axG",@progbits,_ZN5aiter20topk_softplus_kernelIffDv4_fLb0ELi2EEEvPKT_PKT0_PfPimiiif,comdat
	.protected	_ZN5aiter20topk_softplus_kernelIffDv4_fLb0ELi2EEEvPKT_PKT0_PfPimiiif ; -- Begin function _ZN5aiter20topk_softplus_kernelIffDv4_fLb0ELi2EEEvPKT_PKT0_PfPimiiif
	.globl	_ZN5aiter20topk_softplus_kernelIffDv4_fLb0ELi2EEEvPKT_PKT0_PfPimiiif
	.p2align	8
	.type	_ZN5aiter20topk_softplus_kernelIffDv4_fLb0ELi2EEEvPKT_PKT0_PfPimiiif,@function
_ZN5aiter20topk_softplus_kernelIffDv4_fLb0ELi2EEEvPKT_PKT0_PfPimiiif: ; @_ZN5aiter20topk_softplus_kernelIffDv4_fLb0ELi2EEEvPKT_PKT0_PfPimiiif
; %bb.0:
	s_load_dwordx2 s[16:17], s[4:5], 0x28
	s_load_dwordx8 s[8:15], s[4:5], 0x0
	s_waitcnt lgkmcnt(0)
	s_ashr_i32 s0, s16, 31
	s_lshr_b32 s0, s0, 30
	s_add_i32 s0, s16, s0
	s_mul_i32 s2, s6, s16
	s_ashr_i32 s7, s0, 2
	s_ashr_i32 s3, s2, 31
	v_cmp_gt_i32_e64 s[0:1], s7, v0
	s_and_saveexec_b64 s[18:19], s[0:1]
	s_cbranch_execz .LBB16_3
; %bb.1:
	s_load_dword s22, s[4:5], 0x44
	s_lshl_b64 s[20:21], s[2:3], 2
	v_lshlrev_b32_e32 v1, 4, v0
	s_mov_b32 s24, 0
	v_mov_b32_e32 v4, s24
	s_waitcnt lgkmcnt(0)
	s_and_b32 s22, s22, 0xffff
	s_add_u32 s20, s8, s20
	s_addc_u32 s21, s9, s21
	v_mov_b32_e32 v3, s21
	v_add_co_u32_e32 v2, vcc, s20, v1
	v_addc_co_u32_e32 v3, vcc, 0, v3, vcc
	s_lshl_b32 s23, s22, 4
	v_add_u32_e32 v1, 0, v1
	s_mov_b64 s[20:21], 0
	v_mov_b32_e32 v5, v0
.LBB16_2:                               ; =>This Inner Loop Header: Depth=1
	global_load_dwordx4 v[6:9], v[2:3], off
	v_add_co_u32_e32 v2, vcc, s23, v2
	v_add_u32_e32 v5, s22, v5
	v_addc_co_u32_e32 v3, vcc, v3, v4, vcc
	v_cmp_le_i32_e32 vcc, s7, v5
	s_or_b64 s[20:21], vcc, s[20:21]
	s_waitcnt vmcnt(0)
	ds_write_b128 v1, v[6:9]
	v_add_u32_e32 v1, s23, v1
	s_andn2_b64 exec, exec, s[20:21]
	s_cbranch_execnz .LBB16_2
.LBB16_3:
	s_or_b64 exec, exec, s[18:19]
	v_lshl_add_u32 v2, s7, 2, v0
	v_cmp_gt_i32_e32 vcc, s16, v2
	s_and_saveexec_b64 s[18:19], vcc
	s_cbranch_execz .LBB16_6
; %bb.4:
	s_load_dword s20, s[4:5], 0x44
	s_lshl_b64 s[2:3], s[2:3], 2
	s_add_u32 s8, s8, s2
	s_addc_u32 s21, s9, s3
	s_lshl_b32 s2, s7, 4
	s_waitcnt lgkmcnt(0)
	s_and_b32 s9, s20, 0xffff
	s_add_i32 s2, s2, 0
	v_lshl_add_u32 v1, v0, 2, s2
	s_lshl_b32 s20, s9, 2
	s_mov_b64 s[2:3], 0
	v_mov_b32_e32 v4, s21
.LBB16_5:                               ; =>This Inner Loop Header: Depth=1
	v_ashrrev_i32_e32 v3, 31, v2
	v_lshlrev_b64 v[6:7], 2, v[2:3]
	v_add_co_u32_e32 v6, vcc, s8, v6
	v_addc_co_u32_e32 v7, vcc, v4, v7, vcc
	global_load_dword v3, v[6:7], off
	v_add_u32_e32 v2, s9, v2
	v_cmp_le_i32_e32 vcc, s16, v2
	s_or_b64 s[2:3], vcc, s[2:3]
	s_waitcnt vmcnt(0)
	ds_write_b32 v1, v3
	v_add_u32_e32 v1, s20, v1
	s_andn2_b64 exec, exec, s[2:3]
	s_cbranch_execnz .LBB16_5
.LBB16_6:
	s_or_b64 exec, exec, s[18:19]
	v_cmp_gt_i32_e32 vcc, s16, v0
	v_mov_b32_e32 v1, 0xff800000
	s_waitcnt lgkmcnt(0)
	s_barrier
	s_and_saveexec_b64 s[8:9], vcc
	s_cbranch_execz .LBB16_10
; %bb.7:
	s_load_dword s2, s[4:5], 0x44
	v_lshl_add_u32 v2, v0, 2, 0
	s_mov_b64 s[18:19], 0
	v_mov_b32_e32 v1, 0xff800000
	v_mov_b32_e32 v3, v0
	s_waitcnt lgkmcnt(0)
	s_and_b32 s20, s2, 0xffff
	s_lshl_b32 s21, s20, 2
.LBB16_8:                               ; =>This Inner Loop Header: Depth=1
	ds_read_b32 v4, v2
	v_add_u32_e32 v3, s20, v3
	v_max_f32_e32 v1, v1, v1
	v_cmp_le_i32_e64 s[2:3], s16, v3
	v_add_u32_e32 v2, s21, v2
	s_waitcnt lgkmcnt(0)
	v_max_f32_e32 v4, v4, v4
	s_or_b64 s[18:19], s[2:3], s[18:19]
	v_max_f32_e32 v1, v1, v4
	s_andn2_b64 exec, exec, s[18:19]
	s_cbranch_execnz .LBB16_8
; %bb.9:
	s_or_b64 exec, exec, s[18:19]
.LBB16_10:
	s_or_b64 exec, exec, s[8:9]
	;;#ASMSTART
	v_max_f32 v2, v1, v1 quad_perm:[1,0,3,2] row_mask:0xf bank_mask:0xf bound_ctrl:1
	;;#ASMEND
	;;#ASMSTART
	v_max_f32 v1, v2, v2 quad_perm:[2,3,0,1] row_mask:0xf bank_mask:0xf bound_ctrl:1
	;;#ASMEND
	;;#ASMSTART
	v_max_f32 v2, v1, v1 row_half_mirror row_mask:0xf bank_mask:0xf bound_ctrl:1
	;;#ASMEND
	;;#ASMSTART
	v_max_f32 v1, v2, v2 row_mirror row_mask:0xf bank_mask:0xf bound_ctrl:1
	;;#ASMEND
	;;#ASMSTART
	v_max_f32 v2, v1, v1 row_ror:4 row_mask:0xf bank_mask:0xf bound_ctrl:1
	;;#ASMEND
	;;#ASMSTART
	v_max_f32 v1, v2, v2 row_ror:8 row_mask:0xf bank_mask:0xf bound_ctrl:1
	;;#ASMEND
	;;#ASMSTART
	v_max_f32 v2, v1, v1 row_bcast:15 row_mask:0xf bank_mask:0xf bound_ctrl:1
	;;#ASMEND
	v_mbcnt_lo_u32_b32 v1, -1, 0
	;;#ASMSTART
	v_max_f32 v3, v2, v2 row_bcast:31 row_mask:0xf bank_mask:0xf bound_ctrl:1
	;;#ASMEND
	v_mbcnt_hi_u32_b32 v1, -1, v1
	v_bfrev_b32_e32 v2, 0.5
	v_lshl_or_b32 v1, v1, 2, v2
	ds_bpermute_b32 v3, v1, v3
	v_mov_b32_e32 v2, 0
	s_and_saveexec_b64 s[18:19], vcc
	s_cbranch_execz .LBB16_14
; %bb.11:
	s_load_dword s2, s[4:5], 0x44
	v_lshl_add_u32 v4, v0, 2, 0
	s_mov_b64 s[20:21], 0
	v_mov_b32_e32 v2, 0
	s_mov_b32 s22, 0xc2fc0000
	s_waitcnt lgkmcnt(0)
	s_and_b32 s23, s2, 0xffff
	s_lshl_b32 s24, s23, 2
	v_mov_b32_e32 v5, 0x42800000
	v_mov_b32_e32 v6, 0x1f800000
	;; [unrolled: 1-line block ×3, first 2 shown]
.LBB16_12:                              ; =>This Inner Loop Header: Depth=1
	ds_read_b32 v8, v4
	v_add_u32_e32 v7, s23, v7
	v_cmp_le_i32_e64 s[8:9], s16, v7
	s_or_b64 s[20:21], s[8:9], s[20:21]
	s_waitcnt lgkmcnt(0)
	v_sub_f32_e32 v8, v8, v3
	v_mul_f32_e32 v9, 0x3fb8aa3b, v8
	v_cmp_gt_f32_e64 s[2:3], s22, v9
	v_cndmask_b32_e64 v9, 0, v5, s[2:3]
	v_fmac_f32_e32 v9, 0x3fb8aa3b, v8
	v_exp_f32_e32 v8, v9
	v_cndmask_b32_e64 v9, 1.0, v6, s[2:3]
	v_mul_f32_e32 v10, v8, v9
	v_fmac_f32_e32 v2, v8, v9
	ds_write_b32 v4, v10
	v_add_u32_e32 v4, s24, v4
	s_andn2_b64 exec, exec, s[20:21]
	s_cbranch_execnz .LBB16_12
; %bb.13:
	s_or_b64 exec, exec, s[20:21]
.LBB16_14:
	s_or_b64 exec, exec, s[18:19]
	s_waitcnt lgkmcnt(0)
	v_mov_b32_dpp v3, v2 quad_perm:[1,0,3,2] row_mask:0xf bank_mask:0xf
	v_add_f32_e32 v2, v2, v3
	s_nop 1
	v_mov_b32_dpp v3, v2 quad_perm:[2,3,0,1] row_mask:0xf bank_mask:0xf
	v_add_f32_e32 v2, v2, v3
	s_nop 1
	v_mov_b32_dpp v3, v2 row_half_mirror row_mask:0xf bank_mask:0xf
	v_add_f32_e32 v2, v2, v3
	s_nop 1
	v_mov_b32_dpp v3, v2 row_mirror row_mask:0xf bank_mask:0xf
	v_add_f32_e32 v2, v2, v3
	s_nop 1
	v_mov_b32_dpp v3, v2 row_bcast:15 row_mask:0xf bank_mask:0xf
	v_add_f32_e32 v2, v2, v3
	s_nop 1
	v_mov_b32_dpp v3, v2 row_bcast:31 row_mask:0xf bank_mask:0xf
	v_add_f32_e32 v2, v2, v3
	ds_bpermute_b32 v2, v1, v2
	s_and_saveexec_b64 s[8:9], vcc
	s_cbranch_execz .LBB16_19
; %bb.15:
	s_load_dword s20, s[4:5], 0x44
	s_waitcnt lgkmcnt(0)
	v_rcp_f32_e32 v4, v2
	s_cmp_lg_u64 s[10:11], 0
	s_cselect_b64 s[2:3], -1, 0
	v_cndmask_b32_e64 v2, 0, 1, s[2:3]
	s_and_b32 s20, s20, 0xffff
	s_mov_b64 s[18:19], 0
	v_lshl_add_u32 v5, v0, 2, 0
	s_lshl_b32 s21, s20, 2
	v_cmp_ne_u32_e64 s[2:3], 1, v2
	v_mov_b32_e32 v2, v0
	s_branch .LBB16_17
.LBB16_16:                              ;   in Loop: Header=BB16_17 Depth=1
	v_add_u32_e32 v2, s20, v2
	v_cmp_le_i32_e32 vcc, s16, v2
	s_or_b64 s[18:19], vcc, s[18:19]
	v_add_u32_e32 v5, s21, v5
	s_andn2_b64 exec, exec, s[18:19]
	s_cbranch_execz .LBB16_19
.LBB16_17:                              ; =>This Inner Loop Header: Depth=1
	ds_read_b32 v3, v5
	s_and_b64 vcc, exec, s[2:3]
	s_waitcnt lgkmcnt(0)
	v_mul_f32_e32 v6, v4, v3
	ds_write_b32 v5, v6
	s_cbranch_vccnz .LBB16_16
; %bb.18:                               ;   in Loop: Header=BB16_17 Depth=1
	v_ashrrev_i32_e32 v3, 31, v2
	v_lshlrev_b64 v[8:9], 2, v[2:3]
	v_mov_b32_e32 v3, s11
	v_add_co_u32_e32 v8, vcc, s10, v8
	v_addc_co_u32_e32 v9, vcc, v3, v9, vcc
	global_load_dword v3, v[8:9], off
	s_waitcnt vmcnt(0)
	v_add_f32_e32 v3, v6, v3
	ds_write_b32 v5, v3
	s_branch .LBB16_16
.LBB16_19:
	s_or_b64 exec, exec, s[8:9]
	s_cmp_lt_i32 s17, 1
	s_waitcnt lgkmcnt(0)
	s_barrier
	s_cbranch_scc1 .LBB16_28
; %bb.20:
	s_add_u32 s2, s4, 56
	s_addc_u32 s3, s5, 0
	s_cmp_lg_u64 s[10:11], 0
	s_cselect_b64 s[8:9], -1, 0
	v_lshlrev_b32_e32 v4, 2, v0
	s_mov_b32 s16, 0
	v_mov_b32_e32 v2, 0
	v_lshl_add_u32 v5, v0, 4, 0
	v_mov_b32_e32 v3, 0
	v_mov_b32_e32 v6, 0xff800000
	s_branch .LBB16_22
.LBB16_21:                              ;   in Loop: Header=BB16_22 Depth=1
	s_lshl_b32 s19, s18, 2
	s_add_i32 s19, s19, 0
	v_mov_b32_e32 v7, s19
	ds_write_b32 v7, v6
	v_mov_b32_e32 v7, s18
	v_cmp_eq_u32_e32 vcc, s16, v0
	s_add_i32 s16, s16, 1
	v_cndmask_b32_e32 v2, v2, v7, vcc
	s_cmp_eq_u32 s16, s17
	v_cndmask_b32_e32 v3, v3, v9, vcc
	s_cbranch_scc1 .LBB16_29
.LBB16_22:                              ; =>This Loop Header: Depth=1
                                        ;     Child Loop BB16_24 Depth 2
	v_mov_b32_e32 v7, s16
	v_mov_b32_e32 v8, 0xff800000
	s_and_saveexec_b64 s[18:19], s[0:1]
	s_cbranch_execz .LBB16_26
; %bb.23:                               ;   in Loop: Header=BB16_22 Depth=1
	s_load_dword s22, s[2:3], 0xc
	s_mov_b64 s[20:21], 0
	v_mov_b32_e32 v7, s16
	v_mov_b32_e32 v8, 0xff800000
	;; [unrolled: 1-line block ×3, first 2 shown]
	s_waitcnt lgkmcnt(0)
	s_and_b32 s22, s22, 0xffff
	s_lshl_b32 s23, s22, 2
	s_lshl_b32 s24, s22, 4
	v_mov_b32_e32 v10, v4
	v_mov_b32_e32 v11, v0
.LBB16_24:                              ;   Parent Loop BB16_22 Depth=1
                                        ; =>  This Inner Loop Header: Depth=2
	ds_read_b128 v[12:15], v9
	v_add_u32_e32 v11, s22, v11
	v_cmp_le_i32_e32 vcc, s7, v11
	s_or_b64 s[20:21], vcc, s[20:21]
	v_add_u32_e32 v16, 1, v10
	s_waitcnt lgkmcnt(0)
	v_cmp_gt_f32_e32 vcc, v12, v8
	v_cndmask_b32_e32 v8, v8, v12, vcc
	v_cndmask_b32_e32 v7, v7, v10, vcc
	v_cmp_gt_f32_e32 vcc, v13, v8
	v_cndmask_b32_e32 v8, v8, v13, vcc
	v_cndmask_b32_e32 v7, v7, v16, vcc
	v_cmp_gt_f32_e32 vcc, v14, v8
	v_add_u32_e32 v17, 2, v10
	v_cndmask_b32_e32 v8, v8, v14, vcc
	v_add_u32_e32 v18, 3, v10
	v_cndmask_b32_e32 v7, v7, v17, vcc
	v_cmp_gt_f32_e32 vcc, v15, v8
	v_add_u32_e32 v9, s24, v9
	v_add_u32_e32 v10, s23, v10
	v_cndmask_b32_e32 v8, v8, v15, vcc
	v_cndmask_b32_e32 v7, v7, v18, vcc
	s_andn2_b64 exec, exec, s[20:21]
	s_cbranch_execnz .LBB16_24
; %bb.25:                               ;   in Loop: Header=BB16_22 Depth=1
	s_or_b64 exec, exec, s[20:21]
.LBB16_26:                              ;   in Loop: Header=BB16_22 Depth=1
	s_or_b64 exec, exec, s[18:19]
	;;#ASMSTART
	v_max_f32 v9, v8, v8 quad_perm:[1,0,3,2] row_mask:0xf bank_mask:0xf bound_ctrl:1
	;;#ASMEND
	;;#ASMSTART
	v_max_f32 v10, v9, v9 quad_perm:[2,3,0,1] row_mask:0xf bank_mask:0xf bound_ctrl:1
	;;#ASMEND
	;;#ASMSTART
	v_max_f32 v9, v10, v10 row_half_mirror row_mask:0xf bank_mask:0xf bound_ctrl:1
	;;#ASMEND
	;;#ASMSTART
	v_max_f32 v10, v9, v9 row_mirror row_mask:0xf bank_mask:0xf bound_ctrl:1
	;;#ASMEND
	;;#ASMSTART
	v_max_f32 v9, v10, v10 row_ror:4 row_mask:0xf bank_mask:0xf bound_ctrl:1
	;;#ASMEND
	;;#ASMSTART
	v_max_f32 v10, v9, v9 row_ror:8 row_mask:0xf bank_mask:0xf bound_ctrl:1
	;;#ASMEND
	;;#ASMSTART
	v_max_f32 v9, v10, v10 row_bcast:15 row_mask:0xf bank_mask:0xf bound_ctrl:1
	;;#ASMEND
	;;#ASMSTART
	v_max_f32 v10, v9, v9 row_bcast:31 row_mask:0xf bank_mask:0xf bound_ctrl:1
	;;#ASMEND
	ds_bpermute_b32 v9, v1, v10
	s_waitcnt lgkmcnt(0)
	v_cmp_eq_f32_e32 vcc, v8, v9
	s_ff1_i32_b64 s18, vcc
	s_cmp_lg_u64 vcc, 0
	s_cselect_b32 s18, s18, 0
	s_and_b64 vcc, exec, s[8:9]
	v_readlane_b32 s18, v7, s18
	s_cbranch_vccz .LBB16_21
; %bb.27:                               ;   in Loop: Header=BB16_22 Depth=1
	s_ashr_i32 s19, s18, 31
	s_lshl_b64 s[20:21], s[18:19], 2
	s_add_u32 s20, s10, s20
	s_addc_u32 s21, s11, s21
	s_load_dword s19, s[20:21], 0x0
	s_waitcnt lgkmcnt(0)
	v_subrev_f32_e32 v9, s19, v9
	s_branch .LBB16_21
.LBB16_28:
	v_mov_b32_e32 v3, 0
	v_mov_b32_e32 v2, 0
.LBB16_29:
	v_cmp_gt_i32_e32 vcc, s17, v0
	s_and_saveexec_b64 s[0:1], vcc
	s_cbranch_execz .LBB16_32
; %bb.30:
	s_load_dword s2, s[4:5], 0x34
	s_load_dwordx2 s[0:1], s[4:5], 0x20
	s_ashr_i32 s3, s6, 31
	s_load_dword s4, s[4:5], 0x44
	v_mov_b32_e32 v4, s13
	s_waitcnt lgkmcnt(0)
	v_mul_f32_e32 v1, s2, v3
	s_mul_i32 s1, s6, s1
	s_mul_hi_u32 s2, s6, s0
	s_add_i32 s1, s2, s1
	s_mul_i32 s3, s3, s0
	s_add_i32 s5, s1, s3
	s_mul_i32 s2, s6, s0
	s_and_b32 s3, s4, 0xffff
	s_mov_b64 s[0:1], 0
	v_mov_b32_e32 v3, s5
	v_mov_b32_e32 v5, s15
.LBB16_31:                              ; =>This Inner Loop Header: Depth=1
	v_ashrrev_i32_e32 v7, 31, v0
	v_add_co_u32_e32 v6, vcc, s2, v0
	v_addc_co_u32_e32 v7, vcc, v3, v7, vcc
	v_add_u32_e32 v0, s3, v0
	v_cmp_le_i32_e32 vcc, s17, v0
	v_lshlrev_b64 v[6:7], 2, v[6:7]
	s_or_b64 s[0:1], vcc, s[0:1]
	v_add_co_u32_e32 v8, vcc, s12, v6
	v_addc_co_u32_e32 v9, vcc, v4, v7, vcc
	v_add_co_u32_e32 v6, vcc, s14, v6
	v_addc_co_u32_e32 v7, vcc, v5, v7, vcc
	global_store_dword v[8:9], v1, off
	global_store_dword v[6:7], v2, off
	s_andn2_b64 exec, exec, s[0:1]
	s_cbranch_execnz .LBB16_31
.LBB16_32:
	s_endpgm
	.section	.rodata,"a",@progbits
	.p2align	6, 0x0
	.amdhsa_kernel _ZN5aiter20topk_softplus_kernelIffDv4_fLb0ELi2EEEvPKT_PKT0_PfPimiiif
		.amdhsa_group_segment_fixed_size 0
		.amdhsa_private_segment_fixed_size 0
		.amdhsa_kernarg_size 312
		.amdhsa_user_sgpr_count 6
		.amdhsa_user_sgpr_private_segment_buffer 1
		.amdhsa_user_sgpr_dispatch_ptr 0
		.amdhsa_user_sgpr_queue_ptr 0
		.amdhsa_user_sgpr_kernarg_segment_ptr 1
		.amdhsa_user_sgpr_dispatch_id 0
		.amdhsa_user_sgpr_flat_scratch_init 0
		.amdhsa_user_sgpr_kernarg_preload_length 0
		.amdhsa_user_sgpr_kernarg_preload_offset 0
		.amdhsa_user_sgpr_private_segment_size 0
		.amdhsa_uses_dynamic_stack 0
		.amdhsa_system_sgpr_private_segment_wavefront_offset 0
		.amdhsa_system_sgpr_workgroup_id_x 1
		.amdhsa_system_sgpr_workgroup_id_y 0
		.amdhsa_system_sgpr_workgroup_id_z 0
		.amdhsa_system_sgpr_workgroup_info 0
		.amdhsa_system_vgpr_workitem_id 0
		.amdhsa_next_free_vgpr 19
		.amdhsa_next_free_sgpr 25
		.amdhsa_accum_offset 20
		.amdhsa_reserve_vcc 1
		.amdhsa_reserve_flat_scratch 0
		.amdhsa_float_round_mode_32 0
		.amdhsa_float_round_mode_16_64 0
		.amdhsa_float_denorm_mode_32 3
		.amdhsa_float_denorm_mode_16_64 3
		.amdhsa_dx10_clamp 1
		.amdhsa_ieee_mode 1
		.amdhsa_fp16_overflow 0
		.amdhsa_tg_split 0
		.amdhsa_exception_fp_ieee_invalid_op 0
		.amdhsa_exception_fp_denorm_src 0
		.amdhsa_exception_fp_ieee_div_zero 0
		.amdhsa_exception_fp_ieee_overflow 0
		.amdhsa_exception_fp_ieee_underflow 0
		.amdhsa_exception_fp_ieee_inexact 0
		.amdhsa_exception_int_div_zero 0
	.end_amdhsa_kernel
	.section	.text._ZN5aiter20topk_softplus_kernelIffDv4_fLb0ELi2EEEvPKT_PKT0_PfPimiiif,"axG",@progbits,_ZN5aiter20topk_softplus_kernelIffDv4_fLb0ELi2EEEvPKT_PKT0_PfPimiiif,comdat
.Lfunc_end16:
	.size	_ZN5aiter20topk_softplus_kernelIffDv4_fLb0ELi2EEEvPKT_PKT0_PfPimiiif, .Lfunc_end16-_ZN5aiter20topk_softplus_kernelIffDv4_fLb0ELi2EEEvPKT_PKT0_PfPimiiif
                                        ; -- End function
	.section	.AMDGPU.csdata,"",@progbits
; Kernel info:
; codeLenInByte = 1684
; NumSgprs: 29
; NumVgprs: 19
; NumAgprs: 0
; TotalNumVgprs: 19
; ScratchSize: 0
; MemoryBound: 0
; FloatMode: 240
; IeeeMode: 1
; LDSByteSize: 0 bytes/workgroup (compile time only)
; SGPRBlocks: 3
; VGPRBlocks: 2
; NumSGPRsForWavesPerEU: 29
; NumVGPRsForWavesPerEU: 19
; AccumOffset: 20
; Occupancy: 8
; WaveLimiterHint : 0
; COMPUTE_PGM_RSRC2:SCRATCH_EN: 0
; COMPUTE_PGM_RSRC2:USER_SGPR: 6
; COMPUTE_PGM_RSRC2:TRAP_HANDLER: 0
; COMPUTE_PGM_RSRC2:TGID_X_EN: 1
; COMPUTE_PGM_RSRC2:TGID_Y_EN: 0
; COMPUTE_PGM_RSRC2:TGID_Z_EN: 0
; COMPUTE_PGM_RSRC2:TIDIG_COMP_CNT: 0
; COMPUTE_PGM_RSRC3_GFX90A:ACCUM_OFFSET: 4
; COMPUTE_PGM_RSRC3_GFX90A:TG_SPLIT: 0
	.section	.text._ZN5aiter20topk_softplus_kernelIffDv2_fLb1ELi2EEEvPKT_PKT0_PfPimiiif,"axG",@progbits,_ZN5aiter20topk_softplus_kernelIffDv2_fLb1ELi2EEEvPKT_PKT0_PfPimiiif,comdat
	.protected	_ZN5aiter20topk_softplus_kernelIffDv2_fLb1ELi2EEEvPKT_PKT0_PfPimiiif ; -- Begin function _ZN5aiter20topk_softplus_kernelIffDv2_fLb1ELi2EEEvPKT_PKT0_PfPimiiif
	.globl	_ZN5aiter20topk_softplus_kernelIffDv2_fLb1ELi2EEEvPKT_PKT0_PfPimiiif
	.p2align	8
	.type	_ZN5aiter20topk_softplus_kernelIffDv2_fLb1ELi2EEEvPKT_PKT0_PfPimiiif,@function
_ZN5aiter20topk_softplus_kernelIffDv2_fLb1ELi2EEEvPKT_PKT0_PfPimiiif: ; @_ZN5aiter20topk_softplus_kernelIffDv2_fLb1ELi2EEEvPKT_PKT0_PfPimiiif
; %bb.0:
	s_load_dwordx2 s[16:17], s[4:5], 0x28
	s_load_dwordx8 s[8:15], s[4:5], 0x0
	s_waitcnt lgkmcnt(0)
	s_lshr_b32 s0, s16, 31
	s_add_i32 s0, s16, s0
	s_mul_i32 s2, s6, s16
	s_ashr_i32 s7, s0, 1
	s_ashr_i32 s3, s2, 31
	v_cmp_gt_i32_e64 s[0:1], s7, v0
	s_and_saveexec_b64 s[18:19], s[0:1]
	s_cbranch_execz .LBB17_3
; %bb.1:
	s_load_dword s22, s[4:5], 0x44
	s_lshl_b64 s[20:21], s[2:3], 2
	v_lshlrev_b32_e32 v1, 3, v0
	s_mov_b32 s24, 0
	v_mov_b32_e32 v4, s24
	s_waitcnt lgkmcnt(0)
	s_and_b32 s22, s22, 0xffff
	s_add_u32 s20, s8, s20
	s_addc_u32 s21, s9, s21
	v_mov_b32_e32 v3, s21
	v_add_co_u32_e32 v2, vcc, s20, v1
	v_addc_co_u32_e32 v3, vcc, 0, v3, vcc
	s_lshl_b32 s23, s22, 3
	v_add_u32_e32 v1, 0, v1
	s_mov_b64 s[20:21], 0
	v_mov_b32_e32 v5, v0
.LBB17_2:                               ; =>This Inner Loop Header: Depth=1
	global_load_dwordx2 v[6:7], v[2:3], off
	v_add_co_u32_e32 v2, vcc, s23, v2
	v_add_u32_e32 v5, s22, v5
	v_addc_co_u32_e32 v3, vcc, v3, v4, vcc
	v_cmp_le_i32_e32 vcc, s7, v5
	s_or_b64 s[20:21], vcc, s[20:21]
	s_waitcnt vmcnt(0)
	ds_write_b64 v1, v[6:7]
	v_add_u32_e32 v1, s23, v1
	s_andn2_b64 exec, exec, s[20:21]
	s_cbranch_execnz .LBB17_2
.LBB17_3:
	s_or_b64 exec, exec, s[18:19]
	v_lshl_add_u32 v2, s7, 1, v0
	v_cmp_gt_i32_e32 vcc, s16, v2
	s_and_saveexec_b64 s[18:19], vcc
	s_cbranch_execz .LBB17_6
; %bb.4:
	s_load_dword s20, s[4:5], 0x44
	s_lshl_b64 s[2:3], s[2:3], 2
	s_add_u32 s8, s8, s2
	s_addc_u32 s21, s9, s3
	s_lshl_b32 s2, s7, 3
	s_waitcnt lgkmcnt(0)
	s_and_b32 s9, s20, 0xffff
	s_add_i32 s2, s2, 0
	v_lshl_add_u32 v1, v0, 2, s2
	s_lshl_b32 s20, s9, 2
	s_mov_b64 s[2:3], 0
	v_mov_b32_e32 v4, s21
.LBB17_5:                               ; =>This Inner Loop Header: Depth=1
	v_ashrrev_i32_e32 v3, 31, v2
	v_lshlrev_b64 v[6:7], 2, v[2:3]
	v_add_co_u32_e32 v6, vcc, s8, v6
	v_addc_co_u32_e32 v7, vcc, v4, v7, vcc
	global_load_dword v3, v[6:7], off
	v_add_u32_e32 v2, s9, v2
	v_cmp_le_i32_e32 vcc, s16, v2
	s_or_b64 s[2:3], vcc, s[2:3]
	s_waitcnt vmcnt(0)
	ds_write_b32 v1, v3
	v_add_u32_e32 v1, s20, v1
	s_andn2_b64 exec, exec, s[2:3]
	s_cbranch_execnz .LBB17_5
.LBB17_6:
	s_or_b64 exec, exec, s[18:19]
	v_cmp_gt_i32_e32 vcc, s16, v0
	v_mov_b32_e32 v1, 0xff800000
	s_waitcnt lgkmcnt(0)
	s_barrier
	s_and_saveexec_b64 s[8:9], vcc
	s_cbranch_execz .LBB17_10
; %bb.7:
	s_load_dword s2, s[4:5], 0x44
	v_lshl_add_u32 v2, v0, 2, 0
	s_mov_b64 s[18:19], 0
	v_mov_b32_e32 v1, 0xff800000
	v_mov_b32_e32 v3, v0
	s_waitcnt lgkmcnt(0)
	s_and_b32 s20, s2, 0xffff
	s_lshl_b32 s21, s20, 2
.LBB17_8:                               ; =>This Inner Loop Header: Depth=1
	ds_read_b32 v4, v2
	v_add_u32_e32 v3, s20, v3
	v_max_f32_e32 v1, v1, v1
	v_cmp_le_i32_e64 s[2:3], s16, v3
	v_add_u32_e32 v2, s21, v2
	s_waitcnt lgkmcnt(0)
	v_max_f32_e32 v4, v4, v4
	s_or_b64 s[18:19], s[2:3], s[18:19]
	v_max_f32_e32 v1, v1, v4
	s_andn2_b64 exec, exec, s[18:19]
	s_cbranch_execnz .LBB17_8
; %bb.9:
	s_or_b64 exec, exec, s[18:19]
.LBB17_10:
	s_or_b64 exec, exec, s[8:9]
	;;#ASMSTART
	v_max_f32 v2, v1, v1 quad_perm:[1,0,3,2] row_mask:0xf bank_mask:0xf bound_ctrl:1
	;;#ASMEND
	;;#ASMSTART
	v_max_f32 v1, v2, v2 quad_perm:[2,3,0,1] row_mask:0xf bank_mask:0xf bound_ctrl:1
	;;#ASMEND
	;;#ASMSTART
	v_max_f32 v2, v1, v1 row_half_mirror row_mask:0xf bank_mask:0xf bound_ctrl:1
	;;#ASMEND
	;;#ASMSTART
	v_max_f32 v1, v2, v2 row_mirror row_mask:0xf bank_mask:0xf bound_ctrl:1
	;;#ASMEND
	;;#ASMSTART
	v_max_f32 v2, v1, v1 row_ror:4 row_mask:0xf bank_mask:0xf bound_ctrl:1
	;;#ASMEND
	;;#ASMSTART
	v_max_f32 v1, v2, v2 row_ror:8 row_mask:0xf bank_mask:0xf bound_ctrl:1
	;;#ASMEND
	;;#ASMSTART
	v_max_f32 v2, v1, v1 row_bcast:15 row_mask:0xf bank_mask:0xf bound_ctrl:1
	;;#ASMEND
	v_mbcnt_lo_u32_b32 v1, -1, 0
	;;#ASMSTART
	v_max_f32 v3, v2, v2 row_bcast:31 row_mask:0xf bank_mask:0xf bound_ctrl:1
	;;#ASMEND
	v_mbcnt_hi_u32_b32 v1, -1, v1
	v_bfrev_b32_e32 v2, 0.5
	v_lshl_or_b32 v1, v1, 2, v2
	ds_bpermute_b32 v3, v1, v3
	v_mov_b32_e32 v2, 0
	s_and_saveexec_b64 s[18:19], vcc
	s_cbranch_execz .LBB17_14
; %bb.11:
	s_load_dword s2, s[4:5], 0x44
	v_lshl_add_u32 v4, v0, 2, 0
	s_mov_b64 s[20:21], 0
	v_mov_b32_e32 v2, 0
	s_mov_b32 s22, 0xc2fc0000
	s_waitcnt lgkmcnt(0)
	s_and_b32 s23, s2, 0xffff
	s_lshl_b32 s24, s23, 2
	v_mov_b32_e32 v5, 0x42800000
	v_mov_b32_e32 v6, 0x1f800000
	;; [unrolled: 1-line block ×3, first 2 shown]
.LBB17_12:                              ; =>This Inner Loop Header: Depth=1
	ds_read_b32 v8, v4
	v_add_u32_e32 v7, s23, v7
	v_cmp_le_i32_e64 s[8:9], s16, v7
	s_or_b64 s[20:21], s[8:9], s[20:21]
	s_waitcnt lgkmcnt(0)
	v_sub_f32_e32 v8, v8, v3
	v_mul_f32_e32 v9, 0x3fb8aa3b, v8
	v_cmp_gt_f32_e64 s[2:3], s22, v9
	v_cndmask_b32_e64 v9, 0, v5, s[2:3]
	v_fmac_f32_e32 v9, 0x3fb8aa3b, v8
	v_exp_f32_e32 v8, v9
	v_cndmask_b32_e64 v9, 1.0, v6, s[2:3]
	v_mul_f32_e32 v10, v8, v9
	v_fmac_f32_e32 v2, v8, v9
	ds_write_b32 v4, v10
	v_add_u32_e32 v4, s24, v4
	s_andn2_b64 exec, exec, s[20:21]
	s_cbranch_execnz .LBB17_12
; %bb.13:
	s_or_b64 exec, exec, s[20:21]
.LBB17_14:
	s_or_b64 exec, exec, s[18:19]
	s_waitcnt lgkmcnt(0)
	v_mov_b32_dpp v3, v2 quad_perm:[1,0,3,2] row_mask:0xf bank_mask:0xf
	v_add_f32_e32 v2, v2, v3
	s_nop 1
	v_mov_b32_dpp v3, v2 quad_perm:[2,3,0,1] row_mask:0xf bank_mask:0xf
	v_add_f32_e32 v2, v2, v3
	s_nop 1
	v_mov_b32_dpp v3, v2 row_half_mirror row_mask:0xf bank_mask:0xf
	v_add_f32_e32 v2, v2, v3
	s_nop 1
	v_mov_b32_dpp v3, v2 row_mirror row_mask:0xf bank_mask:0xf
	v_add_f32_e32 v2, v2, v3
	s_nop 1
	v_mov_b32_dpp v3, v2 row_bcast:15 row_mask:0xf bank_mask:0xf
	v_add_f32_e32 v2, v2, v3
	s_nop 1
	v_mov_b32_dpp v3, v2 row_bcast:31 row_mask:0xf bank_mask:0xf
	v_add_f32_e32 v2, v2, v3
	ds_bpermute_b32 v2, v1, v2
	s_and_saveexec_b64 s[8:9], vcc
	s_cbranch_execz .LBB17_19
; %bb.15:
	s_load_dword s20, s[4:5], 0x44
	s_waitcnt lgkmcnt(0)
	v_rcp_f32_e32 v4, v2
	s_cmp_lg_u64 s[10:11], 0
	s_cselect_b64 s[2:3], -1, 0
	v_cndmask_b32_e64 v2, 0, 1, s[2:3]
	s_and_b32 s20, s20, 0xffff
	s_mov_b64 s[18:19], 0
	v_lshl_add_u32 v5, v0, 2, 0
	s_lshl_b32 s21, s20, 2
	v_cmp_ne_u32_e64 s[2:3], 1, v2
	v_mov_b32_e32 v2, v0
	s_branch .LBB17_17
.LBB17_16:                              ;   in Loop: Header=BB17_17 Depth=1
	v_add_u32_e32 v2, s20, v2
	v_cmp_le_i32_e32 vcc, s16, v2
	s_or_b64 s[18:19], vcc, s[18:19]
	v_add_u32_e32 v5, s21, v5
	s_andn2_b64 exec, exec, s[18:19]
	s_cbranch_execz .LBB17_19
.LBB17_17:                              ; =>This Inner Loop Header: Depth=1
	ds_read_b32 v3, v5
	s_and_b64 vcc, exec, s[2:3]
	s_waitcnt lgkmcnt(0)
	v_mul_f32_e32 v6, v4, v3
	ds_write_b32 v5, v6
	s_cbranch_vccnz .LBB17_16
; %bb.18:                               ;   in Loop: Header=BB17_17 Depth=1
	v_ashrrev_i32_e32 v3, 31, v2
	v_lshlrev_b64 v[8:9], 2, v[2:3]
	v_mov_b32_e32 v3, s11
	v_add_co_u32_e32 v8, vcc, s10, v8
	v_addc_co_u32_e32 v9, vcc, v3, v9, vcc
	global_load_dword v3, v[8:9], off
	s_waitcnt vmcnt(0)
	v_add_f32_e32 v3, v6, v3
	ds_write_b32 v5, v3
	s_branch .LBB17_16
.LBB17_19:
	s_or_b64 exec, exec, s[8:9]
	s_cmp_lt_i32 s17, 1
	v_mov_b32_e32 v3, 0
	s_waitcnt lgkmcnt(0)
	s_barrier
	s_cbranch_scc1 .LBB17_28
; %bb.20:
	s_add_u32 s2, s4, 56
	s_addc_u32 s3, s5, 0
	s_cmp_lg_u64 s[10:11], 0
	s_cselect_b64 s[8:9], -1, 0
	v_lshlrev_b32_e32 v5, 1, v0
	v_lshl_add_u32 v6, v0, 3, 0
	s_mov_b32 s16, 0
	v_mov_b32_e32 v3, 0
	v_mov_b32_e32 v7, 0xff800000
	;; [unrolled: 1-line block ×4, first 2 shown]
	s_branch .LBB17_22
.LBB17_21:                              ;   in Loop: Header=BB17_22 Depth=1
	s_lshl_b32 s19, s18, 2
	s_add_i32 s19, s19, 0
	v_mov_b32_e32 v8, s19
	ds_write_b32 v8, v7
	v_mov_b32_e32 v8, s18
	v_cmp_eq_u32_e32 vcc, s16, v0
	s_add_i32 s16, s16, 1
	v_cndmask_b32_e32 v2, v2, v8, vcc
	v_cndmask_b32_e32 v3, v3, v10, vcc
	s_cmp_eq_u32 s16, s17
	v_add_f32_e32 v4, v4, v10
	s_cbranch_scc1 .LBB17_29
.LBB17_22:                              ; =>This Loop Header: Depth=1
                                        ;     Child Loop BB17_24 Depth 2
	v_mov_b32_e32 v8, s16
	v_mov_b32_e32 v9, 0xff800000
	s_and_saveexec_b64 s[18:19], s[0:1]
	s_cbranch_execz .LBB17_26
; %bb.23:                               ;   in Loop: Header=BB17_22 Depth=1
	s_load_dword s22, s[2:3], 0xc
	s_mov_b64 s[20:21], 0
	v_mov_b32_e32 v8, s16
	v_mov_b32_e32 v9, 0xff800000
	;; [unrolled: 1-line block ×3, first 2 shown]
	s_waitcnt lgkmcnt(0)
	s_and_b32 s22, s22, 0xffff
	s_lshl_b32 s23, s22, 1
	s_lshl_b32 s24, s22, 3
	v_mov_b32_e32 v11, v5
	v_mov_b32_e32 v12, v0
.LBB17_24:                              ;   Parent Loop BB17_22 Depth=1
                                        ; =>  This Inner Loop Header: Depth=2
	ds_read_b64 v[14:15], v10
	v_add_u32_e32 v12, s22, v12
	v_cmp_le_i32_e32 vcc, s7, v12
	s_or_b64 s[20:21], vcc, s[20:21]
	v_add_u32_e32 v13, 1, v11
	s_waitcnt lgkmcnt(0)
	v_cmp_gt_f32_e32 vcc, v14, v9
	v_cndmask_b32_e32 v9, v9, v14, vcc
	v_cndmask_b32_e32 v8, v8, v11, vcc
	v_cmp_gt_f32_e32 vcc, v15, v9
	v_add_u32_e32 v10, s24, v10
	v_cndmask_b32_e32 v9, v9, v15, vcc
	v_add_u32_e32 v11, s23, v11
	v_cndmask_b32_e32 v8, v8, v13, vcc
	s_andn2_b64 exec, exec, s[20:21]
	s_cbranch_execnz .LBB17_24
; %bb.25:                               ;   in Loop: Header=BB17_22 Depth=1
	s_or_b64 exec, exec, s[20:21]
.LBB17_26:                              ;   in Loop: Header=BB17_22 Depth=1
	s_or_b64 exec, exec, s[18:19]
	;;#ASMSTART
	v_max_f32 v10, v9, v9 quad_perm:[1,0,3,2] row_mask:0xf bank_mask:0xf bound_ctrl:1
	;;#ASMEND
	;;#ASMSTART
	v_max_f32 v11, v10, v10 quad_perm:[2,3,0,1] row_mask:0xf bank_mask:0xf bound_ctrl:1
	;;#ASMEND
	;;#ASMSTART
	v_max_f32 v10, v11, v11 row_half_mirror row_mask:0xf bank_mask:0xf bound_ctrl:1
	;;#ASMEND
	;;#ASMSTART
	v_max_f32 v11, v10, v10 row_mirror row_mask:0xf bank_mask:0xf bound_ctrl:1
	;;#ASMEND
	;;#ASMSTART
	v_max_f32 v10, v11, v11 row_ror:4 row_mask:0xf bank_mask:0xf bound_ctrl:1
	;;#ASMEND
	;;#ASMSTART
	v_max_f32 v11, v10, v10 row_ror:8 row_mask:0xf bank_mask:0xf bound_ctrl:1
	;;#ASMEND
	;;#ASMSTART
	v_max_f32 v10, v11, v11 row_bcast:15 row_mask:0xf bank_mask:0xf bound_ctrl:1
	;;#ASMEND
	;;#ASMSTART
	v_max_f32 v11, v10, v10 row_bcast:31 row_mask:0xf bank_mask:0xf bound_ctrl:1
	;;#ASMEND
	ds_bpermute_b32 v10, v1, v11
	s_waitcnt lgkmcnt(0)
	v_cmp_eq_f32_e32 vcc, v9, v10
	s_ff1_i32_b64 s18, vcc
	s_cmp_lg_u64 vcc, 0
	s_cselect_b32 s18, s18, 0
	s_and_b64 vcc, exec, s[8:9]
	v_readlane_b32 s18, v8, s18
	s_cbranch_vccz .LBB17_21
; %bb.27:                               ;   in Loop: Header=BB17_22 Depth=1
	s_ashr_i32 s19, s18, 31
	s_lshl_b64 s[20:21], s[18:19], 2
	s_add_u32 s20, s10, s20
	s_addc_u32 s21, s11, s21
	s_load_dword s19, s[20:21], 0x0
	s_waitcnt lgkmcnt(0)
	v_subrev_f32_e32 v10, s19, v10
	s_branch .LBB17_21
.LBB17_28:
	v_mov_b32_e32 v2, 0
	v_mov_b32_e32 v4, 0
.LBB17_29:
	v_cmp_gt_i32_e32 vcc, s17, v0
	s_and_saveexec_b64 s[0:1], vcc
	s_cbranch_execz .LBB17_32
; %bb.30:
	s_load_dword s2, s[4:5], 0x34
	v_max_f32_e32 v1, v4, v4
	v_max_f32_e32 v1, 0x1e3ce508, v1
	s_load_dword s3, s[4:5], 0x44
	s_waitcnt lgkmcnt(0)
	v_div_scale_f32 v4, s[0:1], v1, v1, s2
	s_load_dwordx2 s[0:1], s[4:5], 0x20
	v_rcp_f32_e32 v5, v4
	v_div_scale_f32 v6, vcc, s2, v1, s2
	s_and_b32 s3, s3, 0xffff
	v_fma_f32 v7, -v4, v5, 1.0
	v_fmac_f32_e32 v5, v7, v5
	v_mul_f32_e32 v7, v6, v5
	v_fma_f32 v8, -v4, v7, v6
	v_fmac_f32_e32 v7, v8, v5
	v_fma_f32 v4, -v4, v7, v6
	v_div_fmas_f32 v4, v4, v5, v7
	v_div_fixup_f32 v1, v4, v1, s2
	s_ashr_i32 s2, s6, 31
	s_waitcnt lgkmcnt(0)
	s_mul_i32 s1, s6, s1
	s_mul_hi_u32 s4, s6, s0
	s_add_i32 s1, s4, s1
	s_mul_i32 s2, s2, s0
	s_add_i32 s4, s1, s2
	v_mul_f32_e32 v1, v3, v1
	s_mul_i32 s2, s6, s0
	s_mov_b64 s[0:1], 0
	v_mov_b32_e32 v3, s4
	v_mov_b32_e32 v4, s13
	;; [unrolled: 1-line block ×3, first 2 shown]
.LBB17_31:                              ; =>This Inner Loop Header: Depth=1
	v_ashrrev_i32_e32 v7, 31, v0
	v_add_co_u32_e32 v6, vcc, s2, v0
	v_addc_co_u32_e32 v7, vcc, v3, v7, vcc
	v_add_u32_e32 v0, s3, v0
	v_cmp_le_i32_e32 vcc, s17, v0
	v_lshlrev_b64 v[6:7], 2, v[6:7]
	s_or_b64 s[0:1], vcc, s[0:1]
	v_add_co_u32_e32 v8, vcc, s12, v6
	v_addc_co_u32_e32 v9, vcc, v4, v7, vcc
	v_add_co_u32_e32 v6, vcc, s14, v6
	v_addc_co_u32_e32 v7, vcc, v5, v7, vcc
	global_store_dword v[8:9], v1, off
	global_store_dword v[6:7], v2, off
	s_andn2_b64 exec, exec, s[0:1]
	s_cbranch_execnz .LBB17_31
.LBB17_32:
	s_endpgm
	.section	.rodata,"a",@progbits
	.p2align	6, 0x0
	.amdhsa_kernel _ZN5aiter20topk_softplus_kernelIffDv2_fLb1ELi2EEEvPKT_PKT0_PfPimiiif
		.amdhsa_group_segment_fixed_size 0
		.amdhsa_private_segment_fixed_size 0
		.amdhsa_kernarg_size 312
		.amdhsa_user_sgpr_count 6
		.amdhsa_user_sgpr_private_segment_buffer 1
		.amdhsa_user_sgpr_dispatch_ptr 0
		.amdhsa_user_sgpr_queue_ptr 0
		.amdhsa_user_sgpr_kernarg_segment_ptr 1
		.amdhsa_user_sgpr_dispatch_id 0
		.amdhsa_user_sgpr_flat_scratch_init 0
		.amdhsa_user_sgpr_kernarg_preload_length 0
		.amdhsa_user_sgpr_kernarg_preload_offset 0
		.amdhsa_user_sgpr_private_segment_size 0
		.amdhsa_uses_dynamic_stack 0
		.amdhsa_system_sgpr_private_segment_wavefront_offset 0
		.amdhsa_system_sgpr_workgroup_id_x 1
		.amdhsa_system_sgpr_workgroup_id_y 0
		.amdhsa_system_sgpr_workgroup_id_z 0
		.amdhsa_system_sgpr_workgroup_info 0
		.amdhsa_system_vgpr_workitem_id 0
		.amdhsa_next_free_vgpr 16
		.amdhsa_next_free_sgpr 25
		.amdhsa_accum_offset 16
		.amdhsa_reserve_vcc 1
		.amdhsa_reserve_flat_scratch 0
		.amdhsa_float_round_mode_32 0
		.amdhsa_float_round_mode_16_64 0
		.amdhsa_float_denorm_mode_32 3
		.amdhsa_float_denorm_mode_16_64 3
		.amdhsa_dx10_clamp 1
		.amdhsa_ieee_mode 1
		.amdhsa_fp16_overflow 0
		.amdhsa_tg_split 0
		.amdhsa_exception_fp_ieee_invalid_op 0
		.amdhsa_exception_fp_denorm_src 0
		.amdhsa_exception_fp_ieee_div_zero 0
		.amdhsa_exception_fp_ieee_overflow 0
		.amdhsa_exception_fp_ieee_underflow 0
		.amdhsa_exception_fp_ieee_inexact 0
		.amdhsa_exception_int_div_zero 0
	.end_amdhsa_kernel
	.section	.text._ZN5aiter20topk_softplus_kernelIffDv2_fLb1ELi2EEEvPKT_PKT0_PfPimiiif,"axG",@progbits,_ZN5aiter20topk_softplus_kernelIffDv2_fLb1ELi2EEEvPKT_PKT0_PfPimiiif,comdat
.Lfunc_end17:
	.size	_ZN5aiter20topk_softplus_kernelIffDv2_fLb1ELi2EEEvPKT_PKT0_PfPimiiif, .Lfunc_end17-_ZN5aiter20topk_softplus_kernelIffDv2_fLb1ELi2EEEvPKT_PKT0_PfPimiiif
                                        ; -- End function
	.section	.AMDGPU.csdata,"",@progbits
; Kernel info:
; codeLenInByte = 1748
; NumSgprs: 29
; NumVgprs: 16
; NumAgprs: 0
; TotalNumVgprs: 16
; ScratchSize: 0
; MemoryBound: 0
; FloatMode: 240
; IeeeMode: 1
; LDSByteSize: 0 bytes/workgroup (compile time only)
; SGPRBlocks: 3
; VGPRBlocks: 1
; NumSGPRsForWavesPerEU: 29
; NumVGPRsForWavesPerEU: 16
; AccumOffset: 16
; Occupancy: 8
; WaveLimiterHint : 0
; COMPUTE_PGM_RSRC2:SCRATCH_EN: 0
; COMPUTE_PGM_RSRC2:USER_SGPR: 6
; COMPUTE_PGM_RSRC2:TRAP_HANDLER: 0
; COMPUTE_PGM_RSRC2:TGID_X_EN: 1
; COMPUTE_PGM_RSRC2:TGID_Y_EN: 0
; COMPUTE_PGM_RSRC2:TGID_Z_EN: 0
; COMPUTE_PGM_RSRC2:TIDIG_COMP_CNT: 0
; COMPUTE_PGM_RSRC3_GFX90A:ACCUM_OFFSET: 3
; COMPUTE_PGM_RSRC3_GFX90A:TG_SPLIT: 0
	.section	.text._ZN5aiter20topk_softplus_kernelIffDv2_fLb0ELi2EEEvPKT_PKT0_PfPimiiif,"axG",@progbits,_ZN5aiter20topk_softplus_kernelIffDv2_fLb0ELi2EEEvPKT_PKT0_PfPimiiif,comdat
	.protected	_ZN5aiter20topk_softplus_kernelIffDv2_fLb0ELi2EEEvPKT_PKT0_PfPimiiif ; -- Begin function _ZN5aiter20topk_softplus_kernelIffDv2_fLb0ELi2EEEvPKT_PKT0_PfPimiiif
	.globl	_ZN5aiter20topk_softplus_kernelIffDv2_fLb0ELi2EEEvPKT_PKT0_PfPimiiif
	.p2align	8
	.type	_ZN5aiter20topk_softplus_kernelIffDv2_fLb0ELi2EEEvPKT_PKT0_PfPimiiif,@function
_ZN5aiter20topk_softplus_kernelIffDv2_fLb0ELi2EEEvPKT_PKT0_PfPimiiif: ; @_ZN5aiter20topk_softplus_kernelIffDv2_fLb0ELi2EEEvPKT_PKT0_PfPimiiif
; %bb.0:
	s_load_dwordx2 s[16:17], s[4:5], 0x28
	s_load_dwordx8 s[8:15], s[4:5], 0x0
	s_waitcnt lgkmcnt(0)
	s_lshr_b32 s0, s16, 31
	s_add_i32 s0, s16, s0
	s_mul_i32 s2, s6, s16
	s_ashr_i32 s7, s0, 1
	s_ashr_i32 s3, s2, 31
	v_cmp_gt_i32_e64 s[0:1], s7, v0
	s_and_saveexec_b64 s[18:19], s[0:1]
	s_cbranch_execz .LBB18_3
; %bb.1:
	s_load_dword s22, s[4:5], 0x44
	s_lshl_b64 s[20:21], s[2:3], 2
	v_lshlrev_b32_e32 v1, 3, v0
	s_mov_b32 s24, 0
	v_mov_b32_e32 v4, s24
	s_waitcnt lgkmcnt(0)
	s_and_b32 s22, s22, 0xffff
	s_add_u32 s20, s8, s20
	s_addc_u32 s21, s9, s21
	v_mov_b32_e32 v3, s21
	v_add_co_u32_e32 v2, vcc, s20, v1
	v_addc_co_u32_e32 v3, vcc, 0, v3, vcc
	s_lshl_b32 s23, s22, 3
	v_add_u32_e32 v1, 0, v1
	s_mov_b64 s[20:21], 0
	v_mov_b32_e32 v5, v0
.LBB18_2:                               ; =>This Inner Loop Header: Depth=1
	global_load_dwordx2 v[6:7], v[2:3], off
	v_add_co_u32_e32 v2, vcc, s23, v2
	v_add_u32_e32 v5, s22, v5
	v_addc_co_u32_e32 v3, vcc, v3, v4, vcc
	v_cmp_le_i32_e32 vcc, s7, v5
	s_or_b64 s[20:21], vcc, s[20:21]
	s_waitcnt vmcnt(0)
	ds_write_b64 v1, v[6:7]
	v_add_u32_e32 v1, s23, v1
	s_andn2_b64 exec, exec, s[20:21]
	s_cbranch_execnz .LBB18_2
.LBB18_3:
	s_or_b64 exec, exec, s[18:19]
	v_lshl_add_u32 v2, s7, 1, v0
	v_cmp_gt_i32_e32 vcc, s16, v2
	s_and_saveexec_b64 s[18:19], vcc
	s_cbranch_execz .LBB18_6
; %bb.4:
	s_load_dword s20, s[4:5], 0x44
	s_lshl_b64 s[2:3], s[2:3], 2
	s_add_u32 s8, s8, s2
	s_addc_u32 s21, s9, s3
	s_lshl_b32 s2, s7, 3
	s_waitcnt lgkmcnt(0)
	s_and_b32 s9, s20, 0xffff
	s_add_i32 s2, s2, 0
	v_lshl_add_u32 v1, v0, 2, s2
	s_lshl_b32 s20, s9, 2
	s_mov_b64 s[2:3], 0
	v_mov_b32_e32 v4, s21
.LBB18_5:                               ; =>This Inner Loop Header: Depth=1
	v_ashrrev_i32_e32 v3, 31, v2
	v_lshlrev_b64 v[6:7], 2, v[2:3]
	v_add_co_u32_e32 v6, vcc, s8, v6
	v_addc_co_u32_e32 v7, vcc, v4, v7, vcc
	global_load_dword v3, v[6:7], off
	v_add_u32_e32 v2, s9, v2
	v_cmp_le_i32_e32 vcc, s16, v2
	s_or_b64 s[2:3], vcc, s[2:3]
	s_waitcnt vmcnt(0)
	ds_write_b32 v1, v3
	v_add_u32_e32 v1, s20, v1
	s_andn2_b64 exec, exec, s[2:3]
	s_cbranch_execnz .LBB18_5
.LBB18_6:
	s_or_b64 exec, exec, s[18:19]
	v_cmp_gt_i32_e32 vcc, s16, v0
	v_mov_b32_e32 v1, 0xff800000
	s_waitcnt lgkmcnt(0)
	s_barrier
	s_and_saveexec_b64 s[8:9], vcc
	s_cbranch_execz .LBB18_10
; %bb.7:
	s_load_dword s2, s[4:5], 0x44
	v_lshl_add_u32 v2, v0, 2, 0
	s_mov_b64 s[18:19], 0
	v_mov_b32_e32 v1, 0xff800000
	v_mov_b32_e32 v3, v0
	s_waitcnt lgkmcnt(0)
	s_and_b32 s20, s2, 0xffff
	s_lshl_b32 s21, s20, 2
.LBB18_8:                               ; =>This Inner Loop Header: Depth=1
	ds_read_b32 v4, v2
	v_add_u32_e32 v3, s20, v3
	v_max_f32_e32 v1, v1, v1
	v_cmp_le_i32_e64 s[2:3], s16, v3
	v_add_u32_e32 v2, s21, v2
	s_waitcnt lgkmcnt(0)
	v_max_f32_e32 v4, v4, v4
	s_or_b64 s[18:19], s[2:3], s[18:19]
	v_max_f32_e32 v1, v1, v4
	s_andn2_b64 exec, exec, s[18:19]
	s_cbranch_execnz .LBB18_8
; %bb.9:
	s_or_b64 exec, exec, s[18:19]
.LBB18_10:
	s_or_b64 exec, exec, s[8:9]
	;;#ASMSTART
	v_max_f32 v2, v1, v1 quad_perm:[1,0,3,2] row_mask:0xf bank_mask:0xf bound_ctrl:1
	;;#ASMEND
	;;#ASMSTART
	v_max_f32 v1, v2, v2 quad_perm:[2,3,0,1] row_mask:0xf bank_mask:0xf bound_ctrl:1
	;;#ASMEND
	;;#ASMSTART
	v_max_f32 v2, v1, v1 row_half_mirror row_mask:0xf bank_mask:0xf bound_ctrl:1
	;;#ASMEND
	;;#ASMSTART
	v_max_f32 v1, v2, v2 row_mirror row_mask:0xf bank_mask:0xf bound_ctrl:1
	;;#ASMEND
	;;#ASMSTART
	v_max_f32 v2, v1, v1 row_ror:4 row_mask:0xf bank_mask:0xf bound_ctrl:1
	;;#ASMEND
	;;#ASMSTART
	v_max_f32 v1, v2, v2 row_ror:8 row_mask:0xf bank_mask:0xf bound_ctrl:1
	;;#ASMEND
	;;#ASMSTART
	v_max_f32 v2, v1, v1 row_bcast:15 row_mask:0xf bank_mask:0xf bound_ctrl:1
	;;#ASMEND
	v_mbcnt_lo_u32_b32 v1, -1, 0
	;;#ASMSTART
	v_max_f32 v3, v2, v2 row_bcast:31 row_mask:0xf bank_mask:0xf bound_ctrl:1
	;;#ASMEND
	v_mbcnt_hi_u32_b32 v1, -1, v1
	v_bfrev_b32_e32 v2, 0.5
	v_lshl_or_b32 v1, v1, 2, v2
	ds_bpermute_b32 v3, v1, v3
	v_mov_b32_e32 v2, 0
	s_and_saveexec_b64 s[18:19], vcc
	s_cbranch_execz .LBB18_14
; %bb.11:
	s_load_dword s2, s[4:5], 0x44
	v_lshl_add_u32 v4, v0, 2, 0
	s_mov_b64 s[20:21], 0
	v_mov_b32_e32 v2, 0
	s_mov_b32 s22, 0xc2fc0000
	s_waitcnt lgkmcnt(0)
	s_and_b32 s23, s2, 0xffff
	s_lshl_b32 s24, s23, 2
	v_mov_b32_e32 v5, 0x42800000
	v_mov_b32_e32 v6, 0x1f800000
	;; [unrolled: 1-line block ×3, first 2 shown]
.LBB18_12:                              ; =>This Inner Loop Header: Depth=1
	ds_read_b32 v8, v4
	v_add_u32_e32 v7, s23, v7
	v_cmp_le_i32_e64 s[8:9], s16, v7
	s_or_b64 s[20:21], s[8:9], s[20:21]
	s_waitcnt lgkmcnt(0)
	v_sub_f32_e32 v8, v8, v3
	v_mul_f32_e32 v9, 0x3fb8aa3b, v8
	v_cmp_gt_f32_e64 s[2:3], s22, v9
	v_cndmask_b32_e64 v9, 0, v5, s[2:3]
	v_fmac_f32_e32 v9, 0x3fb8aa3b, v8
	v_exp_f32_e32 v8, v9
	v_cndmask_b32_e64 v9, 1.0, v6, s[2:3]
	v_mul_f32_e32 v10, v8, v9
	v_fmac_f32_e32 v2, v8, v9
	ds_write_b32 v4, v10
	v_add_u32_e32 v4, s24, v4
	s_andn2_b64 exec, exec, s[20:21]
	s_cbranch_execnz .LBB18_12
; %bb.13:
	s_or_b64 exec, exec, s[20:21]
.LBB18_14:
	s_or_b64 exec, exec, s[18:19]
	s_waitcnt lgkmcnt(0)
	v_mov_b32_dpp v3, v2 quad_perm:[1,0,3,2] row_mask:0xf bank_mask:0xf
	v_add_f32_e32 v2, v2, v3
	s_nop 1
	v_mov_b32_dpp v3, v2 quad_perm:[2,3,0,1] row_mask:0xf bank_mask:0xf
	v_add_f32_e32 v2, v2, v3
	s_nop 1
	v_mov_b32_dpp v3, v2 row_half_mirror row_mask:0xf bank_mask:0xf
	v_add_f32_e32 v2, v2, v3
	s_nop 1
	v_mov_b32_dpp v3, v2 row_mirror row_mask:0xf bank_mask:0xf
	v_add_f32_e32 v2, v2, v3
	s_nop 1
	v_mov_b32_dpp v3, v2 row_bcast:15 row_mask:0xf bank_mask:0xf
	v_add_f32_e32 v2, v2, v3
	s_nop 1
	v_mov_b32_dpp v3, v2 row_bcast:31 row_mask:0xf bank_mask:0xf
	v_add_f32_e32 v2, v2, v3
	ds_bpermute_b32 v2, v1, v2
	s_and_saveexec_b64 s[8:9], vcc
	s_cbranch_execz .LBB18_19
; %bb.15:
	s_load_dword s20, s[4:5], 0x44
	s_waitcnt lgkmcnt(0)
	v_rcp_f32_e32 v4, v2
	s_cmp_lg_u64 s[10:11], 0
	s_cselect_b64 s[2:3], -1, 0
	v_cndmask_b32_e64 v2, 0, 1, s[2:3]
	s_and_b32 s20, s20, 0xffff
	s_mov_b64 s[18:19], 0
	v_lshl_add_u32 v5, v0, 2, 0
	s_lshl_b32 s21, s20, 2
	v_cmp_ne_u32_e64 s[2:3], 1, v2
	v_mov_b32_e32 v2, v0
	s_branch .LBB18_17
.LBB18_16:                              ;   in Loop: Header=BB18_17 Depth=1
	v_add_u32_e32 v2, s20, v2
	v_cmp_le_i32_e32 vcc, s16, v2
	s_or_b64 s[18:19], vcc, s[18:19]
	v_add_u32_e32 v5, s21, v5
	s_andn2_b64 exec, exec, s[18:19]
	s_cbranch_execz .LBB18_19
.LBB18_17:                              ; =>This Inner Loop Header: Depth=1
	ds_read_b32 v3, v5
	s_and_b64 vcc, exec, s[2:3]
	s_waitcnt lgkmcnt(0)
	v_mul_f32_e32 v6, v4, v3
	ds_write_b32 v5, v6
	s_cbranch_vccnz .LBB18_16
; %bb.18:                               ;   in Loop: Header=BB18_17 Depth=1
	v_ashrrev_i32_e32 v3, 31, v2
	v_lshlrev_b64 v[8:9], 2, v[2:3]
	v_mov_b32_e32 v3, s11
	v_add_co_u32_e32 v8, vcc, s10, v8
	v_addc_co_u32_e32 v9, vcc, v3, v9, vcc
	global_load_dword v3, v[8:9], off
	s_waitcnt vmcnt(0)
	v_add_f32_e32 v3, v6, v3
	ds_write_b32 v5, v3
	s_branch .LBB18_16
.LBB18_19:
	s_or_b64 exec, exec, s[8:9]
	s_cmp_lt_i32 s17, 1
	s_waitcnt lgkmcnt(0)
	s_barrier
	s_cbranch_scc1 .LBB18_28
; %bb.20:
	s_add_u32 s2, s4, 56
	s_addc_u32 s3, s5, 0
	s_cmp_lg_u64 s[10:11], 0
	s_cselect_b64 s[8:9], -1, 0
	v_lshlrev_b32_e32 v4, 1, v0
	s_mov_b32 s16, 0
	v_mov_b32_e32 v2, 0
	v_lshl_add_u32 v5, v0, 3, 0
	v_mov_b32_e32 v3, 0
	v_mov_b32_e32 v6, 0xff800000
	s_branch .LBB18_22
.LBB18_21:                              ;   in Loop: Header=BB18_22 Depth=1
	s_lshl_b32 s19, s18, 2
	s_add_i32 s19, s19, 0
	v_mov_b32_e32 v7, s19
	ds_write_b32 v7, v6
	v_mov_b32_e32 v7, s18
	v_cmp_eq_u32_e32 vcc, s16, v0
	s_add_i32 s16, s16, 1
	v_cndmask_b32_e32 v2, v2, v7, vcc
	s_cmp_eq_u32 s16, s17
	v_cndmask_b32_e32 v3, v3, v9, vcc
	s_cbranch_scc1 .LBB18_29
.LBB18_22:                              ; =>This Loop Header: Depth=1
                                        ;     Child Loop BB18_24 Depth 2
	v_mov_b32_e32 v7, s16
	v_mov_b32_e32 v8, 0xff800000
	s_and_saveexec_b64 s[18:19], s[0:1]
	s_cbranch_execz .LBB18_26
; %bb.23:                               ;   in Loop: Header=BB18_22 Depth=1
	s_load_dword s22, s[2:3], 0xc
	s_mov_b64 s[20:21], 0
	v_mov_b32_e32 v7, s16
	v_mov_b32_e32 v8, 0xff800000
	;; [unrolled: 1-line block ×3, first 2 shown]
	s_waitcnt lgkmcnt(0)
	s_and_b32 s22, s22, 0xffff
	s_lshl_b32 s23, s22, 1
	s_lshl_b32 s24, s22, 3
	v_mov_b32_e32 v10, v4
	v_mov_b32_e32 v11, v0
.LBB18_24:                              ;   Parent Loop BB18_22 Depth=1
                                        ; =>  This Inner Loop Header: Depth=2
	ds_read_b64 v[12:13], v9
	v_add_u32_e32 v11, s22, v11
	v_cmp_le_i32_e32 vcc, s7, v11
	s_or_b64 s[20:21], vcc, s[20:21]
	v_add_u32_e32 v14, 1, v10
	s_waitcnt lgkmcnt(0)
	v_cmp_gt_f32_e32 vcc, v12, v8
	v_cndmask_b32_e32 v8, v8, v12, vcc
	v_cndmask_b32_e32 v7, v7, v10, vcc
	v_cmp_gt_f32_e32 vcc, v13, v8
	v_add_u32_e32 v9, s24, v9
	v_cndmask_b32_e32 v8, v8, v13, vcc
	v_add_u32_e32 v10, s23, v10
	v_cndmask_b32_e32 v7, v7, v14, vcc
	s_andn2_b64 exec, exec, s[20:21]
	s_cbranch_execnz .LBB18_24
; %bb.25:                               ;   in Loop: Header=BB18_22 Depth=1
	s_or_b64 exec, exec, s[20:21]
.LBB18_26:                              ;   in Loop: Header=BB18_22 Depth=1
	s_or_b64 exec, exec, s[18:19]
	;;#ASMSTART
	v_max_f32 v9, v8, v8 quad_perm:[1,0,3,2] row_mask:0xf bank_mask:0xf bound_ctrl:1
	;;#ASMEND
	;;#ASMSTART
	v_max_f32 v10, v9, v9 quad_perm:[2,3,0,1] row_mask:0xf bank_mask:0xf bound_ctrl:1
	;;#ASMEND
	;;#ASMSTART
	v_max_f32 v9, v10, v10 row_half_mirror row_mask:0xf bank_mask:0xf bound_ctrl:1
	;;#ASMEND
	;;#ASMSTART
	v_max_f32 v10, v9, v9 row_mirror row_mask:0xf bank_mask:0xf bound_ctrl:1
	;;#ASMEND
	;;#ASMSTART
	v_max_f32 v9, v10, v10 row_ror:4 row_mask:0xf bank_mask:0xf bound_ctrl:1
	;;#ASMEND
	;;#ASMSTART
	v_max_f32 v10, v9, v9 row_ror:8 row_mask:0xf bank_mask:0xf bound_ctrl:1
	;;#ASMEND
	;;#ASMSTART
	v_max_f32 v9, v10, v10 row_bcast:15 row_mask:0xf bank_mask:0xf bound_ctrl:1
	;;#ASMEND
	;;#ASMSTART
	v_max_f32 v10, v9, v9 row_bcast:31 row_mask:0xf bank_mask:0xf bound_ctrl:1
	;;#ASMEND
	ds_bpermute_b32 v9, v1, v10
	s_waitcnt lgkmcnt(0)
	v_cmp_eq_f32_e32 vcc, v8, v9
	s_ff1_i32_b64 s18, vcc
	s_cmp_lg_u64 vcc, 0
	s_cselect_b32 s18, s18, 0
	s_and_b64 vcc, exec, s[8:9]
	v_readlane_b32 s18, v7, s18
	s_cbranch_vccz .LBB18_21
; %bb.27:                               ;   in Loop: Header=BB18_22 Depth=1
	s_ashr_i32 s19, s18, 31
	s_lshl_b64 s[20:21], s[18:19], 2
	s_add_u32 s20, s10, s20
	s_addc_u32 s21, s11, s21
	s_load_dword s19, s[20:21], 0x0
	s_waitcnt lgkmcnt(0)
	v_subrev_f32_e32 v9, s19, v9
	s_branch .LBB18_21
.LBB18_28:
	v_mov_b32_e32 v3, 0
	v_mov_b32_e32 v2, 0
.LBB18_29:
	v_cmp_gt_i32_e32 vcc, s17, v0
	s_and_saveexec_b64 s[0:1], vcc
	s_cbranch_execz .LBB18_32
; %bb.30:
	s_load_dword s2, s[4:5], 0x34
	s_load_dwordx2 s[0:1], s[4:5], 0x20
	s_ashr_i32 s3, s6, 31
	s_load_dword s4, s[4:5], 0x44
	v_mov_b32_e32 v4, s13
	s_waitcnt lgkmcnt(0)
	v_mul_f32_e32 v1, s2, v3
	s_mul_i32 s1, s6, s1
	s_mul_hi_u32 s2, s6, s0
	s_add_i32 s1, s2, s1
	s_mul_i32 s3, s3, s0
	s_add_i32 s5, s1, s3
	s_mul_i32 s2, s6, s0
	s_and_b32 s3, s4, 0xffff
	s_mov_b64 s[0:1], 0
	v_mov_b32_e32 v3, s5
	v_mov_b32_e32 v5, s15
.LBB18_31:                              ; =>This Inner Loop Header: Depth=1
	v_ashrrev_i32_e32 v7, 31, v0
	v_add_co_u32_e32 v6, vcc, s2, v0
	v_addc_co_u32_e32 v7, vcc, v3, v7, vcc
	v_add_u32_e32 v0, s3, v0
	v_cmp_le_i32_e32 vcc, s17, v0
	v_lshlrev_b64 v[6:7], 2, v[6:7]
	s_or_b64 s[0:1], vcc, s[0:1]
	v_add_co_u32_e32 v8, vcc, s12, v6
	v_addc_co_u32_e32 v9, vcc, v4, v7, vcc
	v_add_co_u32_e32 v6, vcc, s14, v6
	v_addc_co_u32_e32 v7, vcc, v5, v7, vcc
	global_store_dword v[8:9], v1, off
	global_store_dword v[6:7], v2, off
	s_andn2_b64 exec, exec, s[0:1]
	s_cbranch_execnz .LBB18_31
.LBB18_32:
	s_endpgm
	.section	.rodata,"a",@progbits
	.p2align	6, 0x0
	.amdhsa_kernel _ZN5aiter20topk_softplus_kernelIffDv2_fLb0ELi2EEEvPKT_PKT0_PfPimiiif
		.amdhsa_group_segment_fixed_size 0
		.amdhsa_private_segment_fixed_size 0
		.amdhsa_kernarg_size 312
		.amdhsa_user_sgpr_count 6
		.amdhsa_user_sgpr_private_segment_buffer 1
		.amdhsa_user_sgpr_dispatch_ptr 0
		.amdhsa_user_sgpr_queue_ptr 0
		.amdhsa_user_sgpr_kernarg_segment_ptr 1
		.amdhsa_user_sgpr_dispatch_id 0
		.amdhsa_user_sgpr_flat_scratch_init 0
		.amdhsa_user_sgpr_kernarg_preload_length 0
		.amdhsa_user_sgpr_kernarg_preload_offset 0
		.amdhsa_user_sgpr_private_segment_size 0
		.amdhsa_uses_dynamic_stack 0
		.amdhsa_system_sgpr_private_segment_wavefront_offset 0
		.amdhsa_system_sgpr_workgroup_id_x 1
		.amdhsa_system_sgpr_workgroup_id_y 0
		.amdhsa_system_sgpr_workgroup_id_z 0
		.amdhsa_system_sgpr_workgroup_info 0
		.amdhsa_system_vgpr_workitem_id 0
		.amdhsa_next_free_vgpr 15
		.amdhsa_next_free_sgpr 25
		.amdhsa_accum_offset 16
		.amdhsa_reserve_vcc 1
		.amdhsa_reserve_flat_scratch 0
		.amdhsa_float_round_mode_32 0
		.amdhsa_float_round_mode_16_64 0
		.amdhsa_float_denorm_mode_32 3
		.amdhsa_float_denorm_mode_16_64 3
		.amdhsa_dx10_clamp 1
		.amdhsa_ieee_mode 1
		.amdhsa_fp16_overflow 0
		.amdhsa_tg_split 0
		.amdhsa_exception_fp_ieee_invalid_op 0
		.amdhsa_exception_fp_denorm_src 0
		.amdhsa_exception_fp_ieee_div_zero 0
		.amdhsa_exception_fp_ieee_overflow 0
		.amdhsa_exception_fp_ieee_underflow 0
		.amdhsa_exception_fp_ieee_inexact 0
		.amdhsa_exception_int_div_zero 0
	.end_amdhsa_kernel
	.section	.text._ZN5aiter20topk_softplus_kernelIffDv2_fLb0ELi2EEEvPKT_PKT0_PfPimiiif,"axG",@progbits,_ZN5aiter20topk_softplus_kernelIffDv2_fLb0ELi2EEEvPKT_PKT0_PfPimiiif,comdat
.Lfunc_end18:
	.size	_ZN5aiter20topk_softplus_kernelIffDv2_fLb0ELi2EEEvPKT_PKT0_PfPimiiif, .Lfunc_end18-_ZN5aiter20topk_softplus_kernelIffDv2_fLb0ELi2EEEvPKT_PKT0_PfPimiiif
                                        ; -- End function
	.section	.AMDGPU.csdata,"",@progbits
; Kernel info:
; codeLenInByte = 1648
; NumSgprs: 29
; NumVgprs: 15
; NumAgprs: 0
; TotalNumVgprs: 15
; ScratchSize: 0
; MemoryBound: 0
; FloatMode: 240
; IeeeMode: 1
; LDSByteSize: 0 bytes/workgroup (compile time only)
; SGPRBlocks: 3
; VGPRBlocks: 1
; NumSGPRsForWavesPerEU: 29
; NumVGPRsForWavesPerEU: 15
; AccumOffset: 16
; Occupancy: 8
; WaveLimiterHint : 0
; COMPUTE_PGM_RSRC2:SCRATCH_EN: 0
; COMPUTE_PGM_RSRC2:USER_SGPR: 6
; COMPUTE_PGM_RSRC2:TRAP_HANDLER: 0
; COMPUTE_PGM_RSRC2:TGID_X_EN: 1
; COMPUTE_PGM_RSRC2:TGID_Y_EN: 0
; COMPUTE_PGM_RSRC2:TGID_Z_EN: 0
; COMPUTE_PGM_RSRC2:TIDIG_COMP_CNT: 0
; COMPUTE_PGM_RSRC3_GFX90A:ACCUM_OFFSET: 3
; COMPUTE_PGM_RSRC3_GFX90A:TG_SPLIT: 0
	.section	.text._ZN5aiter20topk_softplus_kernelIffDv1_fLb1ELi2EEEvPKT_PKT0_PfPimiiif,"axG",@progbits,_ZN5aiter20topk_softplus_kernelIffDv1_fLb1ELi2EEEvPKT_PKT0_PfPimiiif,comdat
	.protected	_ZN5aiter20topk_softplus_kernelIffDv1_fLb1ELi2EEEvPKT_PKT0_PfPimiiif ; -- Begin function _ZN5aiter20topk_softplus_kernelIffDv1_fLb1ELi2EEEvPKT_PKT0_PfPimiiif
	.globl	_ZN5aiter20topk_softplus_kernelIffDv1_fLb1ELi2EEEvPKT_PKT0_PfPimiiif
	.p2align	8
	.type	_ZN5aiter20topk_softplus_kernelIffDv1_fLb1ELi2EEEvPKT_PKT0_PfPimiiif,@function
_ZN5aiter20topk_softplus_kernelIffDv1_fLb1ELi2EEEvPKT_PKT0_PfPimiiif: ; @_ZN5aiter20topk_softplus_kernelIffDv1_fLb1ELi2EEEvPKT_PKT0_PfPimiiif
; %bb.0:
	s_load_dwordx2 s[16:17], s[4:5], 0x28
	s_load_dwordx8 s[8:15], s[4:5], 0x0
	v_lshl_add_u32 v1, v0, 2, 0
	s_waitcnt lgkmcnt(0)
	s_mul_i32 s2, s6, s16
	s_ashr_i32 s3, s2, 31
	s_lshl_b64 s[2:3], s[2:3], 2
	s_add_u32 s7, s8, s2
	v_cmp_gt_i32_e64 s[0:1], s16, v0
	s_addc_u32 s18, s9, s3
	s_and_saveexec_b64 s[2:3], s[0:1]
	s_cbranch_execz .LBB19_3
; %bb.1:
	s_load_dword s19, s[4:5], 0x44
	v_lshl_add_u32 v4, v0, 2, 0
	s_mov_b64 s[8:9], 0
	v_mov_b32_e32 v5, s18
	v_mov_b32_e32 v2, v0
	s_waitcnt lgkmcnt(0)
	s_and_b32 s19, s19, 0xffff
	s_lshl_b32 s20, s19, 2
.LBB19_2:                               ; =>This Inner Loop Header: Depth=1
	v_ashrrev_i32_e32 v3, 31, v2
	v_lshlrev_b64 v[6:7], 2, v[2:3]
	v_add_co_u32_e32 v6, vcc, s7, v6
	v_addc_co_u32_e32 v7, vcc, v5, v7, vcc
	global_load_dword v3, v[6:7], off
	v_add_u32_e32 v2, s19, v2
	v_cmp_le_i32_e32 vcc, s16, v2
	s_or_b64 s[8:9], vcc, s[8:9]
	s_waitcnt vmcnt(0)
	ds_write_b32 v4, v3
	v_add_u32_e32 v4, s20, v4
	s_andn2_b64 exec, exec, s[8:9]
	s_cbranch_execnz .LBB19_2
.LBB19_3:
	s_or_b64 exec, exec, s[2:3]
	v_add_u32_e32 v2, s16, v0
	v_cmp_gt_i32_e32 vcc, s16, v2
	s_and_saveexec_b64 s[2:3], vcc
	s_cbranch_execz .LBB19_6
; %bb.4:
	s_load_dword s19, s[4:5], 0x44
	v_lshl_add_u32 v4, v2, 2, 0
	s_mov_b64 s[8:9], 0
	v_mov_b32_e32 v5, s18
	s_waitcnt lgkmcnt(0)
	s_and_b32 s19, s19, 0xffff
	s_lshl_b32 s20, s19, 2
.LBB19_5:                               ; =>This Inner Loop Header: Depth=1
	v_ashrrev_i32_e32 v3, 31, v2
	v_lshlrev_b64 v[6:7], 2, v[2:3]
	v_add_co_u32_e32 v6, vcc, s7, v6
	v_addc_co_u32_e32 v7, vcc, v5, v7, vcc
	global_load_dword v3, v[6:7], off
	v_add_u32_e32 v2, s19, v2
	v_cmp_le_i32_e32 vcc, s16, v2
	s_or_b64 s[8:9], vcc, s[8:9]
	s_waitcnt vmcnt(0)
	ds_write_b32 v4, v3
	v_add_u32_e32 v4, s20, v4
	s_andn2_b64 exec, exec, s[8:9]
	s_cbranch_execnz .LBB19_5
.LBB19_6:
	s_or_b64 exec, exec, s[2:3]
	v_mov_b32_e32 v2, 0xff800000
	s_waitcnt lgkmcnt(0)
	s_barrier
	s_and_saveexec_b64 s[2:3], s[0:1]
	s_cbranch_execz .LBB19_10
; %bb.7:
	s_load_dword s7, s[4:5], 0x44
	v_lshl_add_u32 v3, v0, 2, 0
	s_mov_b64 s[8:9], 0
	v_mov_b32_e32 v2, 0xff800000
	v_mov_b32_e32 v4, v0
	s_waitcnt lgkmcnt(0)
	s_and_b32 s7, s7, 0xffff
	s_lshl_b32 s18, s7, 2
.LBB19_8:                               ; =>This Inner Loop Header: Depth=1
	ds_read_b32 v5, v3
	v_add_u32_e32 v4, s7, v4
	v_max_f32_e32 v2, v2, v2
	v_cmp_le_i32_e32 vcc, s16, v4
	v_add_u32_e32 v3, s18, v3
	s_waitcnt lgkmcnt(0)
	v_max_f32_e32 v5, v5, v5
	s_or_b64 s[8:9], vcc, s[8:9]
	v_max_f32_e32 v2, v2, v5
	s_andn2_b64 exec, exec, s[8:9]
	s_cbranch_execnz .LBB19_8
; %bb.9:
	s_or_b64 exec, exec, s[8:9]
.LBB19_10:
	s_or_b64 exec, exec, s[2:3]
	;;#ASMSTART
	v_max_f32 v3, v2, v2 quad_perm:[1,0,3,2] row_mask:0xf bank_mask:0xf bound_ctrl:1
	;;#ASMEND
	;;#ASMSTART
	v_max_f32 v2, v3, v3 quad_perm:[2,3,0,1] row_mask:0xf bank_mask:0xf bound_ctrl:1
	;;#ASMEND
	;;#ASMSTART
	v_max_f32 v3, v2, v2 row_half_mirror row_mask:0xf bank_mask:0xf bound_ctrl:1
	;;#ASMEND
	;;#ASMSTART
	v_max_f32 v2, v3, v3 row_mirror row_mask:0xf bank_mask:0xf bound_ctrl:1
	;;#ASMEND
	;;#ASMSTART
	v_max_f32 v3, v2, v2 row_ror:4 row_mask:0xf bank_mask:0xf bound_ctrl:1
	;;#ASMEND
	;;#ASMSTART
	v_max_f32 v2, v3, v3 row_ror:8 row_mask:0xf bank_mask:0xf bound_ctrl:1
	;;#ASMEND
	;;#ASMSTART
	v_max_f32 v3, v2, v2 row_bcast:15 row_mask:0xf bank_mask:0xf bound_ctrl:1
	;;#ASMEND
	;;#ASMSTART
	v_max_f32 v2, v3, v3 row_bcast:31 row_mask:0xf bank_mask:0xf bound_ctrl:1
	;;#ASMEND
	v_mbcnt_lo_u32_b32 v3, -1, 0
	v_mbcnt_hi_u32_b32 v3, -1, v3
	v_bfrev_b32_e32 v4, 0.5
	v_lshl_or_b32 v4, v3, 2, v4
	ds_bpermute_b32 v3, v4, v2
	v_mov_b32_e32 v2, 0
	s_and_saveexec_b64 s[8:9], s[0:1]
	s_cbranch_execz .LBB19_14
; %bb.11:
	s_load_dword s2, s[4:5], 0x44
	v_lshl_add_u32 v5, v0, 2, 0
	s_mov_b64 s[18:19], 0
	v_mov_b32_e32 v2, 0
	s_mov_b32 s7, 0xc2fc0000
	s_waitcnt lgkmcnt(0)
	s_and_b32 s20, s2, 0xffff
	s_lshl_b32 s21, s20, 2
	v_mov_b32_e32 v6, 0x42800000
	v_mov_b32_e32 v7, 0x1f800000
	;; [unrolled: 1-line block ×3, first 2 shown]
.LBB19_12:                              ; =>This Inner Loop Header: Depth=1
	ds_read_b32 v9, v5
	v_add_u32_e32 v8, s20, v8
	v_cmp_le_i32_e64 s[2:3], s16, v8
	s_or_b64 s[18:19], s[2:3], s[18:19]
	s_waitcnt lgkmcnt(0)
	v_sub_f32_e32 v9, v9, v3
	v_mul_f32_e32 v10, 0x3fb8aa3b, v9
	v_cmp_gt_f32_e32 vcc, s7, v10
	v_cndmask_b32_e32 v10, 0, v6, vcc
	v_fmac_f32_e32 v10, 0x3fb8aa3b, v9
	v_exp_f32_e32 v9, v10
	v_cndmask_b32_e32 v10, 1.0, v7, vcc
	v_mul_f32_e32 v11, v9, v10
	v_fmac_f32_e32 v2, v9, v10
	ds_write_b32 v5, v11
	v_add_u32_e32 v5, s21, v5
	s_andn2_b64 exec, exec, s[18:19]
	s_cbranch_execnz .LBB19_12
; %bb.13:
	s_or_b64 exec, exec, s[18:19]
.LBB19_14:
	s_or_b64 exec, exec, s[8:9]
	s_waitcnt lgkmcnt(0)
	v_mov_b32_dpp v3, v2 quad_perm:[1,0,3,2] row_mask:0xf bank_mask:0xf
	v_add_f32_e32 v2, v2, v3
	s_nop 1
	v_mov_b32_dpp v3, v2 quad_perm:[2,3,0,1] row_mask:0xf bank_mask:0xf
	v_add_f32_e32 v2, v2, v3
	s_nop 1
	v_mov_b32_dpp v3, v2 row_half_mirror row_mask:0xf bank_mask:0xf
	v_add_f32_e32 v2, v2, v3
	s_nop 1
	v_mov_b32_dpp v3, v2 row_mirror row_mask:0xf bank_mask:0xf
	v_add_f32_e32 v2, v2, v3
	s_nop 1
	v_mov_b32_dpp v3, v2 row_bcast:15 row_mask:0xf bank_mask:0xf
	v_add_f32_e32 v2, v2, v3
	s_nop 1
	v_mov_b32_dpp v3, v2 row_bcast:31 row_mask:0xf bank_mask:0xf
	v_add_f32_e32 v2, v2, v3
	ds_bpermute_b32 v2, v4, v2
	s_and_saveexec_b64 s[8:9], s[0:1]
	s_cbranch_execz .LBB19_19
; %bb.15:
	s_load_dword s7, s[4:5], 0x44
	s_waitcnt lgkmcnt(0)
	v_rcp_f32_e32 v5, v2
	s_cmp_lg_u64 s[10:11], 0
	s_cselect_b64 s[2:3], -1, 0
	v_cndmask_b32_e64 v2, 0, 1, s[2:3]
	s_and_b32 s7, s7, 0xffff
	s_mov_b64 s[18:19], 0
	v_lshl_add_u32 v6, v0, 2, 0
	s_lshl_b32 s20, s7, 2
	v_cmp_ne_u32_e64 s[2:3], 1, v2
	v_mov_b32_e32 v2, v0
	s_branch .LBB19_17
.LBB19_16:                              ;   in Loop: Header=BB19_17 Depth=1
	v_add_u32_e32 v2, s7, v2
	v_cmp_le_i32_e32 vcc, s16, v2
	s_or_b64 s[18:19], vcc, s[18:19]
	v_add_u32_e32 v6, s20, v6
	s_andn2_b64 exec, exec, s[18:19]
	s_cbranch_execz .LBB19_19
.LBB19_17:                              ; =>This Inner Loop Header: Depth=1
	ds_read_b32 v3, v6
	s_and_b64 vcc, exec, s[2:3]
	s_waitcnt lgkmcnt(0)
	v_mul_f32_e32 v7, v5, v3
	ds_write_b32 v6, v7
	s_cbranch_vccnz .LBB19_16
; %bb.18:                               ;   in Loop: Header=BB19_17 Depth=1
	v_ashrrev_i32_e32 v3, 31, v2
	v_lshlrev_b64 v[8:9], 2, v[2:3]
	v_mov_b32_e32 v3, s11
	v_add_co_u32_e32 v8, vcc, s10, v8
	v_addc_co_u32_e32 v9, vcc, v3, v9, vcc
	global_load_dword v3, v[8:9], off
	s_waitcnt vmcnt(0)
	v_add_f32_e32 v3, v7, v3
	ds_write_b32 v6, v3
	s_branch .LBB19_16
.LBB19_19:
	s_or_b64 exec, exec, s[8:9]
	s_cmp_lt_i32 s17, 1
	v_mov_b32_e32 v3, 0
	s_waitcnt lgkmcnt(0)
	s_barrier
	s_cbranch_scc1 .LBB19_28
; %bb.20:
	s_add_u32 s2, s4, 56
	s_addc_u32 s3, s5, 0
	s_cmp_lg_u64 s[10:11], 0
	s_cselect_b64 s[8:9], -1, 0
	s_mov_b32 s7, 0
	v_mov_b32_e32 v3, 0
	v_mov_b32_e32 v6, 0xff800000
	;; [unrolled: 1-line block ×4, first 2 shown]
	s_branch .LBB19_22
.LBB19_21:                              ;   in Loop: Header=BB19_22 Depth=1
	s_lshl_b32 s19, s18, 2
	s_add_i32 s19, s19, 0
	v_mov_b32_e32 v7, s19
	ds_write_b32 v7, v6
	v_mov_b32_e32 v7, s18
	v_cmp_eq_u32_e32 vcc, s7, v0
	s_add_i32 s7, s7, 1
	v_cndmask_b32_e32 v2, v2, v7, vcc
	v_cndmask_b32_e32 v3, v3, v9, vcc
	s_cmp_eq_u32 s7, s17
	v_add_f32_e32 v5, v5, v9
	s_cbranch_scc1 .LBB19_29
.LBB19_22:                              ; =>This Loop Header: Depth=1
                                        ;     Child Loop BB19_24 Depth 2
	v_mov_b32_e32 v7, s7
	v_mov_b32_e32 v8, 0xff800000
	s_and_saveexec_b64 s[18:19], s[0:1]
	s_cbranch_execz .LBB19_26
; %bb.23:                               ;   in Loop: Header=BB19_22 Depth=1
	s_load_dword s22, s[2:3], 0xc
	s_mov_b64 s[20:21], 0
	v_mov_b32_e32 v7, s7
	v_mov_b32_e32 v8, 0xff800000
	;; [unrolled: 1-line block ×3, first 2 shown]
	s_waitcnt lgkmcnt(0)
	s_and_b32 s22, s22, 0xffff
	s_lshl_b32 s23, s22, 2
	v_mov_b32_e32 v10, v0
.LBB19_24:                              ;   Parent Loop BB19_22 Depth=1
                                        ; =>  This Inner Loop Header: Depth=2
	ds_read_b32 v11, v9
	v_add_u32_e32 v9, s23, v9
	s_waitcnt lgkmcnt(0)
	v_cmp_gt_f32_e32 vcc, v11, v8
	v_cndmask_b32_e32 v7, v7, v10, vcc
	v_add_u32_e32 v10, s22, v10
	v_cndmask_b32_e32 v8, v8, v11, vcc
	v_cmp_le_i32_e32 vcc, s16, v10
	s_or_b64 s[20:21], vcc, s[20:21]
	s_andn2_b64 exec, exec, s[20:21]
	s_cbranch_execnz .LBB19_24
; %bb.25:                               ;   in Loop: Header=BB19_22 Depth=1
	s_or_b64 exec, exec, s[20:21]
.LBB19_26:                              ;   in Loop: Header=BB19_22 Depth=1
	s_or_b64 exec, exec, s[18:19]
	;;#ASMSTART
	v_max_f32 v9, v8, v8 quad_perm:[1,0,3,2] row_mask:0xf bank_mask:0xf bound_ctrl:1
	;;#ASMEND
	;;#ASMSTART
	v_max_f32 v10, v9, v9 quad_perm:[2,3,0,1] row_mask:0xf bank_mask:0xf bound_ctrl:1
	;;#ASMEND
	;;#ASMSTART
	v_max_f32 v9, v10, v10 row_half_mirror row_mask:0xf bank_mask:0xf bound_ctrl:1
	;;#ASMEND
	;;#ASMSTART
	v_max_f32 v10, v9, v9 row_mirror row_mask:0xf bank_mask:0xf bound_ctrl:1
	;;#ASMEND
	;;#ASMSTART
	v_max_f32 v9, v10, v10 row_ror:4 row_mask:0xf bank_mask:0xf bound_ctrl:1
	;;#ASMEND
	;;#ASMSTART
	v_max_f32 v10, v9, v9 row_ror:8 row_mask:0xf bank_mask:0xf bound_ctrl:1
	;;#ASMEND
	;;#ASMSTART
	v_max_f32 v9, v10, v10 row_bcast:15 row_mask:0xf bank_mask:0xf bound_ctrl:1
	;;#ASMEND
	;;#ASMSTART
	v_max_f32 v10, v9, v9 row_bcast:31 row_mask:0xf bank_mask:0xf bound_ctrl:1
	;;#ASMEND
	ds_bpermute_b32 v9, v4, v10
	s_waitcnt lgkmcnt(0)
	v_cmp_eq_f32_e32 vcc, v8, v9
	s_ff1_i32_b64 s18, vcc
	s_cmp_lg_u64 vcc, 0
	s_cselect_b32 s18, s18, 0
	s_and_b64 vcc, exec, s[8:9]
	v_readlane_b32 s18, v7, s18
	s_cbranch_vccz .LBB19_21
; %bb.27:                               ;   in Loop: Header=BB19_22 Depth=1
	s_ashr_i32 s19, s18, 31
	s_lshl_b64 s[20:21], s[18:19], 2
	s_add_u32 s20, s10, s20
	s_addc_u32 s21, s11, s21
	s_load_dword s19, s[20:21], 0x0
	s_waitcnt lgkmcnt(0)
	v_subrev_f32_e32 v9, s19, v9
	s_branch .LBB19_21
.LBB19_28:
	v_mov_b32_e32 v2, 0
	v_mov_b32_e32 v5, 0
.LBB19_29:
	v_cmp_gt_i32_e32 vcc, s17, v0
	s_and_saveexec_b64 s[0:1], vcc
	s_cbranch_execz .LBB19_32
; %bb.30:
	s_load_dword s2, s[4:5], 0x34
	v_max_f32_e32 v1, v5, v5
	v_max_f32_e32 v1, 0x1e3ce508, v1
	s_load_dword s3, s[4:5], 0x44
	s_waitcnt lgkmcnt(0)
	v_div_scale_f32 v4, s[0:1], v1, v1, s2
	s_load_dwordx2 s[0:1], s[4:5], 0x20
	v_rcp_f32_e32 v5, v4
	v_div_scale_f32 v6, vcc, s2, v1, s2
	s_and_b32 s3, s3, 0xffff
	v_fma_f32 v7, -v4, v5, 1.0
	v_fmac_f32_e32 v5, v7, v5
	v_mul_f32_e32 v7, v6, v5
	v_fma_f32 v8, -v4, v7, v6
	v_fmac_f32_e32 v7, v8, v5
	v_fma_f32 v4, -v4, v7, v6
	v_div_fmas_f32 v4, v4, v5, v7
	v_div_fixup_f32 v1, v4, v1, s2
	s_ashr_i32 s2, s6, 31
	s_waitcnt lgkmcnt(0)
	s_mul_i32 s1, s6, s1
	s_mul_hi_u32 s4, s6, s0
	s_add_i32 s1, s4, s1
	s_mul_i32 s2, s2, s0
	s_add_i32 s4, s1, s2
	v_mul_f32_e32 v1, v3, v1
	s_mul_i32 s2, s6, s0
	s_mov_b64 s[0:1], 0
	v_mov_b32_e32 v3, s4
	v_mov_b32_e32 v4, s13
	;; [unrolled: 1-line block ×3, first 2 shown]
.LBB19_31:                              ; =>This Inner Loop Header: Depth=1
	v_ashrrev_i32_e32 v7, 31, v0
	v_add_co_u32_e32 v6, vcc, s2, v0
	v_addc_co_u32_e32 v7, vcc, v3, v7, vcc
	v_add_u32_e32 v0, s3, v0
	v_cmp_le_i32_e32 vcc, s17, v0
	v_lshlrev_b64 v[6:7], 2, v[6:7]
	s_or_b64 s[0:1], vcc, s[0:1]
	v_add_co_u32_e32 v8, vcc, s12, v6
	v_addc_co_u32_e32 v9, vcc, v4, v7, vcc
	v_add_co_u32_e32 v6, vcc, s14, v6
	v_addc_co_u32_e32 v7, vcc, v5, v7, vcc
	global_store_dword v[8:9], v1, off
	global_store_dword v[6:7], v2, off
	s_andn2_b64 exec, exec, s[0:1]
	s_cbranch_execnz .LBB19_31
.LBB19_32:
	s_endpgm
	.section	.rodata,"a",@progbits
	.p2align	6, 0x0
	.amdhsa_kernel _ZN5aiter20topk_softplus_kernelIffDv1_fLb1ELi2EEEvPKT_PKT0_PfPimiiif
		.amdhsa_group_segment_fixed_size 0
		.amdhsa_private_segment_fixed_size 0
		.amdhsa_kernarg_size 312
		.amdhsa_user_sgpr_count 6
		.amdhsa_user_sgpr_private_segment_buffer 1
		.amdhsa_user_sgpr_dispatch_ptr 0
		.amdhsa_user_sgpr_queue_ptr 0
		.amdhsa_user_sgpr_kernarg_segment_ptr 1
		.amdhsa_user_sgpr_dispatch_id 0
		.amdhsa_user_sgpr_flat_scratch_init 0
		.amdhsa_user_sgpr_kernarg_preload_length 0
		.amdhsa_user_sgpr_kernarg_preload_offset 0
		.amdhsa_user_sgpr_private_segment_size 0
		.amdhsa_uses_dynamic_stack 0
		.amdhsa_system_sgpr_private_segment_wavefront_offset 0
		.amdhsa_system_sgpr_workgroup_id_x 1
		.amdhsa_system_sgpr_workgroup_id_y 0
		.amdhsa_system_sgpr_workgroup_id_z 0
		.amdhsa_system_sgpr_workgroup_info 0
		.amdhsa_system_vgpr_workitem_id 0
		.amdhsa_next_free_vgpr 12
		.amdhsa_next_free_sgpr 24
		.amdhsa_accum_offset 12
		.amdhsa_reserve_vcc 1
		.amdhsa_reserve_flat_scratch 0
		.amdhsa_float_round_mode_32 0
		.amdhsa_float_round_mode_16_64 0
		.amdhsa_float_denorm_mode_32 3
		.amdhsa_float_denorm_mode_16_64 3
		.amdhsa_dx10_clamp 1
		.amdhsa_ieee_mode 1
		.amdhsa_fp16_overflow 0
		.amdhsa_tg_split 0
		.amdhsa_exception_fp_ieee_invalid_op 0
		.amdhsa_exception_fp_denorm_src 0
		.amdhsa_exception_fp_ieee_div_zero 0
		.amdhsa_exception_fp_ieee_overflow 0
		.amdhsa_exception_fp_ieee_underflow 0
		.amdhsa_exception_fp_ieee_inexact 0
		.amdhsa_exception_int_div_zero 0
	.end_amdhsa_kernel
	.section	.text._ZN5aiter20topk_softplus_kernelIffDv1_fLb1ELi2EEEvPKT_PKT0_PfPimiiif,"axG",@progbits,_ZN5aiter20topk_softplus_kernelIffDv1_fLb1ELi2EEEvPKT_PKT0_PfPimiiif,comdat
.Lfunc_end19:
	.size	_ZN5aiter20topk_softplus_kernelIffDv1_fLb1ELi2EEEvPKT_PKT0_PfPimiiif, .Lfunc_end19-_ZN5aiter20topk_softplus_kernelIffDv1_fLb1ELi2EEEvPKT_PKT0_PfPimiiif
                                        ; -- End function
	.section	.AMDGPU.csdata,"",@progbits
; Kernel info:
; codeLenInByte = 1656
; NumSgprs: 28
; NumVgprs: 12
; NumAgprs: 0
; TotalNumVgprs: 12
; ScratchSize: 0
; MemoryBound: 0
; FloatMode: 240
; IeeeMode: 1
; LDSByteSize: 0 bytes/workgroup (compile time only)
; SGPRBlocks: 3
; VGPRBlocks: 1
; NumSGPRsForWavesPerEU: 28
; NumVGPRsForWavesPerEU: 12
; AccumOffset: 12
; Occupancy: 8
; WaveLimiterHint : 0
; COMPUTE_PGM_RSRC2:SCRATCH_EN: 0
; COMPUTE_PGM_RSRC2:USER_SGPR: 6
; COMPUTE_PGM_RSRC2:TRAP_HANDLER: 0
; COMPUTE_PGM_RSRC2:TGID_X_EN: 1
; COMPUTE_PGM_RSRC2:TGID_Y_EN: 0
; COMPUTE_PGM_RSRC2:TGID_Z_EN: 0
; COMPUTE_PGM_RSRC2:TIDIG_COMP_CNT: 0
; COMPUTE_PGM_RSRC3_GFX90A:ACCUM_OFFSET: 2
; COMPUTE_PGM_RSRC3_GFX90A:TG_SPLIT: 0
	.section	.text._ZN5aiter20topk_softplus_kernelIffDv1_fLb0ELi2EEEvPKT_PKT0_PfPimiiif,"axG",@progbits,_ZN5aiter20topk_softplus_kernelIffDv1_fLb0ELi2EEEvPKT_PKT0_PfPimiiif,comdat
	.protected	_ZN5aiter20topk_softplus_kernelIffDv1_fLb0ELi2EEEvPKT_PKT0_PfPimiiif ; -- Begin function _ZN5aiter20topk_softplus_kernelIffDv1_fLb0ELi2EEEvPKT_PKT0_PfPimiiif
	.globl	_ZN5aiter20topk_softplus_kernelIffDv1_fLb0ELi2EEEvPKT_PKT0_PfPimiiif
	.p2align	8
	.type	_ZN5aiter20topk_softplus_kernelIffDv1_fLb0ELi2EEEvPKT_PKT0_PfPimiiif,@function
_ZN5aiter20topk_softplus_kernelIffDv1_fLb0ELi2EEEvPKT_PKT0_PfPimiiif: ; @_ZN5aiter20topk_softplus_kernelIffDv1_fLb0ELi2EEEvPKT_PKT0_PfPimiiif
; %bb.0:
	s_load_dwordx2 s[16:17], s[4:5], 0x28
	s_load_dwordx8 s[8:15], s[4:5], 0x0
	v_lshl_add_u32 v1, v0, 2, 0
	s_waitcnt lgkmcnt(0)
	s_mul_i32 s2, s6, s16
	s_ashr_i32 s3, s2, 31
	s_lshl_b64 s[2:3], s[2:3], 2
	s_add_u32 s7, s8, s2
	v_cmp_gt_i32_e64 s[0:1], s16, v0
	s_addc_u32 s18, s9, s3
	s_and_saveexec_b64 s[2:3], s[0:1]
	s_cbranch_execz .LBB20_3
; %bb.1:
	s_load_dword s19, s[4:5], 0x44
	v_lshl_add_u32 v4, v0, 2, 0
	s_mov_b64 s[8:9], 0
	v_mov_b32_e32 v5, s18
	v_mov_b32_e32 v2, v0
	s_waitcnt lgkmcnt(0)
	s_and_b32 s19, s19, 0xffff
	s_lshl_b32 s20, s19, 2
.LBB20_2:                               ; =>This Inner Loop Header: Depth=1
	v_ashrrev_i32_e32 v3, 31, v2
	v_lshlrev_b64 v[6:7], 2, v[2:3]
	v_add_co_u32_e32 v6, vcc, s7, v6
	v_addc_co_u32_e32 v7, vcc, v5, v7, vcc
	global_load_dword v3, v[6:7], off
	v_add_u32_e32 v2, s19, v2
	v_cmp_le_i32_e32 vcc, s16, v2
	s_or_b64 s[8:9], vcc, s[8:9]
	s_waitcnt vmcnt(0)
	ds_write_b32 v4, v3
	v_add_u32_e32 v4, s20, v4
	s_andn2_b64 exec, exec, s[8:9]
	s_cbranch_execnz .LBB20_2
.LBB20_3:
	s_or_b64 exec, exec, s[2:3]
	v_add_u32_e32 v2, s16, v0
	v_cmp_gt_i32_e32 vcc, s16, v2
	s_and_saveexec_b64 s[2:3], vcc
	s_cbranch_execz .LBB20_6
; %bb.4:
	s_load_dword s19, s[4:5], 0x44
	v_lshl_add_u32 v4, v2, 2, 0
	s_mov_b64 s[8:9], 0
	v_mov_b32_e32 v5, s18
	s_waitcnt lgkmcnt(0)
	s_and_b32 s19, s19, 0xffff
	s_lshl_b32 s20, s19, 2
.LBB20_5:                               ; =>This Inner Loop Header: Depth=1
	v_ashrrev_i32_e32 v3, 31, v2
	v_lshlrev_b64 v[6:7], 2, v[2:3]
	v_add_co_u32_e32 v6, vcc, s7, v6
	v_addc_co_u32_e32 v7, vcc, v5, v7, vcc
	global_load_dword v3, v[6:7], off
	v_add_u32_e32 v2, s19, v2
	v_cmp_le_i32_e32 vcc, s16, v2
	s_or_b64 s[8:9], vcc, s[8:9]
	s_waitcnt vmcnt(0)
	ds_write_b32 v4, v3
	v_add_u32_e32 v4, s20, v4
	s_andn2_b64 exec, exec, s[8:9]
	s_cbranch_execnz .LBB20_5
.LBB20_6:
	s_or_b64 exec, exec, s[2:3]
	v_mov_b32_e32 v2, 0xff800000
	s_waitcnt lgkmcnt(0)
	s_barrier
	s_and_saveexec_b64 s[2:3], s[0:1]
	s_cbranch_execz .LBB20_10
; %bb.7:
	s_load_dword s7, s[4:5], 0x44
	v_lshl_add_u32 v3, v0, 2, 0
	s_mov_b64 s[8:9], 0
	v_mov_b32_e32 v2, 0xff800000
	v_mov_b32_e32 v4, v0
	s_waitcnt lgkmcnt(0)
	s_and_b32 s7, s7, 0xffff
	s_lshl_b32 s18, s7, 2
.LBB20_8:                               ; =>This Inner Loop Header: Depth=1
	ds_read_b32 v5, v3
	v_add_u32_e32 v4, s7, v4
	v_max_f32_e32 v2, v2, v2
	v_cmp_le_i32_e32 vcc, s16, v4
	v_add_u32_e32 v3, s18, v3
	s_waitcnt lgkmcnt(0)
	v_max_f32_e32 v5, v5, v5
	s_or_b64 s[8:9], vcc, s[8:9]
	v_max_f32_e32 v2, v2, v5
	s_andn2_b64 exec, exec, s[8:9]
	s_cbranch_execnz .LBB20_8
; %bb.9:
	s_or_b64 exec, exec, s[8:9]
.LBB20_10:
	s_or_b64 exec, exec, s[2:3]
	;;#ASMSTART
	v_max_f32 v3, v2, v2 quad_perm:[1,0,3,2] row_mask:0xf bank_mask:0xf bound_ctrl:1
	;;#ASMEND
	;;#ASMSTART
	v_max_f32 v2, v3, v3 quad_perm:[2,3,0,1] row_mask:0xf bank_mask:0xf bound_ctrl:1
	;;#ASMEND
	;;#ASMSTART
	v_max_f32 v3, v2, v2 row_half_mirror row_mask:0xf bank_mask:0xf bound_ctrl:1
	;;#ASMEND
	;;#ASMSTART
	v_max_f32 v2, v3, v3 row_mirror row_mask:0xf bank_mask:0xf bound_ctrl:1
	;;#ASMEND
	;;#ASMSTART
	v_max_f32 v3, v2, v2 row_ror:4 row_mask:0xf bank_mask:0xf bound_ctrl:1
	;;#ASMEND
	;;#ASMSTART
	v_max_f32 v2, v3, v3 row_ror:8 row_mask:0xf bank_mask:0xf bound_ctrl:1
	;;#ASMEND
	;;#ASMSTART
	v_max_f32 v3, v2, v2 row_bcast:15 row_mask:0xf bank_mask:0xf bound_ctrl:1
	;;#ASMEND
	;;#ASMSTART
	v_max_f32 v2, v3, v3 row_bcast:31 row_mask:0xf bank_mask:0xf bound_ctrl:1
	;;#ASMEND
	v_mbcnt_lo_u32_b32 v3, -1, 0
	v_mbcnt_hi_u32_b32 v3, -1, v3
	v_bfrev_b32_e32 v4, 0.5
	v_lshl_or_b32 v4, v3, 2, v4
	ds_bpermute_b32 v3, v4, v2
	v_mov_b32_e32 v2, 0
	s_and_saveexec_b64 s[8:9], s[0:1]
	s_cbranch_execz .LBB20_14
; %bb.11:
	s_load_dword s2, s[4:5], 0x44
	v_lshl_add_u32 v5, v0, 2, 0
	s_mov_b64 s[18:19], 0
	v_mov_b32_e32 v2, 0
	s_mov_b32 s7, 0xc2fc0000
	s_waitcnt lgkmcnt(0)
	s_and_b32 s20, s2, 0xffff
	s_lshl_b32 s21, s20, 2
	v_mov_b32_e32 v6, 0x42800000
	v_mov_b32_e32 v7, 0x1f800000
	;; [unrolled: 1-line block ×3, first 2 shown]
.LBB20_12:                              ; =>This Inner Loop Header: Depth=1
	ds_read_b32 v9, v5
	v_add_u32_e32 v8, s20, v8
	v_cmp_le_i32_e64 s[2:3], s16, v8
	s_or_b64 s[18:19], s[2:3], s[18:19]
	s_waitcnt lgkmcnt(0)
	v_sub_f32_e32 v9, v9, v3
	v_mul_f32_e32 v10, 0x3fb8aa3b, v9
	v_cmp_gt_f32_e32 vcc, s7, v10
	v_cndmask_b32_e32 v10, 0, v6, vcc
	v_fmac_f32_e32 v10, 0x3fb8aa3b, v9
	v_exp_f32_e32 v9, v10
	v_cndmask_b32_e32 v10, 1.0, v7, vcc
	v_mul_f32_e32 v11, v9, v10
	v_fmac_f32_e32 v2, v9, v10
	ds_write_b32 v5, v11
	v_add_u32_e32 v5, s21, v5
	s_andn2_b64 exec, exec, s[18:19]
	s_cbranch_execnz .LBB20_12
; %bb.13:
	s_or_b64 exec, exec, s[18:19]
.LBB20_14:
	s_or_b64 exec, exec, s[8:9]
	s_waitcnt lgkmcnt(0)
	v_mov_b32_dpp v3, v2 quad_perm:[1,0,3,2] row_mask:0xf bank_mask:0xf
	v_add_f32_e32 v2, v2, v3
	s_nop 1
	v_mov_b32_dpp v3, v2 quad_perm:[2,3,0,1] row_mask:0xf bank_mask:0xf
	v_add_f32_e32 v2, v2, v3
	s_nop 1
	v_mov_b32_dpp v3, v2 row_half_mirror row_mask:0xf bank_mask:0xf
	v_add_f32_e32 v2, v2, v3
	s_nop 1
	v_mov_b32_dpp v3, v2 row_mirror row_mask:0xf bank_mask:0xf
	v_add_f32_e32 v2, v2, v3
	s_nop 1
	v_mov_b32_dpp v3, v2 row_bcast:15 row_mask:0xf bank_mask:0xf
	v_add_f32_e32 v2, v2, v3
	s_nop 1
	v_mov_b32_dpp v3, v2 row_bcast:31 row_mask:0xf bank_mask:0xf
	v_add_f32_e32 v2, v2, v3
	ds_bpermute_b32 v2, v4, v2
	s_and_saveexec_b64 s[8:9], s[0:1]
	s_cbranch_execz .LBB20_19
; %bb.15:
	s_load_dword s7, s[4:5], 0x44
	s_waitcnt lgkmcnt(0)
	v_rcp_f32_e32 v5, v2
	s_cmp_lg_u64 s[10:11], 0
	s_cselect_b64 s[2:3], -1, 0
	v_cndmask_b32_e64 v2, 0, 1, s[2:3]
	s_and_b32 s7, s7, 0xffff
	s_mov_b64 s[18:19], 0
	v_lshl_add_u32 v6, v0, 2, 0
	s_lshl_b32 s20, s7, 2
	v_cmp_ne_u32_e64 s[2:3], 1, v2
	v_mov_b32_e32 v2, v0
	s_branch .LBB20_17
.LBB20_16:                              ;   in Loop: Header=BB20_17 Depth=1
	v_add_u32_e32 v2, s7, v2
	v_cmp_le_i32_e32 vcc, s16, v2
	s_or_b64 s[18:19], vcc, s[18:19]
	v_add_u32_e32 v6, s20, v6
	s_andn2_b64 exec, exec, s[18:19]
	s_cbranch_execz .LBB20_19
.LBB20_17:                              ; =>This Inner Loop Header: Depth=1
	ds_read_b32 v3, v6
	s_and_b64 vcc, exec, s[2:3]
	s_waitcnt lgkmcnt(0)
	v_mul_f32_e32 v7, v5, v3
	ds_write_b32 v6, v7
	s_cbranch_vccnz .LBB20_16
; %bb.18:                               ;   in Loop: Header=BB20_17 Depth=1
	v_ashrrev_i32_e32 v3, 31, v2
	v_lshlrev_b64 v[8:9], 2, v[2:3]
	v_mov_b32_e32 v3, s11
	v_add_co_u32_e32 v8, vcc, s10, v8
	v_addc_co_u32_e32 v9, vcc, v3, v9, vcc
	global_load_dword v3, v[8:9], off
	s_waitcnt vmcnt(0)
	v_add_f32_e32 v3, v7, v3
	ds_write_b32 v6, v3
	s_branch .LBB20_16
.LBB20_19:
	s_or_b64 exec, exec, s[8:9]
	s_cmp_lt_i32 s17, 1
	s_waitcnt lgkmcnt(0)
	s_barrier
	s_cbranch_scc1 .LBB20_28
; %bb.20:
	s_add_u32 s2, s4, 56
	s_addc_u32 s3, s5, 0
	s_cmp_lg_u64 s[10:11], 0
	s_cselect_b64 s[8:9], -1, 0
	s_mov_b32 s7, 0
	v_mov_b32_e32 v2, 0
	v_mov_b32_e32 v3, 0
	;; [unrolled: 1-line block ×3, first 2 shown]
	s_branch .LBB20_22
.LBB20_21:                              ;   in Loop: Header=BB20_22 Depth=1
	s_lshl_b32 s19, s18, 2
	s_add_i32 s19, s19, 0
	v_mov_b32_e32 v6, s19
	ds_write_b32 v6, v5
	v_mov_b32_e32 v6, s18
	v_cmp_eq_u32_e32 vcc, s7, v0
	s_add_i32 s7, s7, 1
	v_cndmask_b32_e32 v2, v2, v6, vcc
	s_cmp_eq_u32 s7, s17
	v_cndmask_b32_e32 v3, v3, v8, vcc
	s_cbranch_scc1 .LBB20_29
.LBB20_22:                              ; =>This Loop Header: Depth=1
                                        ;     Child Loop BB20_24 Depth 2
	v_mov_b32_e32 v6, s7
	v_mov_b32_e32 v7, 0xff800000
	s_and_saveexec_b64 s[18:19], s[0:1]
	s_cbranch_execz .LBB20_26
; %bb.23:                               ;   in Loop: Header=BB20_22 Depth=1
	s_load_dword s22, s[2:3], 0xc
	s_mov_b64 s[20:21], 0
	v_mov_b32_e32 v6, s7
	v_mov_b32_e32 v7, 0xff800000
	;; [unrolled: 1-line block ×3, first 2 shown]
	s_waitcnt lgkmcnt(0)
	s_and_b32 s22, s22, 0xffff
	s_lshl_b32 s23, s22, 2
	v_mov_b32_e32 v9, v0
.LBB20_24:                              ;   Parent Loop BB20_22 Depth=1
                                        ; =>  This Inner Loop Header: Depth=2
	ds_read_b32 v10, v8
	v_add_u32_e32 v8, s23, v8
	s_waitcnt lgkmcnt(0)
	v_cmp_gt_f32_e32 vcc, v10, v7
	v_cndmask_b32_e32 v6, v6, v9, vcc
	v_add_u32_e32 v9, s22, v9
	v_cndmask_b32_e32 v7, v7, v10, vcc
	v_cmp_le_i32_e32 vcc, s16, v9
	s_or_b64 s[20:21], vcc, s[20:21]
	s_andn2_b64 exec, exec, s[20:21]
	s_cbranch_execnz .LBB20_24
; %bb.25:                               ;   in Loop: Header=BB20_22 Depth=1
	s_or_b64 exec, exec, s[20:21]
.LBB20_26:                              ;   in Loop: Header=BB20_22 Depth=1
	s_or_b64 exec, exec, s[18:19]
	;;#ASMSTART
	v_max_f32 v8, v7, v7 quad_perm:[1,0,3,2] row_mask:0xf bank_mask:0xf bound_ctrl:1
	;;#ASMEND
	;;#ASMSTART
	v_max_f32 v9, v8, v8 quad_perm:[2,3,0,1] row_mask:0xf bank_mask:0xf bound_ctrl:1
	;;#ASMEND
	;;#ASMSTART
	v_max_f32 v8, v9, v9 row_half_mirror row_mask:0xf bank_mask:0xf bound_ctrl:1
	;;#ASMEND
	;;#ASMSTART
	v_max_f32 v9, v8, v8 row_mirror row_mask:0xf bank_mask:0xf bound_ctrl:1
	;;#ASMEND
	;;#ASMSTART
	v_max_f32 v8, v9, v9 row_ror:4 row_mask:0xf bank_mask:0xf bound_ctrl:1
	;;#ASMEND
	;;#ASMSTART
	v_max_f32 v9, v8, v8 row_ror:8 row_mask:0xf bank_mask:0xf bound_ctrl:1
	;;#ASMEND
	;;#ASMSTART
	v_max_f32 v8, v9, v9 row_bcast:15 row_mask:0xf bank_mask:0xf bound_ctrl:1
	;;#ASMEND
	;;#ASMSTART
	v_max_f32 v9, v8, v8 row_bcast:31 row_mask:0xf bank_mask:0xf bound_ctrl:1
	;;#ASMEND
	ds_bpermute_b32 v8, v4, v9
	s_waitcnt lgkmcnt(0)
	v_cmp_eq_f32_e32 vcc, v7, v8
	s_ff1_i32_b64 s18, vcc
	s_cmp_lg_u64 vcc, 0
	s_cselect_b32 s18, s18, 0
	s_and_b64 vcc, exec, s[8:9]
	v_readlane_b32 s18, v6, s18
	s_cbranch_vccz .LBB20_21
; %bb.27:                               ;   in Loop: Header=BB20_22 Depth=1
	s_ashr_i32 s19, s18, 31
	s_lshl_b64 s[20:21], s[18:19], 2
	s_add_u32 s20, s10, s20
	s_addc_u32 s21, s11, s21
	s_load_dword s19, s[20:21], 0x0
	s_waitcnt lgkmcnt(0)
	v_subrev_f32_e32 v8, s19, v8
	s_branch .LBB20_21
.LBB20_28:
	v_mov_b32_e32 v3, 0
	v_mov_b32_e32 v2, 0
.LBB20_29:
	v_cmp_gt_i32_e32 vcc, s17, v0
	s_and_saveexec_b64 s[0:1], vcc
	s_cbranch_execz .LBB20_32
; %bb.30:
	s_load_dword s2, s[4:5], 0x34
	s_load_dwordx2 s[0:1], s[4:5], 0x20
	s_ashr_i32 s3, s6, 31
	s_load_dword s4, s[4:5], 0x44
	v_mov_b32_e32 v4, s13
	s_waitcnt lgkmcnt(0)
	v_mul_f32_e32 v1, s2, v3
	s_mul_i32 s1, s6, s1
	s_mul_hi_u32 s2, s6, s0
	s_add_i32 s1, s2, s1
	s_mul_i32 s3, s3, s0
	s_add_i32 s5, s1, s3
	s_mul_i32 s2, s6, s0
	s_and_b32 s3, s4, 0xffff
	s_mov_b64 s[0:1], 0
	v_mov_b32_e32 v3, s5
	v_mov_b32_e32 v5, s15
.LBB20_31:                              ; =>This Inner Loop Header: Depth=1
	v_ashrrev_i32_e32 v7, 31, v0
	v_add_co_u32_e32 v6, vcc, s2, v0
	v_addc_co_u32_e32 v7, vcc, v3, v7, vcc
	v_add_u32_e32 v0, s3, v0
	v_cmp_le_i32_e32 vcc, s17, v0
	v_lshlrev_b64 v[6:7], 2, v[6:7]
	s_or_b64 s[0:1], vcc, s[0:1]
	v_add_co_u32_e32 v8, vcc, s12, v6
	v_addc_co_u32_e32 v9, vcc, v4, v7, vcc
	v_add_co_u32_e32 v6, vcc, s14, v6
	v_addc_co_u32_e32 v7, vcc, v5, v7, vcc
	global_store_dword v[8:9], v1, off
	global_store_dword v[6:7], v2, off
	s_andn2_b64 exec, exec, s[0:1]
	s_cbranch_execnz .LBB20_31
.LBB20_32:
	s_endpgm
	.section	.rodata,"a",@progbits
	.p2align	6, 0x0
	.amdhsa_kernel _ZN5aiter20topk_softplus_kernelIffDv1_fLb0ELi2EEEvPKT_PKT0_PfPimiiif
		.amdhsa_group_segment_fixed_size 0
		.amdhsa_private_segment_fixed_size 0
		.amdhsa_kernarg_size 312
		.amdhsa_user_sgpr_count 6
		.amdhsa_user_sgpr_private_segment_buffer 1
		.amdhsa_user_sgpr_dispatch_ptr 0
		.amdhsa_user_sgpr_queue_ptr 0
		.amdhsa_user_sgpr_kernarg_segment_ptr 1
		.amdhsa_user_sgpr_dispatch_id 0
		.amdhsa_user_sgpr_flat_scratch_init 0
		.amdhsa_user_sgpr_kernarg_preload_length 0
		.amdhsa_user_sgpr_kernarg_preload_offset 0
		.amdhsa_user_sgpr_private_segment_size 0
		.amdhsa_uses_dynamic_stack 0
		.amdhsa_system_sgpr_private_segment_wavefront_offset 0
		.amdhsa_system_sgpr_workgroup_id_x 1
		.amdhsa_system_sgpr_workgroup_id_y 0
		.amdhsa_system_sgpr_workgroup_id_z 0
		.amdhsa_system_sgpr_workgroup_info 0
		.amdhsa_system_vgpr_workitem_id 0
		.amdhsa_next_free_vgpr 12
		.amdhsa_next_free_sgpr 24
		.amdhsa_accum_offset 12
		.amdhsa_reserve_vcc 1
		.amdhsa_reserve_flat_scratch 0
		.amdhsa_float_round_mode_32 0
		.amdhsa_float_round_mode_16_64 0
		.amdhsa_float_denorm_mode_32 3
		.amdhsa_float_denorm_mode_16_64 3
		.amdhsa_dx10_clamp 1
		.amdhsa_ieee_mode 1
		.amdhsa_fp16_overflow 0
		.amdhsa_tg_split 0
		.amdhsa_exception_fp_ieee_invalid_op 0
		.amdhsa_exception_fp_denorm_src 0
		.amdhsa_exception_fp_ieee_div_zero 0
		.amdhsa_exception_fp_ieee_overflow 0
		.amdhsa_exception_fp_ieee_underflow 0
		.amdhsa_exception_fp_ieee_inexact 0
		.amdhsa_exception_int_div_zero 0
	.end_amdhsa_kernel
	.section	.text._ZN5aiter20topk_softplus_kernelIffDv1_fLb0ELi2EEEvPKT_PKT0_PfPimiiif,"axG",@progbits,_ZN5aiter20topk_softplus_kernelIffDv1_fLb0ELi2EEEvPKT_PKT0_PfPimiiif,comdat
.Lfunc_end20:
	.size	_ZN5aiter20topk_softplus_kernelIffDv1_fLb0ELi2EEEvPKT_PKT0_PfPimiiif, .Lfunc_end20-_ZN5aiter20topk_softplus_kernelIffDv1_fLb0ELi2EEEvPKT_PKT0_PfPimiiif
                                        ; -- End function
	.section	.AMDGPU.csdata,"",@progbits
; Kernel info:
; codeLenInByte = 1556
; NumSgprs: 28
; NumVgprs: 12
; NumAgprs: 0
; TotalNumVgprs: 12
; ScratchSize: 0
; MemoryBound: 0
; FloatMode: 240
; IeeeMode: 1
; LDSByteSize: 0 bytes/workgroup (compile time only)
; SGPRBlocks: 3
; VGPRBlocks: 1
; NumSGPRsForWavesPerEU: 28
; NumVGPRsForWavesPerEU: 12
; AccumOffset: 12
; Occupancy: 8
; WaveLimiterHint : 0
; COMPUTE_PGM_RSRC2:SCRATCH_EN: 0
; COMPUTE_PGM_RSRC2:USER_SGPR: 6
; COMPUTE_PGM_RSRC2:TRAP_HANDLER: 0
; COMPUTE_PGM_RSRC2:TGID_X_EN: 1
; COMPUTE_PGM_RSRC2:TGID_Y_EN: 0
; COMPUTE_PGM_RSRC2:TGID_Z_EN: 0
; COMPUTE_PGM_RSRC2:TIDIG_COMP_CNT: 0
; COMPUTE_PGM_RSRC3_GFX90A:ACCUM_OFFSET: 2
; COMPUTE_PGM_RSRC3_GFX90A:TG_SPLIT: 0
	.section	.text._ZN5aiter24topk_softplus_kernel_optIffLi64ELb1ELi0EEEvPKT_PKT0_PfPimiif,"axG",@progbits,_ZN5aiter24topk_softplus_kernel_optIffLi64ELb1ELi0EEEvPKT_PKT0_PfPimiif,comdat
	.protected	_ZN5aiter24topk_softplus_kernel_optIffLi64ELb1ELi0EEEvPKT_PKT0_PfPimiif ; -- Begin function _ZN5aiter24topk_softplus_kernel_optIffLi64ELb1ELi0EEEvPKT_PKT0_PfPimiif
	.globl	_ZN5aiter24topk_softplus_kernel_optIffLi64ELb1ELi0EEEvPKT_PKT0_PfPimiif
	.p2align	8
	.type	_ZN5aiter24topk_softplus_kernel_optIffLi64ELb1ELi0EEEvPKT_PKT0_PfPimiif,@function
_ZN5aiter24topk_softplus_kernel_optIffLi64ELb1ELi0EEEvPKT_PKT0_PfPimiif: ; @_ZN5aiter24topk_softplus_kernel_optIffLi64ELb1ELi0EEEvPKT_PKT0_PfPimiif
; %bb.0:
	s_load_dwordx4 s[0:3], s[4:5], 0x0
	s_lshl_b32 s8, s6, 6
	s_ashr_i32 s9, s8, 31
	s_lshl_b64 s[8:9], s[8:9], 2
	v_lshlrev_b32_e32 v1, 2, v0
	s_waitcnt lgkmcnt(0)
	s_add_u32 s0, s0, s8
	s_addc_u32 s1, s1, s9
	global_load_dword v2, v1, s[0:1]
	s_mov_b32 s1, 0xc2fc0000
	v_mov_b32_e32 v3, 0x42800000
	v_mov_b32_e32 v4, 0x1f800000
	s_mov_b32 s0, 0x41a00000
	s_cmp_eq_u64 s[2:3], 0
	s_waitcnt vmcnt(0)
	v_mul_f32_e32 v5, 0x3fb8aa3b, v2
	v_cmp_gt_f32_e32 vcc, s1, v5
	v_cndmask_b32_e32 v3, 0, v3, vcc
	v_fmac_f32_e32 v3, 0x3fb8aa3b, v2
	v_exp_f32_e32 v3, v3
	v_cndmask_b32_e32 v4, 1.0, v4, vcc
	s_mov_b32 s1, 0x800000
	v_mov_b32_e32 v5, 0x4f800000
	v_fma_f32 v3, v3, v4, 1.0
	v_cmp_gt_f32_e32 vcc, s1, v3
	v_cndmask_b32_e32 v4, 1.0, v5, vcc
	v_mul_f32_e32 v3, v3, v4
	v_log_f32_e32 v3, v3
	v_mov_b32_e32 v4, 0x42000000
	v_cndmask_b32_e32 v4, 0, v4, vcc
	v_cmp_lt_f32_e32 vcc, s0, v2
	v_sub_f32_e32 v3, v3, v4
	v_mul_f32_e32 v3, 0x3f317218, v3
	s_mov_b32 s1, 0xf800000
	v_cndmask_b32_e32 v2, v3, v2, vcc
	v_mul_f32_e32 v3, 0x4f800000, v2
	v_cmp_gt_f32_e32 vcc, s1, v2
	v_cndmask_b32_e32 v3, v2, v3, vcc
	v_sqrt_f32_e32 v4, v3
	v_mov_b32_e32 v5, 0x260
	v_mov_b32_e32 v2, 0
	v_add_u32_e32 v6, -1, v4
	v_add_u32_e32 v7, 1, v4
	v_fma_f32 v8, -v6, v4, v3
	v_fma_f32 v9, -v7, v4, v3
	v_cmp_ge_f32_e64 s[0:1], 0, v8
	v_cndmask_b32_e64 v4, v4, v6, s[0:1]
	v_cmp_lt_f32_e64 s[0:1], 0, v9
	v_cndmask_b32_e64 v4, v4, v7, s[0:1]
	v_mul_f32_e32 v6, 0x37800000, v4
	v_cndmask_b32_e32 v4, v4, v6, vcc
	v_cmp_class_f32_e32 vcc, v3, v5
	v_cndmask_b32_e32 v4, v4, v3, vcc
	v_mov_b32_e32 v5, v4
	s_cbranch_scc1 .LBB21_2
; %bb.1:
	global_load_dword v3, v1, s[2:3]
	s_waitcnt vmcnt(0)
	v_add_f32_e32 v5, v4, v3
.LBB21_2:
	s_load_dword s2, s[4:5], 0x28
	s_load_dwordx4 s[8:11], s[4:5], 0x10
	s_mov_b32 s3, 0
	v_mov_b32_e32 v6, 0
	v_mov_b32_e32 v3, 0
	s_waitcnt lgkmcnt(0)
	s_cmp_lt_i32 s2, 1
	s_cbranch_scc1 .LBB21_5
; %bb.3:
	v_mbcnt_lo_u32_b32 v2, -1, 0
	v_mbcnt_hi_u32_b32 v2, -1, v2
	v_bfrev_b32_e32 v3, 0.5
	v_mov_b32_e32 v7, 0
	v_mov_b32_e32 v8, 0xff800000
	v_lshl_or_b32 v9, v2, 2, v3
	v_mov_b32_e32 v6, 0
	v_mov_b32_e32 v2, 0
	;; [unrolled: 1-line block ×3, first 2 shown]
.LBB21_4:                               ; =>This Inner Loop Header: Depth=1
	v_cmp_eq_u32_e32 vcc, 0, v7
	v_cndmask_b32_e32 v10, v8, v5, vcc
	;;#ASMSTART
	v_max_f32 v12, v10, v10 quad_perm:[1,0,3,2] row_mask:0xf bank_mask:0xf bound_ctrl:1
	;;#ASMEND
	;;#ASMSTART
	v_max_f32 v13, v12, v12 quad_perm:[2,3,0,1] row_mask:0xf bank_mask:0xf bound_ctrl:1
	;;#ASMEND
	;;#ASMSTART
	v_max_f32 v12, v13, v13 row_half_mirror row_mask:0xf bank_mask:0xf bound_ctrl:1
	;;#ASMEND
	;;#ASMSTART
	v_max_f32 v13, v12, v12 row_mirror row_mask:0xf bank_mask:0xf bound_ctrl:1
	;;#ASMEND
	;;#ASMSTART
	v_max_f32 v12, v13, v13 row_ror:4 row_mask:0xf bank_mask:0xf bound_ctrl:1
	;;#ASMEND
	;;#ASMSTART
	v_max_f32 v13, v12, v12 row_ror:8 row_mask:0xf bank_mask:0xf bound_ctrl:1
	;;#ASMEND
	;;#ASMSTART
	v_max_f32 v12, v13, v13 row_bcast:15 row_mask:0xf bank_mask:0xf bound_ctrl:1
	;;#ASMEND
	;;#ASMSTART
	v_max_f32 v13, v12, v12 row_bcast:31 row_mask:0xf bank_mask:0xf bound_ctrl:1
	;;#ASMEND
	ds_bpermute_b32 v12, v9, v13
	v_cndmask_b32_e32 v11, 0, v0, vcc
	s_waitcnt lgkmcnt(0)
	v_cmp_eq_f32_e64 s[0:1], v10, v12
	s_ff1_i32_b64 s7, s[0:1]
	s_cmp_lg_u64 s[0:1], 0
	s_cselect_b32 s0, s7, 0
	s_nop 0
	v_readlane_b32 s7, v11, s0
	v_cmp_eq_u32_e64 s[0:1], s7, v0
	s_and_b64 vcc, vcc, s[0:1]
	s_and_b32 s12, s7, 63
	v_cndmask_b32_e32 v11, 0, v4, vcc
	v_addc_co_u32_e32 v7, vcc, 0, v7, vcc
	v_readlane_b32 s0, v11, s12
	v_mov_b32_e32 v10, s7
	v_mov_b32_e32 v11, s0
	v_cmp_eq_u32_e32 vcc, s3, v0
	s_add_i32 s3, s3, 1
	v_add_f32_e32 v6, s0, v6
	v_cndmask_b32_e32 v3, v3, v11, vcc
	s_cmp_eq_u32 s2, s3
	v_cndmask_b32_e32 v2, v2, v10, vcc
	s_cbranch_scc0 .LBB21_4
.LBB21_5:
	v_cmp_gt_i32_e32 vcc, s2, v0
	s_and_saveexec_b64 s[0:1], vcc
	s_cbranch_execz .LBB21_7
; %bb.6:
	s_load_dword s2, s[4:5], 0x30
	v_max_f32_e32 v0, v6, v6
	v_max_f32_e32 v0, 0x1e3ce508, v0
	s_waitcnt lgkmcnt(0)
	v_div_scale_f32 v4, s[0:1], v0, v0, s2
	v_rcp_f32_e32 v5, v4
	v_div_scale_f32 v6, vcc, s2, v0, s2
	s_load_dwordx2 s[0:1], s[4:5], 0x20
	v_fma_f32 v7, -v4, v5, 1.0
	v_fmac_f32_e32 v5, v7, v5
	v_mul_f32_e32 v7, v6, v5
	v_fma_f32 v8, -v4, v7, v6
	v_fmac_f32_e32 v7, v8, v5
	v_fma_f32 v4, -v4, v7, v6
	v_div_fmas_f32 v4, v4, v5, v7
	v_div_fixup_f32 v0, v4, v0, s2
	s_ashr_i32 s2, s6, 31
	s_waitcnt lgkmcnt(0)
	s_mul_i32 s1, s6, s1
	s_mul_hi_u32 s3, s6, s0
	s_add_i32 s1, s3, s1
	s_mul_i32 s2, s2, s0
	s_add_i32 s1, s1, s2
	s_mul_i32 s0, s6, s0
	s_lshl_b64 s[0:1], s[0:1], 2
	s_add_u32 s2, s8, s0
	s_addc_u32 s3, s9, s1
	s_add_u32 s0, s10, s0
	v_mul_f32_e32 v0, v3, v0
	s_addc_u32 s1, s11, s1
	global_store_dword v1, v0, s[2:3]
	global_store_dword v1, v2, s[0:1]
.LBB21_7:
	s_endpgm
	.section	.rodata,"a",@progbits
	.p2align	6, 0x0
	.amdhsa_kernel _ZN5aiter24topk_softplus_kernel_optIffLi64ELb1ELi0EEEvPKT_PKT0_PfPimiif
		.amdhsa_group_segment_fixed_size 0
		.amdhsa_private_segment_fixed_size 0
		.amdhsa_kernarg_size 52
		.amdhsa_user_sgpr_count 6
		.amdhsa_user_sgpr_private_segment_buffer 1
		.amdhsa_user_sgpr_dispatch_ptr 0
		.amdhsa_user_sgpr_queue_ptr 0
		.amdhsa_user_sgpr_kernarg_segment_ptr 1
		.amdhsa_user_sgpr_dispatch_id 0
		.amdhsa_user_sgpr_flat_scratch_init 0
		.amdhsa_user_sgpr_kernarg_preload_length 0
		.amdhsa_user_sgpr_kernarg_preload_offset 0
		.amdhsa_user_sgpr_private_segment_size 0
		.amdhsa_uses_dynamic_stack 0
		.amdhsa_system_sgpr_private_segment_wavefront_offset 0
		.amdhsa_system_sgpr_workgroup_id_x 1
		.amdhsa_system_sgpr_workgroup_id_y 0
		.amdhsa_system_sgpr_workgroup_id_z 0
		.amdhsa_system_sgpr_workgroup_info 0
		.amdhsa_system_vgpr_workitem_id 0
		.amdhsa_next_free_vgpr 14
		.amdhsa_next_free_sgpr 13
		.amdhsa_accum_offset 16
		.amdhsa_reserve_vcc 1
		.amdhsa_reserve_flat_scratch 0
		.amdhsa_float_round_mode_32 0
		.amdhsa_float_round_mode_16_64 0
		.amdhsa_float_denorm_mode_32 3
		.amdhsa_float_denorm_mode_16_64 3
		.amdhsa_dx10_clamp 1
		.amdhsa_ieee_mode 1
		.amdhsa_fp16_overflow 0
		.amdhsa_tg_split 0
		.amdhsa_exception_fp_ieee_invalid_op 0
		.amdhsa_exception_fp_denorm_src 0
		.amdhsa_exception_fp_ieee_div_zero 0
		.amdhsa_exception_fp_ieee_overflow 0
		.amdhsa_exception_fp_ieee_underflow 0
		.amdhsa_exception_fp_ieee_inexact 0
		.amdhsa_exception_int_div_zero 0
	.end_amdhsa_kernel
	.section	.text._ZN5aiter24topk_softplus_kernel_optIffLi64ELb1ELi0EEEvPKT_PKT0_PfPimiif,"axG",@progbits,_ZN5aiter24topk_softplus_kernel_optIffLi64ELb1ELi0EEEvPKT_PKT0_PfPimiif,comdat
.Lfunc_end21:
	.size	_ZN5aiter24topk_softplus_kernel_optIffLi64ELb1ELi0EEEvPKT_PKT0_PfPimiif, .Lfunc_end21-_ZN5aiter24topk_softplus_kernel_optIffLi64ELb1ELi0EEEvPKT_PKT0_PfPimiif
                                        ; -- End function
	.section	.AMDGPU.csdata,"",@progbits
; Kernel info:
; codeLenInByte = 800
; NumSgprs: 17
; NumVgprs: 14
; NumAgprs: 0
; TotalNumVgprs: 14
; ScratchSize: 0
; MemoryBound: 0
; FloatMode: 240
; IeeeMode: 1
; LDSByteSize: 0 bytes/workgroup (compile time only)
; SGPRBlocks: 2
; VGPRBlocks: 1
; NumSGPRsForWavesPerEU: 17
; NumVGPRsForWavesPerEU: 14
; AccumOffset: 16
; Occupancy: 8
; WaveLimiterHint : 0
; COMPUTE_PGM_RSRC2:SCRATCH_EN: 0
; COMPUTE_PGM_RSRC2:USER_SGPR: 6
; COMPUTE_PGM_RSRC2:TRAP_HANDLER: 0
; COMPUTE_PGM_RSRC2:TGID_X_EN: 1
; COMPUTE_PGM_RSRC2:TGID_Y_EN: 0
; COMPUTE_PGM_RSRC2:TGID_Z_EN: 0
; COMPUTE_PGM_RSRC2:TIDIG_COMP_CNT: 0
; COMPUTE_PGM_RSRC3_GFX90A:ACCUM_OFFSET: 3
; COMPUTE_PGM_RSRC3_GFX90A:TG_SPLIT: 0
	.section	.text._ZN5aiter24topk_softplus_kernel_optIffLi64ELb0ELi0EEEvPKT_PKT0_PfPimiif,"axG",@progbits,_ZN5aiter24topk_softplus_kernel_optIffLi64ELb0ELi0EEEvPKT_PKT0_PfPimiif,comdat
	.protected	_ZN5aiter24topk_softplus_kernel_optIffLi64ELb0ELi0EEEvPKT_PKT0_PfPimiif ; -- Begin function _ZN5aiter24topk_softplus_kernel_optIffLi64ELb0ELi0EEEvPKT_PKT0_PfPimiif
	.globl	_ZN5aiter24topk_softplus_kernel_optIffLi64ELb0ELi0EEEvPKT_PKT0_PfPimiif
	.p2align	8
	.type	_ZN5aiter24topk_softplus_kernel_optIffLi64ELb0ELi0EEEvPKT_PKT0_PfPimiif,@function
_ZN5aiter24topk_softplus_kernel_optIffLi64ELb0ELi0EEEvPKT_PKT0_PfPimiif: ; @_ZN5aiter24topk_softplus_kernel_optIffLi64ELb0ELi0EEEvPKT_PKT0_PfPimiif
; %bb.0:
	s_load_dwordx4 s[0:3], s[4:5], 0x0
	s_lshl_b32 s8, s6, 6
	s_ashr_i32 s9, s8, 31
	s_lshl_b64 s[8:9], s[8:9], 2
	v_lshlrev_b32_e32 v1, 2, v0
	s_waitcnt lgkmcnt(0)
	s_add_u32 s0, s0, s8
	s_addc_u32 s1, s1, s9
	global_load_dword v2, v1, s[0:1]
	s_mov_b32 s1, 0xc2fc0000
	v_mov_b32_e32 v3, 0x42800000
	v_mov_b32_e32 v4, 0x1f800000
	s_mov_b32 s0, 0x41a00000
	s_cmp_eq_u64 s[2:3], 0
	s_waitcnt vmcnt(0)
	v_mul_f32_e32 v5, 0x3fb8aa3b, v2
	v_cmp_gt_f32_e32 vcc, s1, v5
	v_cndmask_b32_e32 v3, 0, v3, vcc
	v_fmac_f32_e32 v3, 0x3fb8aa3b, v2
	v_exp_f32_e32 v3, v3
	v_cndmask_b32_e32 v4, 1.0, v4, vcc
	s_mov_b32 s1, 0x800000
	v_mov_b32_e32 v5, 0x4f800000
	v_fma_f32 v3, v3, v4, 1.0
	v_cmp_gt_f32_e32 vcc, s1, v3
	v_cndmask_b32_e32 v4, 1.0, v5, vcc
	v_mul_f32_e32 v3, v3, v4
	v_log_f32_e32 v3, v3
	v_mov_b32_e32 v4, 0x42000000
	v_cndmask_b32_e32 v4, 0, v4, vcc
	v_cmp_lt_f32_e32 vcc, s0, v2
	v_sub_f32_e32 v3, v3, v4
	v_mul_f32_e32 v3, 0x3f317218, v3
	s_mov_b32 s1, 0xf800000
	v_cndmask_b32_e32 v2, v3, v2, vcc
	v_mul_f32_e32 v3, 0x4f800000, v2
	v_cmp_gt_f32_e32 vcc, s1, v2
	v_cndmask_b32_e32 v3, v2, v3, vcc
	v_sqrt_f32_e32 v4, v3
	v_mov_b32_e32 v5, 0x260
	v_mov_b32_e32 v2, 0
	v_add_u32_e32 v6, -1, v4
	v_add_u32_e32 v7, 1, v4
	v_fma_f32 v8, -v6, v4, v3
	v_fma_f32 v9, -v7, v4, v3
	v_cmp_ge_f32_e64 s[0:1], 0, v8
	v_cndmask_b32_e64 v4, v4, v6, s[0:1]
	v_cmp_lt_f32_e64 s[0:1], 0, v9
	v_cndmask_b32_e64 v4, v4, v7, s[0:1]
	v_mul_f32_e32 v6, 0x37800000, v4
	v_cndmask_b32_e32 v4, v4, v6, vcc
	v_cmp_class_f32_e32 vcc, v3, v5
	v_cndmask_b32_e32 v4, v4, v3, vcc
	v_mov_b32_e32 v5, v4
	s_cbranch_scc1 .LBB22_2
; %bb.1:
	global_load_dword v3, v1, s[2:3]
	s_waitcnt vmcnt(0)
	v_add_f32_e32 v5, v4, v3
.LBB22_2:
	s_load_dword s2, s[4:5], 0x28
	s_load_dwordx4 s[8:11], s[4:5], 0x10
	s_waitcnt lgkmcnt(0)
	s_cmp_lt_i32 s2, 1
	s_cbranch_scc1 .LBB22_8
; %bb.3:
	v_mbcnt_lo_u32_b32 v2, -1, 0
	v_mbcnt_hi_u32_b32 v2, -1, v2
	v_bfrev_b32_e32 v8, 0.5
	s_mov_b32 s3, 0
	v_mov_b32_e32 v6, 0
	v_mov_b32_e32 v3, 0
	;; [unrolled: 1-line block ×3, first 2 shown]
	v_lshl_or_b32 v8, v2, 2, v8
	v_mov_b32_e32 v2, 0
.LBB22_4:                               ; =>This Inner Loop Header: Depth=1
	v_cmp_eq_u32_e32 vcc, 0, v6
	v_cndmask_b32_e32 v9, v7, v5, vcc
	;;#ASMSTART
	v_max_f32 v11, v9, v9 quad_perm:[1,0,3,2] row_mask:0xf bank_mask:0xf bound_ctrl:1
	;;#ASMEND
	;;#ASMSTART
	v_max_f32 v12, v11, v11 quad_perm:[2,3,0,1] row_mask:0xf bank_mask:0xf bound_ctrl:1
	;;#ASMEND
	;;#ASMSTART
	v_max_f32 v11, v12, v12 row_half_mirror row_mask:0xf bank_mask:0xf bound_ctrl:1
	;;#ASMEND
	;;#ASMSTART
	v_max_f32 v12, v11, v11 row_mirror row_mask:0xf bank_mask:0xf bound_ctrl:1
	;;#ASMEND
	;;#ASMSTART
	v_max_f32 v11, v12, v12 row_ror:4 row_mask:0xf bank_mask:0xf bound_ctrl:1
	;;#ASMEND
	;;#ASMSTART
	v_max_f32 v12, v11, v11 row_ror:8 row_mask:0xf bank_mask:0xf bound_ctrl:1
	;;#ASMEND
	;;#ASMSTART
	v_max_f32 v11, v12, v12 row_bcast:15 row_mask:0xf bank_mask:0xf bound_ctrl:1
	;;#ASMEND
	;;#ASMSTART
	v_max_f32 v12, v11, v11 row_bcast:31 row_mask:0xf bank_mask:0xf bound_ctrl:1
	;;#ASMEND
	ds_bpermute_b32 v11, v8, v12
	v_cndmask_b32_e32 v10, 0, v0, vcc
	s_waitcnt lgkmcnt(0)
	v_cmp_eq_f32_e64 s[0:1], v9, v11
	s_ff1_i32_b64 s7, s[0:1]
	s_cmp_lg_u64 s[0:1], 0
	s_cselect_b32 s0, s7, 0
	s_nop 0
	v_readlane_b32 s7, v10, s0
	v_cmp_eq_u32_e64 s[0:1], s7, v0
	s_and_b64 vcc, vcc, s[0:1]
	s_and_b32 s12, s7, 63
	v_cndmask_b32_e32 v10, 0, v4, vcc
	v_addc_co_u32_e32 v6, vcc, 0, v6, vcc
	v_readlane_b32 s0, v10, s12
	v_mov_b32_e32 v9, s7
	v_mov_b32_e32 v10, s0
	v_cmp_eq_u32_e32 vcc, s3, v0
	s_add_i32 s3, s3, 1
	v_cndmask_b32_e32 v3, v3, v10, vcc
	s_cmp_eq_u32 s2, s3
	v_cndmask_b32_e32 v2, v2, v9, vcc
	s_cbranch_scc0 .LBB22_4
; %bb.5:
	v_cmp_gt_i32_e32 vcc, s2, v0
	s_and_saveexec_b64 s[0:1], vcc
	s_cbranch_execz .LBB22_7
.LBB22_6:
	s_load_dword s2, s[4:5], 0x30
	s_load_dwordx2 s[0:1], s[4:5], 0x20
	s_ashr_i32 s3, s6, 31
	s_waitcnt lgkmcnt(0)
	v_mul_f32_e32 v0, s2, v3
	s_mul_i32 s1, s6, s1
	s_mul_hi_u32 s2, s6, s0
	s_add_i32 s1, s2, s1
	s_mul_i32 s3, s3, s0
	s_add_i32 s1, s1, s3
	s_mul_i32 s0, s6, s0
	s_lshl_b64 s[0:1], s[0:1], 2
	s_add_u32 s2, s8, s0
	s_addc_u32 s3, s9, s1
	s_add_u32 s0, s10, s0
	s_addc_u32 s1, s11, s1
	global_store_dword v1, v0, s[2:3]
	global_store_dword v1, v2, s[0:1]
.LBB22_7:
	s_endpgm
.LBB22_8:
	v_mov_b32_e32 v3, 0
	v_cmp_gt_i32_e32 vcc, s2, v0
	s_and_saveexec_b64 s[0:1], vcc
	s_cbranch_execnz .LBB22_6
	s_branch .LBB22_7
	.section	.rodata,"a",@progbits
	.p2align	6, 0x0
	.amdhsa_kernel _ZN5aiter24topk_softplus_kernel_optIffLi64ELb0ELi0EEEvPKT_PKT0_PfPimiif
		.amdhsa_group_segment_fixed_size 0
		.amdhsa_private_segment_fixed_size 0
		.amdhsa_kernarg_size 52
		.amdhsa_user_sgpr_count 6
		.amdhsa_user_sgpr_private_segment_buffer 1
		.amdhsa_user_sgpr_dispatch_ptr 0
		.amdhsa_user_sgpr_queue_ptr 0
		.amdhsa_user_sgpr_kernarg_segment_ptr 1
		.amdhsa_user_sgpr_dispatch_id 0
		.amdhsa_user_sgpr_flat_scratch_init 0
		.amdhsa_user_sgpr_kernarg_preload_length 0
		.amdhsa_user_sgpr_kernarg_preload_offset 0
		.amdhsa_user_sgpr_private_segment_size 0
		.amdhsa_uses_dynamic_stack 0
		.amdhsa_system_sgpr_private_segment_wavefront_offset 0
		.amdhsa_system_sgpr_workgroup_id_x 1
		.amdhsa_system_sgpr_workgroup_id_y 0
		.amdhsa_system_sgpr_workgroup_id_z 0
		.amdhsa_system_sgpr_workgroup_info 0
		.amdhsa_system_vgpr_workitem_id 0
		.amdhsa_next_free_vgpr 13
		.amdhsa_next_free_sgpr 13
		.amdhsa_accum_offset 16
		.amdhsa_reserve_vcc 1
		.amdhsa_reserve_flat_scratch 0
		.amdhsa_float_round_mode_32 0
		.amdhsa_float_round_mode_16_64 0
		.amdhsa_float_denorm_mode_32 3
		.amdhsa_float_denorm_mode_16_64 3
		.amdhsa_dx10_clamp 1
		.amdhsa_ieee_mode 1
		.amdhsa_fp16_overflow 0
		.amdhsa_tg_split 0
		.amdhsa_exception_fp_ieee_invalid_op 0
		.amdhsa_exception_fp_denorm_src 0
		.amdhsa_exception_fp_ieee_div_zero 0
		.amdhsa_exception_fp_ieee_overflow 0
		.amdhsa_exception_fp_ieee_underflow 0
		.amdhsa_exception_fp_ieee_inexact 0
		.amdhsa_exception_int_div_zero 0
	.end_amdhsa_kernel
	.section	.text._ZN5aiter24topk_softplus_kernel_optIffLi64ELb0ELi0EEEvPKT_PKT0_PfPimiif,"axG",@progbits,_ZN5aiter24topk_softplus_kernel_optIffLi64ELb0ELi0EEEvPKT_PKT0_PfPimiif,comdat
.Lfunc_end22:
	.size	_ZN5aiter24topk_softplus_kernel_optIffLi64ELb0ELi0EEEvPKT_PKT0_PfPimiif, .Lfunc_end22-_ZN5aiter24topk_softplus_kernel_optIffLi64ELb0ELi0EEEvPKT_PKT0_PfPimiif
                                        ; -- End function
	.section	.AMDGPU.csdata,"",@progbits
; Kernel info:
; codeLenInByte = 716
; NumSgprs: 17
; NumVgprs: 13
; NumAgprs: 0
; TotalNumVgprs: 13
; ScratchSize: 0
; MemoryBound: 0
; FloatMode: 240
; IeeeMode: 1
; LDSByteSize: 0 bytes/workgroup (compile time only)
; SGPRBlocks: 2
; VGPRBlocks: 1
; NumSGPRsForWavesPerEU: 17
; NumVGPRsForWavesPerEU: 13
; AccumOffset: 16
; Occupancy: 8
; WaveLimiterHint : 0
; COMPUTE_PGM_RSRC2:SCRATCH_EN: 0
; COMPUTE_PGM_RSRC2:USER_SGPR: 6
; COMPUTE_PGM_RSRC2:TRAP_HANDLER: 0
; COMPUTE_PGM_RSRC2:TGID_X_EN: 1
; COMPUTE_PGM_RSRC2:TGID_Y_EN: 0
; COMPUTE_PGM_RSRC2:TGID_Z_EN: 0
; COMPUTE_PGM_RSRC2:TIDIG_COMP_CNT: 0
; COMPUTE_PGM_RSRC3_GFX90A:ACCUM_OFFSET: 3
; COMPUTE_PGM_RSRC3_GFX90A:TG_SPLIT: 0
	.section	.text._ZN5aiter24topk_softplus_kernel_optIffLi128ELb1ELi0EEEvPKT_PKT0_PfPimiif,"axG",@progbits,_ZN5aiter24topk_softplus_kernel_optIffLi128ELb1ELi0EEEvPKT_PKT0_PfPimiif,comdat
	.protected	_ZN5aiter24topk_softplus_kernel_optIffLi128ELb1ELi0EEEvPKT_PKT0_PfPimiif ; -- Begin function _ZN5aiter24topk_softplus_kernel_optIffLi128ELb1ELi0EEEvPKT_PKT0_PfPimiif
	.globl	_ZN5aiter24topk_softplus_kernel_optIffLi128ELb1ELi0EEEvPKT_PKT0_PfPimiif
	.p2align	8
	.type	_ZN5aiter24topk_softplus_kernel_optIffLi128ELb1ELi0EEEvPKT_PKT0_PfPimiif,@function
_ZN5aiter24topk_softplus_kernel_optIffLi128ELb1ELi0EEEvPKT_PKT0_PfPimiif: ; @_ZN5aiter24topk_softplus_kernel_optIffLi128ELb1ELi0EEEvPKT_PKT0_PfPimiif
; %bb.0:
	s_load_dwordx4 s[8:11], s[4:5], 0x0
	s_lshl_b32 s0, s6, 7
	s_ashr_i32 s1, s0, 31
	s_lshl_b64 s[0:1], s[0:1], 2
	v_lshlrev_b32_e32 v7, 2, v0
	s_waitcnt lgkmcnt(0)
	s_add_u32 s0, s8, s0
	s_addc_u32 s1, s9, s1
	global_load_dword v2, v7, s[0:1]
	s_mov_b32 s12, 0xc2fc0000
	v_mov_b32_e32 v5, 0x42800000
	v_mov_b32_e32 v10, 0x1f800000
	s_mov_b32 s13, 0x800000
	v_mov_b32_e32 v8, 0x4f800000
	v_mov_b32_e32 v9, 0x42000000
	s_mov_b32 s7, 0x41a00000
	s_mov_b32 s14, 0xf800000
	s_cmp_lg_u64 s[10:11], 0
	s_cselect_b64 s[8:9], -1, 0
	s_waitcnt vmcnt(0)
	v_mul_f32_e32 v1, 0x3fb8aa3b, v2
	v_cmp_gt_f32_e32 vcc, s12, v1
	v_cndmask_b32_e32 v1, 0, v5, vcc
	v_fmac_f32_e32 v1, 0x3fb8aa3b, v2
	v_exp_f32_e32 v3, v1
	v_cndmask_b32_e32 v4, 1.0, v10, vcc
	v_mov_b32_e32 v1, 0x260
	v_fma_f32 v3, v3, v4, 1.0
	v_cmp_gt_f32_e32 vcc, s13, v3
	v_cndmask_b32_e32 v4, 1.0, v8, vcc
	v_mul_f32_e32 v3, v3, v4
	v_log_f32_e32 v3, v3
	v_cndmask_b32_e32 v6, 0, v9, vcc
	v_cmp_lt_f32_e32 vcc, s7, v2
	v_mov_b32_e32 v4, s1
	v_sub_f32_e32 v3, v3, v6
	v_mul_f32_e32 v3, 0x3f317218, v3
	v_cndmask_b32_e32 v2, v3, v2, vcc
	v_mul_f32_e32 v3, 0x4f800000, v2
	v_cmp_gt_f32_e32 vcc, s14, v2
	v_cndmask_b32_e32 v6, v2, v3, vcc
	v_sqrt_f32_e32 v11, v6
	v_add_co_u32_e64 v2, s[0:1], s0, v7
	v_addc_co_u32_e64 v3, s[0:1], 0, v4, s[0:1]
	v_add_u32_e32 v4, -1, v11
	v_add_u32_e32 v12, 1, v11
	v_fma_f32 v13, -v4, v11, v6
	v_fma_f32 v14, -v12, v11, v6
	v_cmp_ge_f32_e64 s[2:3], 0, v13
	v_cndmask_b32_e64 v4, v11, v4, s[2:3]
	v_cmp_lt_f32_e64 s[2:3], 0, v14
	v_cndmask_b32_e64 v4, v4, v12, s[2:3]
	v_mul_f32_e32 v11, 0x37800000, v4
	v_cndmask_b32_e32 v4, v4, v11, vcc
	v_cmp_class_f32_e32 vcc, v6, v1
	s_and_b64 s[0:1], exec, s[8:9]
	v_cndmask_b32_e32 v6, v4, v6, vcc
	v_mov_b32_e32 v4, v6
	s_mov_b64 vcc, s[0:1]
	s_cbranch_vccz .LBB23_2
; %bb.1:
	global_load_dword v4, v7, s[10:11]
	s_waitcnt vmcnt(0)
	v_add_f32_e32 v4, v6, v4
.LBB23_2:
	global_load_dword v2, v[2:3], off offset:256
	s_waitcnt vmcnt(0)
	v_mul_f32_e32 v3, 0x3fb8aa3b, v2
	v_cmp_gt_f32_e32 vcc, s12, v3
	v_cndmask_b32_e32 v5, 0, v5, vcc
	v_fmac_f32_e32 v5, 0x3fb8aa3b, v2
	v_exp_f32_e32 v5, v5
	v_cndmask_b32_e32 v3, 1.0, v10, vcc
	v_fma_f32 v3, v5, v3, 1.0
	v_cmp_gt_f32_e32 vcc, s13, v3
	v_cndmask_b32_e32 v5, 1.0, v8, vcc
	v_mul_f32_e32 v3, v3, v5
	v_log_f32_e32 v3, v3
	v_cndmask_b32_e32 v5, 0, v9, vcc
	v_cmp_lt_f32_e32 vcc, s7, v2
	v_sub_f32_e32 v3, v3, v5
	v_mul_f32_e32 v3, 0x3f317218, v3
	v_cndmask_b32_e32 v2, v3, v2, vcc
	v_mul_f32_e32 v3, 0x4f800000, v2
	v_cmp_gt_f32_e32 vcc, s14, v2
	v_cndmask_b32_e32 v2, v2, v3, vcc
	v_sqrt_f32_e32 v3, v2
	v_add_u32_e32 v5, -1, v3
	v_add_u32_e32 v8, 1, v3
	v_fma_f32 v9, -v5, v3, v2
	v_fma_f32 v10, -v8, v3, v2
	v_cmp_ge_f32_e64 s[0:1], 0, v9
	v_cndmask_b32_e64 v3, v3, v5, s[0:1]
	v_cmp_lt_f32_e64 s[0:1], 0, v10
	v_cndmask_b32_e64 v3, v3, v8, s[0:1]
	v_mul_f32_e32 v5, 0x37800000, v3
	v_cndmask_b32_e32 v3, v3, v5, vcc
	v_cmp_class_f32_e32 vcc, v2, v1
	v_cndmask_b32_e32 v11, v3, v2, vcc
	s_andn2_b64 vcc, exec, s[8:9]
	v_mov_b32_e32 v5, v11
	s_cbranch_vccnz .LBB23_4
; %bb.3:
	global_load_dword v1, v7, s[10:11] offset:256
	s_waitcnt vmcnt(0)
	v_add_f32_e32 v5, v11, v1
.LBB23_4:
	s_load_dword s2, s[4:5], 0x28
	s_load_dwordx4 s[8:11], s[4:5], 0x10
	v_mov_b32_e32 v10, 0
	v_mov_b32_e32 v8, 0
	;; [unrolled: 1-line block ×3, first 2 shown]
	s_waitcnt lgkmcnt(0)
	s_cmp_gt_i32 s2, 0
	s_cbranch_scc0 .LBB23_7
; %bb.5:
	v_mbcnt_lo_u32_b32 v8, -1, 0
	v_add_u32_e32 v2, 64, v0
	v_cmp_lt_f32_e32 vcc, v4, v5
	v_mbcnt_hi_u32_b32 v8, -1, v8
	v_bfrev_b32_e32 v9, 0.5
	v_cndmask_b32_e32 v1, v2, v0, vcc
	v_cndmask_b32_e32 v2, v0, v2, vcc
	;; [unrolled: 1-line block ×6, first 2 shown]
	v_mov_b32_e32 v10, 0
	v_mov_b32_e32 v11, 0
	;; [unrolled: 1-line block ×3, first 2 shown]
	v_lshl_or_b32 v13, v8, 2, v9
	v_mov_b32_e32 v14, v0
	s_mov_b32 s3, s2
	v_mov_b32_e32 v8, 0
	v_mov_b32_e32 v9, 0
.LBB23_6:                               ; =>This Inner Loop Header: Depth=1
	v_cmp_eq_u32_e32 vcc, 1, v11
	v_cndmask_b32_e32 v15, v4, v3, vcc
	v_cmp_gt_u32_e64 s[0:1], 2, v11
	v_cndmask_b32_e64 v15, v12, v15, s[0:1]
	;;#ASMSTART
	v_max_f32 v19, v15, v15 quad_perm:[1,0,3,2] row_mask:0xf bank_mask:0xf bound_ctrl:1
	;;#ASMEND
	;;#ASMSTART
	v_max_f32 v20, v19, v19 quad_perm:[2,3,0,1] row_mask:0xf bank_mask:0xf bound_ctrl:1
	;;#ASMEND
	;;#ASMSTART
	v_max_f32 v19, v20, v20 row_half_mirror row_mask:0xf bank_mask:0xf bound_ctrl:1
	;;#ASMEND
	;;#ASMSTART
	v_max_f32 v20, v19, v19 row_mirror row_mask:0xf bank_mask:0xf bound_ctrl:1
	;;#ASMEND
	;;#ASMSTART
	v_max_f32 v19, v20, v20 row_ror:4 row_mask:0xf bank_mask:0xf bound_ctrl:1
	;;#ASMEND
	;;#ASMSTART
	v_max_f32 v20, v19, v19 row_ror:8 row_mask:0xf bank_mask:0xf bound_ctrl:1
	;;#ASMEND
	;;#ASMSTART
	v_max_f32 v19, v20, v20 row_bcast:15 row_mask:0xf bank_mask:0xf bound_ctrl:1
	;;#ASMEND
	;;#ASMSTART
	v_max_f32 v20, v19, v19 row_bcast:31 row_mask:0xf bank_mask:0xf bound_ctrl:1
	;;#ASMEND
	ds_bpermute_b32 v19, v13, v20
	v_cndmask_b32_e32 v16, v2, v1, vcc
	v_cndmask_b32_e32 v17, v6, v5, vcc
	v_cndmask_b32_e64 v18, 0, v16, s[0:1]
	s_waitcnt lgkmcnt(0)
	v_cmp_eq_f32_e32 vcc, v15, v19
	s_ff1_i32_b64 s7, vcc
	s_cmp_lg_u64 vcc, 0
	s_cselect_b32 s7, s7, 0
	v_readlane_b32 s7, v18, s7
	v_cmp_eq_u32_e32 vcc, s7, v16
	s_and_b64 vcc, s[0:1], vcc
	s_and_b32 s12, s7, 63
	v_cndmask_b32_e32 v16, 0, v17, vcc
	v_addc_co_u32_e32 v11, vcc, 0, v11, vcc
	v_readlane_b32 s0, v16, s12
	s_add_i32 s3, s3, -1
	v_mov_b32_e32 v15, s7
	v_mov_b32_e32 v16, s0
	v_cmp_eq_u32_e32 vcc, 0, v14
	s_cmp_eq_u32 s3, 0
	v_add_f32_e32 v10, s0, v10
	v_add_u32_e32 v14, -1, v14
	v_cndmask_b32_e32 v9, v9, v16, vcc
	v_cndmask_b32_e32 v8, v8, v15, vcc
	s_cbranch_scc0 .LBB23_6
.LBB23_7:
	v_cmp_gt_i32_e32 vcc, s2, v0
	s_and_saveexec_b64 s[0:1], vcc
	s_cbranch_execz .LBB23_9
; %bb.8:
	s_load_dword s2, s[4:5], 0x30
	v_max_f32_e32 v0, v10, v10
	v_max_f32_e32 v0, 0x1e3ce508, v0
	s_waitcnt lgkmcnt(0)
	v_div_scale_f32 v1, s[0:1], v0, v0, s2
	v_rcp_f32_e32 v2, v1
	v_div_scale_f32 v3, vcc, s2, v0, s2
	s_load_dwordx2 s[0:1], s[4:5], 0x20
	v_fma_f32 v4, -v1, v2, 1.0
	v_fmac_f32_e32 v2, v4, v2
	v_mul_f32_e32 v4, v3, v2
	v_fma_f32 v5, -v1, v4, v3
	v_fmac_f32_e32 v4, v5, v2
	v_fma_f32 v1, -v1, v4, v3
	v_div_fmas_f32 v1, v1, v2, v4
	v_div_fixup_f32 v0, v1, v0, s2
	s_ashr_i32 s2, s6, 31
	s_waitcnt lgkmcnt(0)
	s_mul_i32 s1, s6, s1
	s_mul_hi_u32 s3, s6, s0
	s_add_i32 s1, s3, s1
	s_mul_i32 s2, s2, s0
	s_add_i32 s1, s1, s2
	s_mul_i32 s0, s6, s0
	s_lshl_b64 s[0:1], s[0:1], 2
	s_add_u32 s2, s8, s0
	s_addc_u32 s3, s9, s1
	s_add_u32 s0, s10, s0
	v_mul_f32_e32 v0, v9, v0
	s_addc_u32 s1, s11, s1
	global_store_dword v7, v0, s[2:3]
	global_store_dword v7, v8, s[0:1]
.LBB23_9:
	s_endpgm
	.section	.rodata,"a",@progbits
	.p2align	6, 0x0
	.amdhsa_kernel _ZN5aiter24topk_softplus_kernel_optIffLi128ELb1ELi0EEEvPKT_PKT0_PfPimiif
		.amdhsa_group_segment_fixed_size 0
		.amdhsa_private_segment_fixed_size 0
		.amdhsa_kernarg_size 52
		.amdhsa_user_sgpr_count 6
		.amdhsa_user_sgpr_private_segment_buffer 1
		.amdhsa_user_sgpr_dispatch_ptr 0
		.amdhsa_user_sgpr_queue_ptr 0
		.amdhsa_user_sgpr_kernarg_segment_ptr 1
		.amdhsa_user_sgpr_dispatch_id 0
		.amdhsa_user_sgpr_flat_scratch_init 0
		.amdhsa_user_sgpr_kernarg_preload_length 0
		.amdhsa_user_sgpr_kernarg_preload_offset 0
		.amdhsa_user_sgpr_private_segment_size 0
		.amdhsa_uses_dynamic_stack 0
		.amdhsa_system_sgpr_private_segment_wavefront_offset 0
		.amdhsa_system_sgpr_workgroup_id_x 1
		.amdhsa_system_sgpr_workgroup_id_y 0
		.amdhsa_system_sgpr_workgroup_id_z 0
		.amdhsa_system_sgpr_workgroup_info 0
		.amdhsa_system_vgpr_workitem_id 0
		.amdhsa_next_free_vgpr 21
		.amdhsa_next_free_sgpr 15
		.amdhsa_accum_offset 24
		.amdhsa_reserve_vcc 1
		.amdhsa_reserve_flat_scratch 0
		.amdhsa_float_round_mode_32 0
		.amdhsa_float_round_mode_16_64 0
		.amdhsa_float_denorm_mode_32 3
		.amdhsa_float_denorm_mode_16_64 3
		.amdhsa_dx10_clamp 1
		.amdhsa_ieee_mode 1
		.amdhsa_fp16_overflow 0
		.amdhsa_tg_split 0
		.amdhsa_exception_fp_ieee_invalid_op 0
		.amdhsa_exception_fp_denorm_src 0
		.amdhsa_exception_fp_ieee_div_zero 0
		.amdhsa_exception_fp_ieee_overflow 0
		.amdhsa_exception_fp_ieee_underflow 0
		.amdhsa_exception_fp_ieee_inexact 0
		.amdhsa_exception_int_div_zero 0
	.end_amdhsa_kernel
	.section	.text._ZN5aiter24topk_softplus_kernel_optIffLi128ELb1ELi0EEEvPKT_PKT0_PfPimiif,"axG",@progbits,_ZN5aiter24topk_softplus_kernel_optIffLi128ELb1ELi0EEEvPKT_PKT0_PfPimiif,comdat
.Lfunc_end23:
	.size	_ZN5aiter24topk_softplus_kernel_optIffLi128ELb1ELi0EEEvPKT_PKT0_PfPimiif, .Lfunc_end23-_ZN5aiter24topk_softplus_kernel_optIffLi128ELb1ELi0EEEvPKT_PKT0_PfPimiif
                                        ; -- End function
	.section	.AMDGPU.csdata,"",@progbits
; Kernel info:
; codeLenInByte = 1104
; NumSgprs: 19
; NumVgprs: 21
; NumAgprs: 0
; TotalNumVgprs: 21
; ScratchSize: 0
; MemoryBound: 0
; FloatMode: 240
; IeeeMode: 1
; LDSByteSize: 0 bytes/workgroup (compile time only)
; SGPRBlocks: 2
; VGPRBlocks: 2
; NumSGPRsForWavesPerEU: 19
; NumVGPRsForWavesPerEU: 21
; AccumOffset: 24
; Occupancy: 8
; WaveLimiterHint : 0
; COMPUTE_PGM_RSRC2:SCRATCH_EN: 0
; COMPUTE_PGM_RSRC2:USER_SGPR: 6
; COMPUTE_PGM_RSRC2:TRAP_HANDLER: 0
; COMPUTE_PGM_RSRC2:TGID_X_EN: 1
; COMPUTE_PGM_RSRC2:TGID_Y_EN: 0
; COMPUTE_PGM_RSRC2:TGID_Z_EN: 0
; COMPUTE_PGM_RSRC2:TIDIG_COMP_CNT: 0
; COMPUTE_PGM_RSRC3_GFX90A:ACCUM_OFFSET: 5
; COMPUTE_PGM_RSRC3_GFX90A:TG_SPLIT: 0
	.section	.text._ZN5aiter24topk_softplus_kernel_optIffLi128ELb0ELi0EEEvPKT_PKT0_PfPimiif,"axG",@progbits,_ZN5aiter24topk_softplus_kernel_optIffLi128ELb0ELi0EEEvPKT_PKT0_PfPimiif,comdat
	.protected	_ZN5aiter24topk_softplus_kernel_optIffLi128ELb0ELi0EEEvPKT_PKT0_PfPimiif ; -- Begin function _ZN5aiter24topk_softplus_kernel_optIffLi128ELb0ELi0EEEvPKT_PKT0_PfPimiif
	.globl	_ZN5aiter24topk_softplus_kernel_optIffLi128ELb0ELi0EEEvPKT_PKT0_PfPimiif
	.p2align	8
	.type	_ZN5aiter24topk_softplus_kernel_optIffLi128ELb0ELi0EEEvPKT_PKT0_PfPimiif,@function
_ZN5aiter24topk_softplus_kernel_optIffLi128ELb0ELi0EEEvPKT_PKT0_PfPimiif: ; @_ZN5aiter24topk_softplus_kernel_optIffLi128ELb0ELi0EEEvPKT_PKT0_PfPimiif
; %bb.0:
	s_load_dwordx4 s[8:11], s[4:5], 0x0
	s_lshl_b32 s0, s6, 7
	s_ashr_i32 s1, s0, 31
	s_lshl_b64 s[0:1], s[0:1], 2
	v_lshlrev_b32_e32 v7, 2, v0
	s_waitcnt lgkmcnt(0)
	s_add_u32 s0, s8, s0
	s_addc_u32 s1, s9, s1
	global_load_dword v2, v7, s[0:1]
	s_mov_b32 s12, 0xc2fc0000
	v_mov_b32_e32 v4, 0x42800000
	v_mov_b32_e32 v10, 0x1f800000
	s_mov_b32 s13, 0x800000
	v_mov_b32_e32 v5, 0x4f800000
	v_mov_b32_e32 v8, 0x42000000
	s_mov_b32 s7, 0x41a00000
	s_mov_b32 s14, 0xf800000
	s_cmp_lg_u64 s[10:11], 0
	s_cselect_b64 s[8:9], -1, 0
	s_waitcnt vmcnt(0)
	v_mul_f32_e32 v1, 0x3fb8aa3b, v2
	v_cmp_gt_f32_e32 vcc, s12, v1
	v_cndmask_b32_e32 v1, 0, v4, vcc
	v_fmac_f32_e32 v1, 0x3fb8aa3b, v2
	v_exp_f32_e32 v3, v1
	v_cndmask_b32_e32 v6, 1.0, v10, vcc
	v_mov_b32_e32 v1, 0x260
	v_fma_f32 v3, v3, v6, 1.0
	v_cmp_gt_f32_e32 vcc, s13, v3
	v_cndmask_b32_e32 v6, 1.0, v5, vcc
	v_mul_f32_e32 v3, v3, v6
	v_log_f32_e32 v3, v3
	v_cndmask_b32_e32 v9, 0, v8, vcc
	v_cmp_lt_f32_e32 vcc, s7, v2
	v_mov_b32_e32 v6, s1
	v_sub_f32_e32 v3, v3, v9
	v_mul_f32_e32 v3, 0x3f317218, v3
	v_cndmask_b32_e32 v2, v3, v2, vcc
	v_mul_f32_e32 v3, 0x4f800000, v2
	v_cmp_gt_f32_e32 vcc, s14, v2
	v_cndmask_b32_e32 v9, v2, v3, vcc
	v_sqrt_f32_e32 v11, v9
	v_add_co_u32_e64 v2, s[0:1], s0, v7
	v_addc_co_u32_e64 v3, s[0:1], 0, v6, s[0:1]
	v_add_u32_e32 v6, -1, v11
	v_add_u32_e32 v12, 1, v11
	v_fma_f32 v13, -v6, v11, v9
	v_fma_f32 v14, -v12, v11, v9
	v_cmp_ge_f32_e64 s[2:3], 0, v13
	v_cndmask_b32_e64 v6, v11, v6, s[2:3]
	v_cmp_lt_f32_e64 s[2:3], 0, v14
	v_cndmask_b32_e64 v6, v6, v12, s[2:3]
	v_mul_f32_e32 v11, 0x37800000, v6
	v_cndmask_b32_e32 v6, v6, v11, vcc
	v_cmp_class_f32_e32 vcc, v9, v1
	s_and_b64 s[0:1], exec, s[8:9]
	v_cndmask_b32_e32 v6, v6, v9, vcc
	v_mov_b32_e32 v9, v6
	s_mov_b64 vcc, s[0:1]
	s_cbranch_vccz .LBB24_2
; %bb.1:
	global_load_dword v9, v7, s[10:11]
	s_waitcnt vmcnt(0)
	v_add_f32_e32 v9, v6, v9
.LBB24_2:
	global_load_dword v2, v[2:3], off offset:256
	s_waitcnt vmcnt(0)
	v_mul_f32_e32 v3, 0x3fb8aa3b, v2
	v_cmp_gt_f32_e32 vcc, s12, v3
	v_cndmask_b32_e32 v4, 0, v4, vcc
	v_fmac_f32_e32 v4, 0x3fb8aa3b, v2
	v_exp_f32_e32 v4, v4
	v_cndmask_b32_e32 v3, 1.0, v10, vcc
	v_fma_f32 v3, v4, v3, 1.0
	v_cmp_gt_f32_e32 vcc, s13, v3
	v_cndmask_b32_e32 v4, 1.0, v5, vcc
	v_mul_f32_e32 v3, v3, v4
	v_log_f32_e32 v3, v3
	v_cndmask_b32_e32 v4, 0, v8, vcc
	v_cmp_lt_f32_e32 vcc, s7, v2
	v_sub_f32_e32 v3, v3, v4
	v_mul_f32_e32 v3, 0x3f317218, v3
	v_cndmask_b32_e32 v2, v3, v2, vcc
	v_mul_f32_e32 v3, 0x4f800000, v2
	v_cmp_gt_f32_e32 vcc, s14, v2
	v_cndmask_b32_e32 v2, v2, v3, vcc
	v_sqrt_f32_e32 v3, v2
	v_add_u32_e32 v4, -1, v3
	v_add_u32_e32 v5, 1, v3
	v_fma_f32 v8, -v4, v3, v2
	v_fma_f32 v10, -v5, v3, v2
	v_cmp_ge_f32_e64 s[0:1], 0, v8
	v_cndmask_b32_e64 v3, v3, v4, s[0:1]
	v_cmp_lt_f32_e64 s[0:1], 0, v10
	v_cndmask_b32_e64 v3, v3, v5, s[0:1]
	v_mul_f32_e32 v4, 0x37800000, v3
	v_cndmask_b32_e32 v3, v3, v4, vcc
	v_cmp_class_f32_e32 vcc, v2, v1
	v_cndmask_b32_e32 v10, v3, v2, vcc
	s_andn2_b64 vcc, exec, s[8:9]
	v_mov_b32_e32 v4, v10
	s_cbranch_vccnz .LBB24_4
; %bb.3:
	global_load_dword v1, v7, s[10:11] offset:256
	s_waitcnt vmcnt(0)
	v_add_f32_e32 v4, v10, v1
.LBB24_4:
	s_load_dword s2, s[4:5], 0x28
	s_load_dwordx4 s[8:11], s[4:5], 0x10
	v_mov_b32_e32 v8, 0
	s_waitcnt lgkmcnt(0)
	s_cmp_gt_i32 s2, 0
	s_cbranch_scc0 .LBB24_10
; %bb.5:
	v_mbcnt_lo_u32_b32 v8, -1, 0
	v_add_u32_e32 v2, 64, v0
	v_cmp_lt_f32_e32 vcc, v9, v4
	v_mbcnt_hi_u32_b32 v8, -1, v8
	v_bfrev_b32_e32 v12, 0.5
	v_cndmask_b32_e32 v1, v2, v0, vcc
	v_cndmask_b32_e32 v2, v0, v2, vcc
	;; [unrolled: 1-line block ×6, first 2 shown]
	v_mov_b32_e32 v10, 0
	v_mov_b32_e32 v9, 0
	;; [unrolled: 1-line block ×3, first 2 shown]
	v_lshl_or_b32 v12, v8, 2, v12
	v_mov_b32_e32 v13, v0
	s_mov_b32 s3, s2
	v_mov_b32_e32 v8, 0
.LBB24_6:                               ; =>This Inner Loop Header: Depth=1
	v_cmp_eq_u32_e32 vcc, 1, v10
	v_cndmask_b32_e32 v14, v4, v3, vcc
	v_cmp_gt_u32_e64 s[0:1], 2, v10
	v_cndmask_b32_e64 v14, v11, v14, s[0:1]
	;;#ASMSTART
	v_max_f32 v18, v14, v14 quad_perm:[1,0,3,2] row_mask:0xf bank_mask:0xf bound_ctrl:1
	;;#ASMEND
	;;#ASMSTART
	v_max_f32 v19, v18, v18 quad_perm:[2,3,0,1] row_mask:0xf bank_mask:0xf bound_ctrl:1
	;;#ASMEND
	;;#ASMSTART
	v_max_f32 v18, v19, v19 row_half_mirror row_mask:0xf bank_mask:0xf bound_ctrl:1
	;;#ASMEND
	;;#ASMSTART
	v_max_f32 v19, v18, v18 row_mirror row_mask:0xf bank_mask:0xf bound_ctrl:1
	;;#ASMEND
	;;#ASMSTART
	v_max_f32 v18, v19, v19 row_ror:4 row_mask:0xf bank_mask:0xf bound_ctrl:1
	;;#ASMEND
	;;#ASMSTART
	v_max_f32 v19, v18, v18 row_ror:8 row_mask:0xf bank_mask:0xf bound_ctrl:1
	;;#ASMEND
	;;#ASMSTART
	v_max_f32 v18, v19, v19 row_bcast:15 row_mask:0xf bank_mask:0xf bound_ctrl:1
	;;#ASMEND
	;;#ASMSTART
	v_max_f32 v19, v18, v18 row_bcast:31 row_mask:0xf bank_mask:0xf bound_ctrl:1
	;;#ASMEND
	ds_bpermute_b32 v18, v12, v19
	v_cndmask_b32_e32 v15, v2, v1, vcc
	v_cndmask_b32_e32 v16, v6, v5, vcc
	v_cndmask_b32_e64 v17, 0, v15, s[0:1]
	s_waitcnt lgkmcnt(0)
	v_cmp_eq_f32_e32 vcc, v14, v18
	s_ff1_i32_b64 s7, vcc
	s_cmp_lg_u64 vcc, 0
	s_cselect_b32 s7, s7, 0
	v_readlane_b32 s7, v17, s7
	v_cmp_eq_u32_e32 vcc, s7, v15
	s_and_b64 vcc, s[0:1], vcc
	s_and_b32 s12, s7, 63
	v_cndmask_b32_e32 v15, 0, v16, vcc
	v_addc_co_u32_e32 v10, vcc, 0, v10, vcc
	v_readlane_b32 s0, v15, s12
	s_add_i32 s3, s3, -1
	v_mov_b32_e32 v14, s7
	v_mov_b32_e32 v15, s0
	v_cmp_eq_u32_e32 vcc, 0, v13
	s_cmp_eq_u32 s3, 0
	v_add_u32_e32 v13, -1, v13
	v_cndmask_b32_e32 v9, v9, v15, vcc
	v_cndmask_b32_e32 v8, v8, v14, vcc
	s_cbranch_scc0 .LBB24_6
; %bb.7:
	v_cmp_gt_i32_e32 vcc, s2, v0
	s_and_saveexec_b64 s[0:1], vcc
	s_cbranch_execz .LBB24_9
.LBB24_8:
	s_load_dword s2, s[4:5], 0x30
	s_load_dwordx2 s[0:1], s[4:5], 0x20
	s_ashr_i32 s3, s6, 31
	s_waitcnt lgkmcnt(0)
	v_mul_f32_e32 v0, s2, v9
	s_mul_i32 s1, s6, s1
	s_mul_hi_u32 s2, s6, s0
	s_add_i32 s1, s2, s1
	s_mul_i32 s3, s3, s0
	s_add_i32 s1, s1, s3
	s_mul_i32 s0, s6, s0
	s_lshl_b64 s[0:1], s[0:1], 2
	s_add_u32 s2, s8, s0
	s_addc_u32 s3, s9, s1
	s_add_u32 s0, s10, s0
	s_addc_u32 s1, s11, s1
	global_store_dword v7, v0, s[2:3]
	global_store_dword v7, v8, s[0:1]
.LBB24_9:
	s_endpgm
.LBB24_10:
	v_mov_b32_e32 v9, 0
	v_cmp_gt_i32_e32 vcc, s2, v0
	s_and_saveexec_b64 s[0:1], vcc
	s_cbranch_execnz .LBB24_8
	s_branch .LBB24_9
	.section	.rodata,"a",@progbits
	.p2align	6, 0x0
	.amdhsa_kernel _ZN5aiter24topk_softplus_kernel_optIffLi128ELb0ELi0EEEvPKT_PKT0_PfPimiif
		.amdhsa_group_segment_fixed_size 0
		.amdhsa_private_segment_fixed_size 0
		.amdhsa_kernarg_size 52
		.amdhsa_user_sgpr_count 6
		.amdhsa_user_sgpr_private_segment_buffer 1
		.amdhsa_user_sgpr_dispatch_ptr 0
		.amdhsa_user_sgpr_queue_ptr 0
		.amdhsa_user_sgpr_kernarg_segment_ptr 1
		.amdhsa_user_sgpr_dispatch_id 0
		.amdhsa_user_sgpr_flat_scratch_init 0
		.amdhsa_user_sgpr_kernarg_preload_length 0
		.amdhsa_user_sgpr_kernarg_preload_offset 0
		.amdhsa_user_sgpr_private_segment_size 0
		.amdhsa_uses_dynamic_stack 0
		.amdhsa_system_sgpr_private_segment_wavefront_offset 0
		.amdhsa_system_sgpr_workgroup_id_x 1
		.amdhsa_system_sgpr_workgroup_id_y 0
		.amdhsa_system_sgpr_workgroup_id_z 0
		.amdhsa_system_sgpr_workgroup_info 0
		.amdhsa_system_vgpr_workitem_id 0
		.amdhsa_next_free_vgpr 20
		.amdhsa_next_free_sgpr 15
		.amdhsa_accum_offset 20
		.amdhsa_reserve_vcc 1
		.amdhsa_reserve_flat_scratch 0
		.amdhsa_float_round_mode_32 0
		.amdhsa_float_round_mode_16_64 0
		.amdhsa_float_denorm_mode_32 3
		.amdhsa_float_denorm_mode_16_64 3
		.amdhsa_dx10_clamp 1
		.amdhsa_ieee_mode 1
		.amdhsa_fp16_overflow 0
		.amdhsa_tg_split 0
		.amdhsa_exception_fp_ieee_invalid_op 0
		.amdhsa_exception_fp_denorm_src 0
		.amdhsa_exception_fp_ieee_div_zero 0
		.amdhsa_exception_fp_ieee_overflow 0
		.amdhsa_exception_fp_ieee_underflow 0
		.amdhsa_exception_fp_ieee_inexact 0
		.amdhsa_exception_int_div_zero 0
	.end_amdhsa_kernel
	.section	.text._ZN5aiter24topk_softplus_kernel_optIffLi128ELb0ELi0EEEvPKT_PKT0_PfPimiif,"axG",@progbits,_ZN5aiter24topk_softplus_kernel_optIffLi128ELb0ELi0EEEvPKT_PKT0_PfPimiif,comdat
.Lfunc_end24:
	.size	_ZN5aiter24topk_softplus_kernel_optIffLi128ELb0ELi0EEEvPKT_PKT0_PfPimiif, .Lfunc_end24-_ZN5aiter24topk_softplus_kernel_optIffLi128ELb0ELi0EEEvPKT_PKT0_PfPimiif
                                        ; -- End function
	.section	.AMDGPU.csdata,"",@progbits
; Kernel info:
; codeLenInByte = 1020
; NumSgprs: 19
; NumVgprs: 20
; NumAgprs: 0
; TotalNumVgprs: 20
; ScratchSize: 0
; MemoryBound: 0
; FloatMode: 240
; IeeeMode: 1
; LDSByteSize: 0 bytes/workgroup (compile time only)
; SGPRBlocks: 2
; VGPRBlocks: 2
; NumSGPRsForWavesPerEU: 19
; NumVGPRsForWavesPerEU: 20
; AccumOffset: 20
; Occupancy: 8
; WaveLimiterHint : 0
; COMPUTE_PGM_RSRC2:SCRATCH_EN: 0
; COMPUTE_PGM_RSRC2:USER_SGPR: 6
; COMPUTE_PGM_RSRC2:TRAP_HANDLER: 0
; COMPUTE_PGM_RSRC2:TGID_X_EN: 1
; COMPUTE_PGM_RSRC2:TGID_Y_EN: 0
; COMPUTE_PGM_RSRC2:TGID_Z_EN: 0
; COMPUTE_PGM_RSRC2:TIDIG_COMP_CNT: 0
; COMPUTE_PGM_RSRC3_GFX90A:ACCUM_OFFSET: 4
; COMPUTE_PGM_RSRC3_GFX90A:TG_SPLIT: 0
	.section	.text._ZN5aiter24topk_softplus_kernel_optIffLi256ELb1ELi0EEEvPKT_PKT0_PfPimiif,"axG",@progbits,_ZN5aiter24topk_softplus_kernel_optIffLi256ELb1ELi0EEEvPKT_PKT0_PfPimiif,comdat
	.protected	_ZN5aiter24topk_softplus_kernel_optIffLi256ELb1ELi0EEEvPKT_PKT0_PfPimiif ; -- Begin function _ZN5aiter24topk_softplus_kernel_optIffLi256ELb1ELi0EEEvPKT_PKT0_PfPimiif
	.globl	_ZN5aiter24topk_softplus_kernel_optIffLi256ELb1ELi0EEEvPKT_PKT0_PfPimiif
	.p2align	8
	.type	_ZN5aiter24topk_softplus_kernel_optIffLi256ELb1ELi0EEEvPKT_PKT0_PfPimiif,@function
_ZN5aiter24topk_softplus_kernel_optIffLi256ELb1ELi0EEEvPKT_PKT0_PfPimiif: ; @_ZN5aiter24topk_softplus_kernel_optIffLi256ELb1ELi0EEEvPKT_PKT0_PfPimiif
; %bb.0:
	s_load_dwordx4 s[8:11], s[4:5], 0x0
	s_lshl_b32 s0, s6, 8
	s_ashr_i32 s1, s0, 31
	s_lshl_b64 s[0:1], s[0:1], 2
	v_lshlrev_b32_e32 v13, 2, v0
	s_waitcnt lgkmcnt(0)
	s_add_u32 s0, s8, s0
	s_addc_u32 s1, s9, s1
	global_load_dword v1, v13, s[0:1]
	s_mov_b32 s12, 0xc2fc0000
	v_mov_b32_e32 v6, 0x42800000
	v_mov_b32_e32 v9, 0x1f800000
	s_mov_b32 s13, 0x800000
	v_mov_b32_e32 v7, 0x4f800000
	v_mov_b32_e32 v8, 0x42000000
	s_mov_b32 s7, 0x41a00000
	s_mov_b32 s14, 0xf800000
	v_mov_b32_e32 v3, 0x260
	s_cmp_lg_u64 s[10:11], 0
	v_mov_b32_e32 v5, s1
	s_cselect_b64 s[8:9], -1, 0
	s_waitcnt vmcnt(0)
	v_mul_f32_e32 v2, 0x3fb8aa3b, v1
	v_cmp_gt_f32_e32 vcc, s12, v2
	v_cndmask_b32_e32 v2, 0, v6, vcc
	v_fmac_f32_e32 v2, 0x3fb8aa3b, v1
	v_exp_f32_e32 v2, v2
	v_cndmask_b32_e32 v4, 1.0, v9, vcc
	v_fma_f32 v2, v2, v4, 1.0
	v_cmp_gt_f32_e32 vcc, s13, v2
	v_cndmask_b32_e32 v4, 1.0, v7, vcc
	v_mul_f32_e32 v2, v2, v4
	v_log_f32_e32 v2, v2
	v_cndmask_b32_e32 v4, 0, v8, vcc
	v_cmp_lt_f32_e32 vcc, s7, v1
	v_sub_f32_e32 v2, v2, v4
	v_mul_f32_e32 v2, 0x3f317218, v2
	v_cndmask_b32_e32 v1, v2, v1, vcc
	v_mul_f32_e32 v2, 0x4f800000, v1
	v_cmp_gt_f32_e32 vcc, s14, v1
	v_cndmask_b32_e32 v1, v1, v2, vcc
	v_sqrt_f32_e32 v2, v1
	v_add_co_u32_e64 v4, s[0:1], s0, v13
	v_addc_co_u32_e64 v5, s[0:1], 0, v5, s[0:1]
	v_add_u32_e32 v10, -1, v2
	v_add_u32_e32 v11, 1, v2
	v_fma_f32 v12, -v10, v2, v1
	v_fma_f32 v14, -v11, v2, v1
	v_cmp_ge_f32_e64 s[2:3], 0, v12
	v_cndmask_b32_e64 v2, v2, v10, s[2:3]
	v_cmp_lt_f32_e64 s[2:3], 0, v14
	v_cndmask_b32_e64 v2, v2, v11, s[2:3]
	v_mul_f32_e32 v10, 0x37800000, v2
	v_cndmask_b32_e32 v2, v2, v10, vcc
	v_cmp_class_f32_e32 vcc, v1, v3
	s_and_b64 s[0:1], exec, s[8:9]
	v_cndmask_b32_e32 v2, v2, v1, vcc
	v_mov_b32_e32 v1, v2
	s_mov_b64 vcc, s[0:1]
	s_cbranch_vccz .LBB25_2
; %bb.1:
	global_load_dword v1, v13, s[10:11]
	s_waitcnt vmcnt(0)
	v_add_f32_e32 v1, v2, v1
.LBB25_2:
	global_load_dword v10, v[4:5], off offset:256
	s_waitcnt vmcnt(0)
	v_mul_f32_e32 v11, 0x3fb8aa3b, v10
	v_cmp_gt_f32_e32 vcc, s12, v11
	v_cndmask_b32_e32 v6, 0, v6, vcc
	v_fmac_f32_e32 v6, 0x3fb8aa3b, v10
	v_exp_f32_e32 v6, v6
	v_cndmask_b32_e32 v9, 1.0, v9, vcc
	v_fma_f32 v6, v6, v9, 1.0
	v_cmp_gt_f32_e32 vcc, s13, v6
	v_cndmask_b32_e32 v7, 1.0, v7, vcc
	v_mul_f32_e32 v6, v6, v7
	v_log_f32_e32 v6, v6
	v_cndmask_b32_e32 v7, 0, v8, vcc
	v_cmp_lt_f32_e32 vcc, s7, v10
	v_cndmask_b32_e64 v8, 0, 1, s[8:9]
	v_sub_f32_e32 v6, v6, v7
	v_mul_f32_e32 v6, 0x3f317218, v6
	v_cndmask_b32_e32 v6, v6, v10, vcc
	v_mul_f32_e32 v7, 0x4f800000, v6
	v_cmp_gt_f32_e32 vcc, s14, v6
	v_cndmask_b32_e32 v6, v6, v7, vcc
	v_sqrt_f32_e32 v7, v6
	v_cmp_ne_u32_e64 s[0:1], 1, v8
	v_add_u32_e32 v8, -1, v7
	v_add_u32_e32 v9, 1, v7
	v_fma_f32 v10, -v8, v7, v6
	v_fma_f32 v11, -v9, v7, v6
	v_cmp_ge_f32_e64 s[2:3], 0, v10
	v_cndmask_b32_e64 v7, v7, v8, s[2:3]
	v_cmp_lt_f32_e64 s[2:3], 0, v11
	v_cndmask_b32_e64 v7, v7, v9, s[2:3]
	v_mul_f32_e32 v8, 0x37800000, v7
	v_cndmask_b32_e32 v7, v7, v8, vcc
	v_cmp_class_f32_e32 vcc, v6, v3
	v_cndmask_b32_e32 v8, v7, v6, vcc
	s_andn2_b64 vcc, exec, s[8:9]
	v_mov_b32_e32 v6, v8
	s_cbranch_vccnz .LBB25_4
; %bb.3:
	global_load_dword v3, v13, s[10:11] offset:256
	s_waitcnt vmcnt(0)
	v_add_f32_e32 v6, v8, v3
.LBB25_4:
	global_load_dword v10, v[4:5], off offset:512
	s_mov_b32 s9, 0xc2fc0000
	v_mov_b32_e32 v9, 0x42800000
	v_mov_b32_e32 v3, 0x1f800000
	s_mov_b32 s12, 0x800000
	v_mov_b32_e32 v12, 0x4f800000
	s_mov_b32 s8, 0xf800000
	s_waitcnt vmcnt(0)
	v_mul_f32_e32 v7, 0x3fb8aa3b, v10
	v_cmp_gt_f32_e32 vcc, s9, v7
	v_cndmask_b32_e32 v11, 0, v9, vcc
	v_fmac_f32_e32 v11, 0x3fb8aa3b, v10
	v_exp_f32_e32 v11, v11
	v_cndmask_b32_e32 v7, 1.0, v3, vcc
	v_fma_f32 v7, v11, v7, 1.0
	v_cmp_gt_f32_e32 vcc, s12, v7
	v_cndmask_b32_e32 v11, 1.0, v12, vcc
	v_mul_f32_e32 v7, v7, v11
	v_log_f32_e32 v11, v7
	v_mov_b32_e32 v7, 0x42000000
	v_cndmask_b32_e32 v14, 0, v7, vcc
	v_cmp_lt_f32_e32 vcc, s7, v10
	v_sub_f32_e32 v11, v11, v14
	v_mul_f32_e32 v11, 0x3f317218, v11
	v_cndmask_b32_e32 v10, v11, v10, vcc
	v_mul_f32_e32 v11, 0x4f800000, v10
	v_cmp_gt_f32_e32 vcc, s8, v10
	v_cndmask_b32_e32 v10, v10, v11, vcc
	v_sqrt_f32_e32 v14, v10
	v_mov_b32_e32 v11, 0x260
	v_add_u32_e32 v15, -1, v14
	v_add_u32_e32 v16, 1, v14
	v_fma_f32 v17, -v15, v14, v10
	v_fma_f32 v18, -v16, v14, v10
	v_cmp_ge_f32_e64 s[2:3], 0, v17
	v_cndmask_b32_e64 v14, v14, v15, s[2:3]
	v_cmp_lt_f32_e64 s[2:3], 0, v18
	v_cndmask_b32_e64 v14, v14, v16, s[2:3]
	v_mul_f32_e32 v15, 0x37800000, v14
	v_cndmask_b32_e32 v14, v14, v15, vcc
	v_cmp_class_f32_e32 vcc, v10, v11
	v_cndmask_b32_e32 v14, v14, v10, vcc
	s_and_b64 vcc, exec, s[0:1]
	v_mov_b32_e32 v10, v14
	s_cbranch_vccnz .LBB25_6
; %bb.5:
	global_load_dword v10, v13, s[10:11] offset:512
	s_waitcnt vmcnt(0)
	v_add_f32_e32 v10, v14, v10
.LBB25_6:
	global_load_dword v4, v[4:5], off offset:768
	s_waitcnt vmcnt(0)
	v_mul_f32_e32 v5, 0x3fb8aa3b, v4
	v_cmp_gt_f32_e32 vcc, s9, v5
	v_cndmask_b32_e32 v5, 0, v9, vcc
	v_fmac_f32_e32 v5, 0x3fb8aa3b, v4
	v_exp_f32_e32 v5, v5
	v_cndmask_b32_e32 v3, 1.0, v3, vcc
	v_fma_f32 v3, v5, v3, 1.0
	v_cmp_gt_f32_e32 vcc, s12, v3
	v_cndmask_b32_e32 v5, 1.0, v12, vcc
	v_mul_f32_e32 v3, v3, v5
	v_log_f32_e32 v3, v3
	v_cndmask_b32_e32 v5, 0, v7, vcc
	v_cmp_lt_f32_e32 vcc, s7, v4
	v_sub_f32_e32 v3, v3, v5
	v_mul_f32_e32 v3, 0x3f317218, v3
	v_cndmask_b32_e32 v3, v3, v4, vcc
	v_mul_f32_e32 v4, 0x4f800000, v3
	v_cmp_gt_f32_e32 vcc, s8, v3
	v_cndmask_b32_e32 v3, v3, v4, vcc
	v_sqrt_f32_e32 v4, v3
	v_add_u32_e32 v5, -1, v4
	v_add_u32_e32 v7, 1, v4
	v_fma_f32 v9, -v5, v4, v3
	v_fma_f32 v12, -v7, v4, v3
	v_cmp_ge_f32_e64 s[2:3], 0, v9
	v_cndmask_b32_e64 v4, v4, v5, s[2:3]
	v_cmp_lt_f32_e64 s[2:3], 0, v12
	v_cndmask_b32_e64 v4, v4, v7, s[2:3]
	v_mul_f32_e32 v5, 0x37800000, v4
	v_cndmask_b32_e32 v4, v4, v5, vcc
	v_cmp_class_f32_e32 vcc, v3, v11
	v_cndmask_b32_e32 v3, v4, v3, vcc
	s_and_b64 vcc, exec, s[0:1]
	v_mov_b32_e32 v5, v3
	s_cbranch_vccnz .LBB25_8
; %bb.7:
	global_load_dword v4, v13, s[10:11] offset:768
	s_waitcnt vmcnt(0)
	v_add_f32_e32 v5, v3, v4
.LBB25_8:
	v_add_u32_e32 v4, 64, v0
	v_cmp_lt_f32_e32 vcc, v1, v6
	v_add_u32_e32 v16, 0x80, v0
	v_add_u32_e32 v7, 0xc0, v0
	v_cndmask_b32_e32 v11, v8, v2, vcc
	v_cndmask_b32_e32 v2, v2, v8, vcc
	;; [unrolled: 1-line block ×6, first 2 shown]
	v_cmp_lt_f32_e32 vcc, v10, v5
	v_mov_b32_e32 v8, v10
	s_and_saveexec_b64 s[0:1], vcc
	s_xor_b64 s[0:1], exec, s[0:1]
; %bb.9:
	v_mov_b32_e32 v8, v16
	v_mov_b32_e32 v15, v10
	v_mov_b32_e32 v1, v14
	v_mov_b32_e32 v10, v5
	v_swap_b32 v14, v3
	v_swap_b32 v16, v7
	v_mov_b32_e32 v8, v5
	v_mov_b32_e32 v5, v15
; %bb.10:
	s_or_b64 exec, exec, s[0:1]
	v_cmp_lt_f32_e32 vcc, v6, v10
	v_cndmask_b32_e32 v15, v14, v2, vcc
	v_cndmask_b32_e32 v2, v2, v14, vcc
	;; [unrolled: 1-line block ×6, first 2 shown]
	v_cmp_lt_f32_e32 vcc, v9, v5
	v_mov_b32_e32 v17, v9
	s_and_saveexec_b64 s[0:1], vcc
; %bb.11:
	v_mov_b32_e32 v16, v9
	v_mov_b32_e32 v8, v11
	;; [unrolled: 1-line block ×4, first 2 shown]
	v_swap_b32 v11, v3
	v_swap_b32 v12, v7
	v_mov_b32_e32 v17, v5
	v_mov_b32_e32 v5, v16
; %bb.12:
	s_or_b64 exec, exec, s[0:1]
	s_load_dword s2, s[4:5], 0x28
	s_load_dwordx4 s[8:11], s[4:5], 0x10
	v_mov_b32_e32 v16, 0
	s_waitcnt lgkmcnt(0)
	s_cmp_lt_i32 s2, 1
	s_cbranch_scc1 .LBB25_18
; %bb.13:
	v_cmp_lt_f32_e32 vcc, v9, v14
	v_cndmask_b32_e32 v10, v14, v9, vcc
	v_cndmask_b32_e32 v9, v17, v14, vcc
	v_mbcnt_lo_u32_b32 v14, -1, 0
	v_cndmask_b32_e32 v8, v1, v12, vcc
	v_cndmask_b32_e32 v1, v12, v1, vcc
	;; [unrolled: 1-line block ×4, first 2 shown]
	v_mbcnt_hi_u32_b32 v14, -1, v14
	v_bfrev_b32_e32 v15, 0.5
	v_mov_b32_e32 v16, 0
	v_mov_b32_e32 v17, 0
	;; [unrolled: 1-line block ×3, first 2 shown]
	v_lshl_or_b32 v19, v14, 2, v15
	v_mov_b32_e32 v20, v0
	s_mov_b32 s3, s2
	v_mov_b32_e32 v14, 0
	v_mov_b32_e32 v15, 0
.LBB25_14:                              ; =>This Inner Loop Header: Depth=1
	v_cmp_eq_u32_e32 vcc, 1, v17
	v_cndmask_b32_e32 v21, v6, v9, vcc
	v_cmp_eq_u32_e64 s[0:1], 2, v17
	v_cndmask_b32_e64 v21, v21, v10, s[0:1]
	v_cndmask_b32_e32 v22, v4, v1, vcc
	v_cndmask_b32_e32 v23, v2, v11, vcc
	v_cmp_eq_u32_e32 vcc, 3, v17
	v_cndmask_b32_e32 v21, v21, v5, vcc
	v_cndmask_b32_e64 v22, v22, v8, s[0:1]
	v_cndmask_b32_e64 v23, v23, v12, s[0:1]
	v_cmp_gt_u32_e64 s[0:1], 4, v17
	v_cndmask_b32_e64 v21, v18, v21, s[0:1]
	;;#ASMSTART
	v_max_f32 v25, v21, v21 quad_perm:[1,0,3,2] row_mask:0xf bank_mask:0xf bound_ctrl:1
	;;#ASMEND
	;;#ASMSTART
	v_max_f32 v26, v25, v25 quad_perm:[2,3,0,1] row_mask:0xf bank_mask:0xf bound_ctrl:1
	;;#ASMEND
	;;#ASMSTART
	v_max_f32 v25, v26, v26 row_half_mirror row_mask:0xf bank_mask:0xf bound_ctrl:1
	;;#ASMEND
	;;#ASMSTART
	v_max_f32 v26, v25, v25 row_mirror row_mask:0xf bank_mask:0xf bound_ctrl:1
	;;#ASMEND
	;;#ASMSTART
	v_max_f32 v25, v26, v26 row_ror:4 row_mask:0xf bank_mask:0xf bound_ctrl:1
	;;#ASMEND
	;;#ASMSTART
	v_max_f32 v26, v25, v25 row_ror:8 row_mask:0xf bank_mask:0xf bound_ctrl:1
	;;#ASMEND
	;;#ASMSTART
	v_max_f32 v25, v26, v26 row_bcast:15 row_mask:0xf bank_mask:0xf bound_ctrl:1
	;;#ASMEND
	;;#ASMSTART
	v_max_f32 v26, v25, v25 row_bcast:31 row_mask:0xf bank_mask:0xf bound_ctrl:1
	;;#ASMEND
	ds_bpermute_b32 v25, v19, v26
	v_cndmask_b32_e32 v22, v22, v7, vcc
	v_cndmask_b32_e32 v23, v23, v3, vcc
	v_cndmask_b32_e64 v24, 0, v22, s[0:1]
	s_waitcnt lgkmcnt(0)
	v_cmp_eq_f32_e32 vcc, v21, v25
	s_ff1_i32_b64 s7, vcc
	s_cmp_lg_u64 vcc, 0
	s_cselect_b32 s7, s7, 0
	v_readlane_b32 s7, v24, s7
	v_cmp_eq_u32_e32 vcc, s7, v22
	s_and_b64 vcc, s[0:1], vcc
	s_and_b32 s12, s7, 63
	v_cndmask_b32_e32 v22, 0, v23, vcc
	v_addc_co_u32_e32 v17, vcc, 0, v17, vcc
	v_readlane_b32 s0, v22, s12
	s_add_i32 s3, s3, -1
	v_mov_b32_e32 v21, s7
	v_mov_b32_e32 v22, s0
	v_cmp_eq_u32_e32 vcc, 0, v20
	s_cmp_eq_u32 s3, 0
	v_add_f32_e32 v16, s0, v16
	v_add_u32_e32 v20, -1, v20
	v_cndmask_b32_e32 v15, v15, v22, vcc
	v_cndmask_b32_e32 v14, v14, v21, vcc
	s_cbranch_scc0 .LBB25_14
; %bb.15:
	v_cmp_gt_i32_e32 vcc, s2, v0
	s_and_saveexec_b64 s[0:1], vcc
	s_cbranch_execz .LBB25_17
.LBB25_16:
	s_load_dword s2, s[4:5], 0x30
	v_max_f32_e32 v0, v16, v16
	v_max_f32_e32 v0, 0x1e3ce508, v0
	s_waitcnt lgkmcnt(0)
	v_div_scale_f32 v1, s[0:1], v0, v0, s2
	v_rcp_f32_e32 v2, v1
	v_div_scale_f32 v3, vcc, s2, v0, s2
	s_load_dwordx2 s[0:1], s[4:5], 0x20
	v_fma_f32 v4, -v1, v2, 1.0
	v_fmac_f32_e32 v2, v4, v2
	v_mul_f32_e32 v4, v3, v2
	v_fma_f32 v5, -v1, v4, v3
	v_fmac_f32_e32 v4, v5, v2
	v_fma_f32 v1, -v1, v4, v3
	v_div_fmas_f32 v1, v1, v2, v4
	v_div_fixup_f32 v0, v1, v0, s2
	s_ashr_i32 s2, s6, 31
	s_waitcnt lgkmcnt(0)
	s_mul_i32 s1, s6, s1
	s_mul_hi_u32 s3, s6, s0
	s_add_i32 s1, s3, s1
	s_mul_i32 s2, s2, s0
	s_add_i32 s1, s1, s2
	s_mul_i32 s0, s6, s0
	s_lshl_b64 s[0:1], s[0:1], 2
	s_add_u32 s2, s8, s0
	s_addc_u32 s3, s9, s1
	s_add_u32 s0, s10, s0
	v_mul_f32_e32 v0, v15, v0
	s_addc_u32 s1, s11, s1
	global_store_dword v13, v0, s[2:3]
	global_store_dword v13, v14, s[0:1]
.LBB25_17:
	s_endpgm
.LBB25_18:
	v_mov_b32_e32 v14, 0
	v_mov_b32_e32 v15, 0
	v_cmp_gt_i32_e32 vcc, s2, v0
	s_and_saveexec_b64 s[0:1], vcc
	s_cbranch_execnz .LBB25_16
	s_branch .LBB25_17
	.section	.rodata,"a",@progbits
	.p2align	6, 0x0
	.amdhsa_kernel _ZN5aiter24topk_softplus_kernel_optIffLi256ELb1ELi0EEEvPKT_PKT0_PfPimiif
		.amdhsa_group_segment_fixed_size 0
		.amdhsa_private_segment_fixed_size 0
		.amdhsa_kernarg_size 52
		.amdhsa_user_sgpr_count 6
		.amdhsa_user_sgpr_private_segment_buffer 1
		.amdhsa_user_sgpr_dispatch_ptr 0
		.amdhsa_user_sgpr_queue_ptr 0
		.amdhsa_user_sgpr_kernarg_segment_ptr 1
		.amdhsa_user_sgpr_dispatch_id 0
		.amdhsa_user_sgpr_flat_scratch_init 0
		.amdhsa_user_sgpr_kernarg_preload_length 0
		.amdhsa_user_sgpr_kernarg_preload_offset 0
		.amdhsa_user_sgpr_private_segment_size 0
		.amdhsa_uses_dynamic_stack 0
		.amdhsa_system_sgpr_private_segment_wavefront_offset 0
		.amdhsa_system_sgpr_workgroup_id_x 1
		.amdhsa_system_sgpr_workgroup_id_y 0
		.amdhsa_system_sgpr_workgroup_id_z 0
		.amdhsa_system_sgpr_workgroup_info 0
		.amdhsa_system_vgpr_workitem_id 0
		.amdhsa_next_free_vgpr 27
		.amdhsa_next_free_sgpr 15
		.amdhsa_accum_offset 28
		.amdhsa_reserve_vcc 1
		.amdhsa_reserve_flat_scratch 0
		.amdhsa_float_round_mode_32 0
		.amdhsa_float_round_mode_16_64 0
		.amdhsa_float_denorm_mode_32 3
		.amdhsa_float_denorm_mode_16_64 3
		.amdhsa_dx10_clamp 1
		.amdhsa_ieee_mode 1
		.amdhsa_fp16_overflow 0
		.amdhsa_tg_split 0
		.amdhsa_exception_fp_ieee_invalid_op 0
		.amdhsa_exception_fp_denorm_src 0
		.amdhsa_exception_fp_ieee_div_zero 0
		.amdhsa_exception_fp_ieee_overflow 0
		.amdhsa_exception_fp_ieee_underflow 0
		.amdhsa_exception_fp_ieee_inexact 0
		.amdhsa_exception_int_div_zero 0
	.end_amdhsa_kernel
	.section	.text._ZN5aiter24topk_softplus_kernel_optIffLi256ELb1ELi0EEEvPKT_PKT0_PfPimiif,"axG",@progbits,_ZN5aiter24topk_softplus_kernel_optIffLi256ELb1ELi0EEEvPKT_PKT0_PfPimiif,comdat
.Lfunc_end25:
	.size	_ZN5aiter24topk_softplus_kernel_optIffLi256ELb1ELi0EEEvPKT_PKT0_PfPimiif, .Lfunc_end25-_ZN5aiter24topk_softplus_kernel_optIffLi256ELb1ELi0EEEvPKT_PKT0_PfPimiif
                                        ; -- End function
	.section	.AMDGPU.csdata,"",@progbits
; Kernel info:
; codeLenInByte = 1852
; NumSgprs: 19
; NumVgprs: 27
; NumAgprs: 0
; TotalNumVgprs: 27
; ScratchSize: 0
; MemoryBound: 0
; FloatMode: 240
; IeeeMode: 1
; LDSByteSize: 0 bytes/workgroup (compile time only)
; SGPRBlocks: 2
; VGPRBlocks: 3
; NumSGPRsForWavesPerEU: 19
; NumVGPRsForWavesPerEU: 27
; AccumOffset: 28
; Occupancy: 8
; WaveLimiterHint : 0
; COMPUTE_PGM_RSRC2:SCRATCH_EN: 0
; COMPUTE_PGM_RSRC2:USER_SGPR: 6
; COMPUTE_PGM_RSRC2:TRAP_HANDLER: 0
; COMPUTE_PGM_RSRC2:TGID_X_EN: 1
; COMPUTE_PGM_RSRC2:TGID_Y_EN: 0
; COMPUTE_PGM_RSRC2:TGID_Z_EN: 0
; COMPUTE_PGM_RSRC2:TIDIG_COMP_CNT: 0
; COMPUTE_PGM_RSRC3_GFX90A:ACCUM_OFFSET: 6
; COMPUTE_PGM_RSRC3_GFX90A:TG_SPLIT: 0
	.section	.text._ZN5aiter24topk_softplus_kernel_optIffLi256ELb0ELi0EEEvPKT_PKT0_PfPimiif,"axG",@progbits,_ZN5aiter24topk_softplus_kernel_optIffLi256ELb0ELi0EEEvPKT_PKT0_PfPimiif,comdat
	.protected	_ZN5aiter24topk_softplus_kernel_optIffLi256ELb0ELi0EEEvPKT_PKT0_PfPimiif ; -- Begin function _ZN5aiter24topk_softplus_kernel_optIffLi256ELb0ELi0EEEvPKT_PKT0_PfPimiif
	.globl	_ZN5aiter24topk_softplus_kernel_optIffLi256ELb0ELi0EEEvPKT_PKT0_PfPimiif
	.p2align	8
	.type	_ZN5aiter24topk_softplus_kernel_optIffLi256ELb0ELi0EEEvPKT_PKT0_PfPimiif,@function
_ZN5aiter24topk_softplus_kernel_optIffLi256ELb0ELi0EEEvPKT_PKT0_PfPimiif: ; @_ZN5aiter24topk_softplus_kernel_optIffLi256ELb0ELi0EEEvPKT_PKT0_PfPimiif
; %bb.0:
	s_load_dwordx4 s[8:11], s[4:5], 0x0
	s_lshl_b32 s0, s6, 8
	s_ashr_i32 s1, s0, 31
	s_lshl_b64 s[0:1], s[0:1], 2
	v_lshlrev_b32_e32 v13, 2, v0
	s_waitcnt lgkmcnt(0)
	s_add_u32 s0, s8, s0
	s_addc_u32 s1, s9, s1
	global_load_dword v1, v13, s[0:1]
	s_mov_b32 s12, 0xc2fc0000
	v_mov_b32_e32 v6, 0x42800000
	v_mov_b32_e32 v9, 0x1f800000
	s_mov_b32 s13, 0x800000
	v_mov_b32_e32 v7, 0x4f800000
	v_mov_b32_e32 v8, 0x42000000
	s_mov_b32 s7, 0x41a00000
	s_mov_b32 s14, 0xf800000
	v_mov_b32_e32 v3, 0x260
	s_cmp_lg_u64 s[10:11], 0
	v_mov_b32_e32 v5, s1
	s_cselect_b64 s[8:9], -1, 0
	s_waitcnt vmcnt(0)
	v_mul_f32_e32 v2, 0x3fb8aa3b, v1
	v_cmp_gt_f32_e32 vcc, s12, v2
	v_cndmask_b32_e32 v2, 0, v6, vcc
	v_fmac_f32_e32 v2, 0x3fb8aa3b, v1
	v_exp_f32_e32 v2, v2
	v_cndmask_b32_e32 v4, 1.0, v9, vcc
	v_fma_f32 v2, v2, v4, 1.0
	v_cmp_gt_f32_e32 vcc, s13, v2
	v_cndmask_b32_e32 v4, 1.0, v7, vcc
	v_mul_f32_e32 v2, v2, v4
	v_log_f32_e32 v2, v2
	v_cndmask_b32_e32 v4, 0, v8, vcc
	v_cmp_lt_f32_e32 vcc, s7, v1
	v_sub_f32_e32 v2, v2, v4
	v_mul_f32_e32 v2, 0x3f317218, v2
	v_cndmask_b32_e32 v1, v2, v1, vcc
	v_mul_f32_e32 v2, 0x4f800000, v1
	v_cmp_gt_f32_e32 vcc, s14, v1
	v_cndmask_b32_e32 v1, v1, v2, vcc
	v_sqrt_f32_e32 v2, v1
	v_add_co_u32_e64 v4, s[0:1], s0, v13
	v_addc_co_u32_e64 v5, s[0:1], 0, v5, s[0:1]
	v_add_u32_e32 v10, -1, v2
	v_add_u32_e32 v11, 1, v2
	v_fma_f32 v12, -v10, v2, v1
	v_fma_f32 v14, -v11, v2, v1
	v_cmp_ge_f32_e64 s[2:3], 0, v12
	v_cndmask_b32_e64 v2, v2, v10, s[2:3]
	v_cmp_lt_f32_e64 s[2:3], 0, v14
	v_cndmask_b32_e64 v2, v2, v11, s[2:3]
	v_mul_f32_e32 v10, 0x37800000, v2
	v_cndmask_b32_e32 v2, v2, v10, vcc
	v_cmp_class_f32_e32 vcc, v1, v3
	s_and_b64 s[0:1], exec, s[8:9]
	v_cndmask_b32_e32 v2, v2, v1, vcc
	v_mov_b32_e32 v1, v2
	s_mov_b64 vcc, s[0:1]
	s_cbranch_vccz .LBB26_2
; %bb.1:
	global_load_dword v1, v13, s[10:11]
	s_waitcnt vmcnt(0)
	v_add_f32_e32 v1, v2, v1
.LBB26_2:
	global_load_dword v10, v[4:5], off offset:256
	s_waitcnt vmcnt(0)
	v_mul_f32_e32 v11, 0x3fb8aa3b, v10
	v_cmp_gt_f32_e32 vcc, s12, v11
	v_cndmask_b32_e32 v6, 0, v6, vcc
	v_fmac_f32_e32 v6, 0x3fb8aa3b, v10
	v_exp_f32_e32 v6, v6
	v_cndmask_b32_e32 v9, 1.0, v9, vcc
	v_fma_f32 v6, v6, v9, 1.0
	v_cmp_gt_f32_e32 vcc, s13, v6
	v_cndmask_b32_e32 v7, 1.0, v7, vcc
	v_mul_f32_e32 v6, v6, v7
	v_log_f32_e32 v6, v6
	v_cndmask_b32_e32 v7, 0, v8, vcc
	v_cmp_lt_f32_e32 vcc, s7, v10
	v_cndmask_b32_e64 v8, 0, 1, s[8:9]
	v_sub_f32_e32 v6, v6, v7
	v_mul_f32_e32 v6, 0x3f317218, v6
	v_cndmask_b32_e32 v6, v6, v10, vcc
	v_mul_f32_e32 v7, 0x4f800000, v6
	v_cmp_gt_f32_e32 vcc, s14, v6
	v_cndmask_b32_e32 v6, v6, v7, vcc
	v_sqrt_f32_e32 v7, v6
	v_cmp_ne_u32_e64 s[0:1], 1, v8
	v_add_u32_e32 v8, -1, v7
	v_add_u32_e32 v9, 1, v7
	v_fma_f32 v10, -v8, v7, v6
	v_fma_f32 v11, -v9, v7, v6
	v_cmp_ge_f32_e64 s[2:3], 0, v10
	v_cndmask_b32_e64 v7, v7, v8, s[2:3]
	v_cmp_lt_f32_e64 s[2:3], 0, v11
	v_cndmask_b32_e64 v7, v7, v9, s[2:3]
	v_mul_f32_e32 v8, 0x37800000, v7
	v_cndmask_b32_e32 v7, v7, v8, vcc
	v_cmp_class_f32_e32 vcc, v6, v3
	v_cndmask_b32_e32 v8, v7, v6, vcc
	s_andn2_b64 vcc, exec, s[8:9]
	v_mov_b32_e32 v6, v8
	s_cbranch_vccnz .LBB26_4
; %bb.3:
	global_load_dword v3, v13, s[10:11] offset:256
	s_waitcnt vmcnt(0)
	v_add_f32_e32 v6, v8, v3
.LBB26_4:
	global_load_dword v10, v[4:5], off offset:512
	s_mov_b32 s9, 0xc2fc0000
	v_mov_b32_e32 v9, 0x42800000
	v_mov_b32_e32 v3, 0x1f800000
	s_mov_b32 s12, 0x800000
	v_mov_b32_e32 v12, 0x4f800000
	s_mov_b32 s8, 0xf800000
	s_waitcnt vmcnt(0)
	v_mul_f32_e32 v7, 0x3fb8aa3b, v10
	v_cmp_gt_f32_e32 vcc, s9, v7
	v_cndmask_b32_e32 v11, 0, v9, vcc
	v_fmac_f32_e32 v11, 0x3fb8aa3b, v10
	v_exp_f32_e32 v11, v11
	v_cndmask_b32_e32 v7, 1.0, v3, vcc
	v_fma_f32 v7, v11, v7, 1.0
	v_cmp_gt_f32_e32 vcc, s12, v7
	v_cndmask_b32_e32 v11, 1.0, v12, vcc
	v_mul_f32_e32 v7, v7, v11
	v_log_f32_e32 v11, v7
	v_mov_b32_e32 v7, 0x42000000
	v_cndmask_b32_e32 v14, 0, v7, vcc
	v_cmp_lt_f32_e32 vcc, s7, v10
	v_sub_f32_e32 v11, v11, v14
	v_mul_f32_e32 v11, 0x3f317218, v11
	v_cndmask_b32_e32 v10, v11, v10, vcc
	v_mul_f32_e32 v11, 0x4f800000, v10
	v_cmp_gt_f32_e32 vcc, s8, v10
	v_cndmask_b32_e32 v10, v10, v11, vcc
	v_sqrt_f32_e32 v14, v10
	v_mov_b32_e32 v11, 0x260
	v_add_u32_e32 v15, -1, v14
	v_add_u32_e32 v16, 1, v14
	v_fma_f32 v17, -v15, v14, v10
	v_fma_f32 v18, -v16, v14, v10
	v_cmp_ge_f32_e64 s[2:3], 0, v17
	v_cndmask_b32_e64 v14, v14, v15, s[2:3]
	v_cmp_lt_f32_e64 s[2:3], 0, v18
	v_cndmask_b32_e64 v14, v14, v16, s[2:3]
	v_mul_f32_e32 v15, 0x37800000, v14
	v_cndmask_b32_e32 v14, v14, v15, vcc
	v_cmp_class_f32_e32 vcc, v10, v11
	v_cndmask_b32_e32 v14, v14, v10, vcc
	s_and_b64 vcc, exec, s[0:1]
	v_mov_b32_e32 v10, v14
	s_cbranch_vccnz .LBB26_6
; %bb.5:
	global_load_dword v10, v13, s[10:11] offset:512
	s_waitcnt vmcnt(0)
	v_add_f32_e32 v10, v14, v10
.LBB26_6:
	global_load_dword v4, v[4:5], off offset:768
	s_waitcnt vmcnt(0)
	v_mul_f32_e32 v5, 0x3fb8aa3b, v4
	v_cmp_gt_f32_e32 vcc, s9, v5
	v_cndmask_b32_e32 v5, 0, v9, vcc
	v_fmac_f32_e32 v5, 0x3fb8aa3b, v4
	v_exp_f32_e32 v5, v5
	v_cndmask_b32_e32 v3, 1.0, v3, vcc
	v_fma_f32 v3, v5, v3, 1.0
	v_cmp_gt_f32_e32 vcc, s12, v3
	v_cndmask_b32_e32 v5, 1.0, v12, vcc
	v_mul_f32_e32 v3, v3, v5
	v_log_f32_e32 v3, v3
	v_cndmask_b32_e32 v5, 0, v7, vcc
	v_cmp_lt_f32_e32 vcc, s7, v4
	v_sub_f32_e32 v3, v3, v5
	v_mul_f32_e32 v3, 0x3f317218, v3
	v_cndmask_b32_e32 v3, v3, v4, vcc
	v_mul_f32_e32 v4, 0x4f800000, v3
	v_cmp_gt_f32_e32 vcc, s8, v3
	v_cndmask_b32_e32 v3, v3, v4, vcc
	v_sqrt_f32_e32 v4, v3
	v_add_u32_e32 v5, -1, v4
	v_add_u32_e32 v7, 1, v4
	v_fma_f32 v9, -v5, v4, v3
	v_fma_f32 v12, -v7, v4, v3
	v_cmp_ge_f32_e64 s[2:3], 0, v9
	v_cndmask_b32_e64 v4, v4, v5, s[2:3]
	v_cmp_lt_f32_e64 s[2:3], 0, v12
	v_cndmask_b32_e64 v4, v4, v7, s[2:3]
	v_mul_f32_e32 v5, 0x37800000, v4
	v_cndmask_b32_e32 v4, v4, v5, vcc
	v_cmp_class_f32_e32 vcc, v3, v11
	v_cndmask_b32_e32 v3, v4, v3, vcc
	s_and_b64 vcc, exec, s[0:1]
	v_mov_b32_e32 v5, v3
	s_cbranch_vccnz .LBB26_8
; %bb.7:
	global_load_dword v4, v13, s[10:11] offset:768
	s_waitcnt vmcnt(0)
	v_add_f32_e32 v5, v3, v4
.LBB26_8:
	v_add_u32_e32 v4, 64, v0
	v_cmp_lt_f32_e32 vcc, v1, v6
	v_add_u32_e32 v16, 0x80, v0
	v_add_u32_e32 v7, 0xc0, v0
	v_cndmask_b32_e32 v11, v8, v2, vcc
	v_cndmask_b32_e32 v2, v2, v8, vcc
	;; [unrolled: 1-line block ×6, first 2 shown]
	v_cmp_lt_f32_e32 vcc, v10, v5
	v_mov_b32_e32 v8, v10
	s_and_saveexec_b64 s[0:1], vcc
	s_xor_b64 s[0:1], exec, s[0:1]
; %bb.9:
	v_mov_b32_e32 v8, v16
	v_mov_b32_e32 v15, v10
	;; [unrolled: 1-line block ×4, first 2 shown]
	v_swap_b32 v14, v3
	v_swap_b32 v16, v7
	v_mov_b32_e32 v8, v5
	v_mov_b32_e32 v5, v15
; %bb.10:
	s_or_b64 exec, exec, s[0:1]
	v_cmp_lt_f32_e32 vcc, v6, v10
	v_cndmask_b32_e32 v15, v14, v2, vcc
	v_cndmask_b32_e32 v2, v2, v14, vcc
	;; [unrolled: 1-line block ×6, first 2 shown]
	v_cmp_lt_f32_e32 vcc, v9, v5
	v_mov_b32_e32 v16, v9
	s_and_saveexec_b64 s[0:1], vcc
; %bb.11:
	v_mov_b32_e32 v17, v9
	v_mov_b32_e32 v8, v11
	v_mov_b32_e32 v10, v12
	v_mov_b32_e32 v9, v5
	v_swap_b32 v11, v3
	v_swap_b32 v12, v7
	v_mov_b32_e32 v16, v5
	v_mov_b32_e32 v5, v17
; %bb.12:
	s_or_b64 exec, exec, s[0:1]
	s_load_dword s2, s[4:5], 0x28
	s_load_dwordx4 s[8:11], s[4:5], 0x10
	s_waitcnt lgkmcnt(0)
	s_cmp_lt_i32 s2, 1
	s_cbranch_scc1 .LBB26_18
; %bb.13:
	v_cmp_lt_f32_e32 vcc, v9, v14
	v_cndmask_b32_e32 v10, v14, v9, vcc
	v_cndmask_b32_e32 v9, v16, v14, vcc
	v_mbcnt_lo_u32_b32 v14, -1, 0
	v_mbcnt_hi_u32_b32 v14, -1, v14
	v_bfrev_b32_e32 v18, 0.5
	v_cndmask_b32_e32 v8, v1, v12, vcc
	v_cndmask_b32_e32 v1, v12, v1, vcc
	;; [unrolled: 1-line block ×4, first 2 shown]
	v_mov_b32_e32 v16, 0
	v_mov_b32_e32 v15, 0
	;; [unrolled: 1-line block ×3, first 2 shown]
	v_lshl_or_b32 v18, v14, 2, v18
	v_mov_b32_e32 v19, v0
	s_mov_b32 s3, s2
	v_mov_b32_e32 v14, 0
.LBB26_14:                              ; =>This Inner Loop Header: Depth=1
	v_cmp_eq_u32_e32 vcc, 1, v16
	v_cndmask_b32_e32 v20, v6, v9, vcc
	v_cmp_eq_u32_e64 s[0:1], 2, v16
	v_cndmask_b32_e64 v20, v20, v10, s[0:1]
	v_cndmask_b32_e32 v21, v4, v1, vcc
	v_cndmask_b32_e32 v22, v2, v11, vcc
	v_cmp_eq_u32_e32 vcc, 3, v16
	v_cndmask_b32_e32 v20, v20, v5, vcc
	v_cndmask_b32_e64 v21, v21, v8, s[0:1]
	v_cndmask_b32_e64 v22, v22, v12, s[0:1]
	v_cmp_gt_u32_e64 s[0:1], 4, v16
	v_cndmask_b32_e64 v20, v17, v20, s[0:1]
	;;#ASMSTART
	v_max_f32 v24, v20, v20 quad_perm:[1,0,3,2] row_mask:0xf bank_mask:0xf bound_ctrl:1
	;;#ASMEND
	;;#ASMSTART
	v_max_f32 v25, v24, v24 quad_perm:[2,3,0,1] row_mask:0xf bank_mask:0xf bound_ctrl:1
	;;#ASMEND
	;;#ASMSTART
	v_max_f32 v24, v25, v25 row_half_mirror row_mask:0xf bank_mask:0xf bound_ctrl:1
	;;#ASMEND
	;;#ASMSTART
	v_max_f32 v25, v24, v24 row_mirror row_mask:0xf bank_mask:0xf bound_ctrl:1
	;;#ASMEND
	;;#ASMSTART
	v_max_f32 v24, v25, v25 row_ror:4 row_mask:0xf bank_mask:0xf bound_ctrl:1
	;;#ASMEND
	;;#ASMSTART
	v_max_f32 v25, v24, v24 row_ror:8 row_mask:0xf bank_mask:0xf bound_ctrl:1
	;;#ASMEND
	;;#ASMSTART
	v_max_f32 v24, v25, v25 row_bcast:15 row_mask:0xf bank_mask:0xf bound_ctrl:1
	;;#ASMEND
	;;#ASMSTART
	v_max_f32 v25, v24, v24 row_bcast:31 row_mask:0xf bank_mask:0xf bound_ctrl:1
	;;#ASMEND
	ds_bpermute_b32 v24, v18, v25
	v_cndmask_b32_e32 v21, v21, v7, vcc
	v_cndmask_b32_e32 v22, v22, v3, vcc
	v_cndmask_b32_e64 v23, 0, v21, s[0:1]
	s_waitcnt lgkmcnt(0)
	v_cmp_eq_f32_e32 vcc, v20, v24
	s_ff1_i32_b64 s7, vcc
	s_cmp_lg_u64 vcc, 0
	s_cselect_b32 s7, s7, 0
	v_readlane_b32 s7, v23, s7
	v_cmp_eq_u32_e32 vcc, s7, v21
	s_and_b64 vcc, s[0:1], vcc
	s_and_b32 s12, s7, 63
	v_cndmask_b32_e32 v21, 0, v22, vcc
	v_addc_co_u32_e32 v16, vcc, 0, v16, vcc
	v_readlane_b32 s0, v21, s12
	s_add_i32 s3, s3, -1
	v_mov_b32_e32 v20, s7
	v_mov_b32_e32 v21, s0
	v_cmp_eq_u32_e32 vcc, 0, v19
	s_cmp_eq_u32 s3, 0
	v_add_u32_e32 v19, -1, v19
	v_cndmask_b32_e32 v15, v15, v21, vcc
	v_cndmask_b32_e32 v14, v14, v20, vcc
	s_cbranch_scc0 .LBB26_14
; %bb.15:
	v_cmp_gt_i32_e32 vcc, s2, v0
	s_and_saveexec_b64 s[0:1], vcc
	s_cbranch_execz .LBB26_17
.LBB26_16:
	s_load_dword s2, s[4:5], 0x30
	s_load_dwordx2 s[0:1], s[4:5], 0x20
	s_ashr_i32 s3, s6, 31
	s_waitcnt lgkmcnt(0)
	v_mul_f32_e32 v0, s2, v15
	s_mul_i32 s1, s6, s1
	s_mul_hi_u32 s2, s6, s0
	s_add_i32 s1, s2, s1
	s_mul_i32 s3, s3, s0
	s_add_i32 s1, s1, s3
	s_mul_i32 s0, s6, s0
	s_lshl_b64 s[0:1], s[0:1], 2
	s_add_u32 s2, s8, s0
	s_addc_u32 s3, s9, s1
	s_add_u32 s0, s10, s0
	s_addc_u32 s1, s11, s1
	global_store_dword v13, v0, s[2:3]
	global_store_dword v13, v14, s[0:1]
.LBB26_17:
	s_endpgm
.LBB26_18:
	v_mov_b32_e32 v14, 0
	v_mov_b32_e32 v15, 0
	v_cmp_gt_i32_e32 vcc, s2, v0
	s_and_saveexec_b64 s[0:1], vcc
	s_cbranch_execnz .LBB26_16
	s_branch .LBB26_17
	.section	.rodata,"a",@progbits
	.p2align	6, 0x0
	.amdhsa_kernel _ZN5aiter24topk_softplus_kernel_optIffLi256ELb0ELi0EEEvPKT_PKT0_PfPimiif
		.amdhsa_group_segment_fixed_size 0
		.amdhsa_private_segment_fixed_size 0
		.amdhsa_kernarg_size 52
		.amdhsa_user_sgpr_count 6
		.amdhsa_user_sgpr_private_segment_buffer 1
		.amdhsa_user_sgpr_dispatch_ptr 0
		.amdhsa_user_sgpr_queue_ptr 0
		.amdhsa_user_sgpr_kernarg_segment_ptr 1
		.amdhsa_user_sgpr_dispatch_id 0
		.amdhsa_user_sgpr_flat_scratch_init 0
		.amdhsa_user_sgpr_kernarg_preload_length 0
		.amdhsa_user_sgpr_kernarg_preload_offset 0
		.amdhsa_user_sgpr_private_segment_size 0
		.amdhsa_uses_dynamic_stack 0
		.amdhsa_system_sgpr_private_segment_wavefront_offset 0
		.amdhsa_system_sgpr_workgroup_id_x 1
		.amdhsa_system_sgpr_workgroup_id_y 0
		.amdhsa_system_sgpr_workgroup_id_z 0
		.amdhsa_system_sgpr_workgroup_info 0
		.amdhsa_system_vgpr_workitem_id 0
		.amdhsa_next_free_vgpr 26
		.amdhsa_next_free_sgpr 15
		.amdhsa_accum_offset 28
		.amdhsa_reserve_vcc 1
		.amdhsa_reserve_flat_scratch 0
		.amdhsa_float_round_mode_32 0
		.amdhsa_float_round_mode_16_64 0
		.amdhsa_float_denorm_mode_32 3
		.amdhsa_float_denorm_mode_16_64 3
		.amdhsa_dx10_clamp 1
		.amdhsa_ieee_mode 1
		.amdhsa_fp16_overflow 0
		.amdhsa_tg_split 0
		.amdhsa_exception_fp_ieee_invalid_op 0
		.amdhsa_exception_fp_denorm_src 0
		.amdhsa_exception_fp_ieee_div_zero 0
		.amdhsa_exception_fp_ieee_overflow 0
		.amdhsa_exception_fp_ieee_underflow 0
		.amdhsa_exception_fp_ieee_inexact 0
		.amdhsa_exception_int_div_zero 0
	.end_amdhsa_kernel
	.section	.text._ZN5aiter24topk_softplus_kernel_optIffLi256ELb0ELi0EEEvPKT_PKT0_PfPimiif,"axG",@progbits,_ZN5aiter24topk_softplus_kernel_optIffLi256ELb0ELi0EEEvPKT_PKT0_PfPimiif,comdat
.Lfunc_end26:
	.size	_ZN5aiter24topk_softplus_kernel_optIffLi256ELb0ELi0EEEvPKT_PKT0_PfPimiif, .Lfunc_end26-_ZN5aiter24topk_softplus_kernel_optIffLi256ELb0ELi0EEEvPKT_PKT0_PfPimiif
                                        ; -- End function
	.section	.AMDGPU.csdata,"",@progbits
; Kernel info:
; codeLenInByte = 1752
; NumSgprs: 19
; NumVgprs: 26
; NumAgprs: 0
; TotalNumVgprs: 26
; ScratchSize: 0
; MemoryBound: 0
; FloatMode: 240
; IeeeMode: 1
; LDSByteSize: 0 bytes/workgroup (compile time only)
; SGPRBlocks: 2
; VGPRBlocks: 3
; NumSGPRsForWavesPerEU: 19
; NumVGPRsForWavesPerEU: 26
; AccumOffset: 28
; Occupancy: 8
; WaveLimiterHint : 0
; COMPUTE_PGM_RSRC2:SCRATCH_EN: 0
; COMPUTE_PGM_RSRC2:USER_SGPR: 6
; COMPUTE_PGM_RSRC2:TRAP_HANDLER: 0
; COMPUTE_PGM_RSRC2:TGID_X_EN: 1
; COMPUTE_PGM_RSRC2:TGID_Y_EN: 0
; COMPUTE_PGM_RSRC2:TGID_Z_EN: 0
; COMPUTE_PGM_RSRC2:TIDIG_COMP_CNT: 0
; COMPUTE_PGM_RSRC3_GFX90A:ACCUM_OFFSET: 6
; COMPUTE_PGM_RSRC3_GFX90A:TG_SPLIT: 0
	.section	.text._ZN5aiter24topk_softplus_kernel_optIffLi384ELb1ELi0EEEvPKT_PKT0_PfPimiif,"axG",@progbits,_ZN5aiter24topk_softplus_kernel_optIffLi384ELb1ELi0EEEvPKT_PKT0_PfPimiif,comdat
	.protected	_ZN5aiter24topk_softplus_kernel_optIffLi384ELb1ELi0EEEvPKT_PKT0_PfPimiif ; -- Begin function _ZN5aiter24topk_softplus_kernel_optIffLi384ELb1ELi0EEEvPKT_PKT0_PfPimiif
	.globl	_ZN5aiter24topk_softplus_kernel_optIffLi384ELb1ELi0EEEvPKT_PKT0_PfPimiif
	.p2align	8
	.type	_ZN5aiter24topk_softplus_kernel_optIffLi384ELb1ELi0EEEvPKT_PKT0_PfPimiif,@function
_ZN5aiter24topk_softplus_kernel_optIffLi384ELb1ELi0EEEvPKT_PKT0_PfPimiif: ; @_ZN5aiter24topk_softplus_kernel_optIffLi384ELb1ELi0EEEvPKT_PKT0_PfPimiif
; %bb.0:
	s_load_dwordx4 s[8:11], s[4:5], 0x0
	s_mul_i32 s0, s6, 0x180
	s_ashr_i32 s1, s0, 31
	s_lshl_b64 s[0:1], s[0:1], 2
	v_lshlrev_b32_e32 v19, 2, v0
	s_waitcnt lgkmcnt(0)
	s_add_u32 s0, s8, s0
	s_addc_u32 s1, s9, s1
	global_load_dword v1, v19, s[0:1]
	s_mov_b32 s12, 0xc2fc0000
	v_mov_b32_e32 v6, 0x42800000
	v_mov_b32_e32 v9, 0x1f800000
	s_mov_b32 s13, 0x800000
	v_mov_b32_e32 v7, 0x4f800000
	v_mov_b32_e32 v8, 0x42000000
	s_mov_b32 s7, 0x41a00000
	s_mov_b32 s14, 0xf800000
	v_mov_b32_e32 v5, 0x260
	s_cmp_lg_u64 s[10:11], 0
	s_cselect_b64 s[8:9], -1, 0
	s_waitcnt vmcnt(0)
	v_mul_f32_e32 v2, 0x3fb8aa3b, v1
	v_cmp_gt_f32_e32 vcc, s12, v2
	v_cndmask_b32_e32 v2, 0, v6, vcc
	v_fmac_f32_e32 v2, 0x3fb8aa3b, v1
	v_exp_f32_e32 v2, v2
	v_cndmask_b32_e32 v3, 1.0, v9, vcc
	v_fma_f32 v2, v2, v3, 1.0
	v_cmp_gt_f32_e32 vcc, s13, v2
	v_cndmask_b32_e32 v3, 1.0, v7, vcc
	v_mul_f32_e32 v2, v2, v3
	v_log_f32_e32 v2, v2
	v_cndmask_b32_e32 v4, 0, v8, vcc
	v_cmp_lt_f32_e32 vcc, s7, v1
	v_mov_b32_e32 v3, s1
	v_sub_f32_e32 v2, v2, v4
	v_mul_f32_e32 v2, 0x3f317218, v2
	v_cndmask_b32_e32 v1, v2, v1, vcc
	v_mul_f32_e32 v2, 0x4f800000, v1
	v_cmp_gt_f32_e32 vcc, s14, v1
	v_cndmask_b32_e32 v1, v1, v2, vcc
	v_sqrt_f32_e32 v4, v1
	v_add_co_u32_e64 v2, s[0:1], s0, v19
	v_addc_co_u32_e64 v3, s[0:1], 0, v3, s[0:1]
	v_add_u32_e32 v10, -1, v4
	v_add_u32_e32 v11, 1, v4
	v_fma_f32 v12, -v10, v4, v1
	v_fma_f32 v13, -v11, v4, v1
	v_cmp_ge_f32_e64 s[2:3], 0, v12
	v_cndmask_b32_e64 v4, v4, v10, s[2:3]
	v_cmp_lt_f32_e64 s[2:3], 0, v13
	v_cndmask_b32_e64 v4, v4, v11, s[2:3]
	v_mul_f32_e32 v10, 0x37800000, v4
	v_cndmask_b32_e32 v4, v4, v10, vcc
	v_cmp_class_f32_e32 vcc, v1, v5
	s_and_b64 s[0:1], exec, s[8:9]
	v_cndmask_b32_e32 v1, v4, v1, vcc
	v_mov_b32_e32 v4, v1
	s_mov_b64 vcc, s[0:1]
	s_cbranch_vccz .LBB27_2
; %bb.1:
	global_load_dword v4, v19, s[10:11]
	s_waitcnt vmcnt(0)
	v_add_f32_e32 v4, v1, v4
.LBB27_2:
	global_load_dword v10, v[2:3], off offset:256
	s_waitcnt vmcnt(0)
	v_mul_f32_e32 v11, 0x3fb8aa3b, v10
	v_cmp_gt_f32_e32 vcc, s12, v11
	v_cndmask_b32_e32 v6, 0, v6, vcc
	v_fmac_f32_e32 v6, 0x3fb8aa3b, v10
	v_exp_f32_e32 v6, v6
	v_cndmask_b32_e32 v9, 1.0, v9, vcc
	v_fma_f32 v6, v6, v9, 1.0
	v_cmp_gt_f32_e32 vcc, s13, v6
	v_cndmask_b32_e32 v7, 1.0, v7, vcc
	v_mul_f32_e32 v6, v6, v7
	v_log_f32_e32 v6, v6
	v_cndmask_b32_e32 v7, 0, v8, vcc
	v_cmp_lt_f32_e32 vcc, s7, v10
	v_cndmask_b32_e64 v8, 0, 1, s[8:9]
	v_sub_f32_e32 v6, v6, v7
	v_mul_f32_e32 v6, 0x3f317218, v6
	v_cndmask_b32_e32 v6, v6, v10, vcc
	v_mul_f32_e32 v7, 0x4f800000, v6
	v_cmp_gt_f32_e32 vcc, s14, v6
	v_cndmask_b32_e32 v6, v6, v7, vcc
	v_sqrt_f32_e32 v7, v6
	v_cmp_ne_u32_e64 s[0:1], 1, v8
	v_add_u32_e32 v8, -1, v7
	v_add_u32_e32 v9, 1, v7
	v_fma_f32 v10, -v8, v7, v6
	v_fma_f32 v11, -v9, v7, v6
	v_cmp_ge_f32_e64 s[2:3], 0, v10
	v_cndmask_b32_e64 v7, v7, v8, s[2:3]
	v_cmp_lt_f32_e64 s[2:3], 0, v11
	v_cndmask_b32_e64 v7, v7, v9, s[2:3]
	v_mul_f32_e32 v8, 0x37800000, v7
	v_cndmask_b32_e32 v7, v7, v8, vcc
	v_cmp_class_f32_e32 vcc, v6, v5
	v_cndmask_b32_e32 v5, v7, v6, vcc
	s_andn2_b64 vcc, exec, s[8:9]
	v_mov_b32_e32 v6, v5
	s_cbranch_vccnz .LBB27_4
; %bb.3:
	global_load_dword v6, v19, s[10:11] offset:256
	s_waitcnt vmcnt(0)
	v_add_f32_e32 v6, v5, v6
.LBB27_4:
	global_load_dword v7, v[2:3], off offset:512
	s_mov_b32 s9, 0xc2fc0000
	v_mov_b32_e32 v11, 0x42800000
	v_mov_b32_e32 v9, 0x1f800000
	s_mov_b32 s12, 0x800000
	v_mov_b32_e32 v13, 0x4f800000
	s_mov_b32 s8, 0xf800000
	s_waitcnt vmcnt(0)
	v_mul_f32_e32 v8, 0x3fb8aa3b, v7
	v_cmp_gt_f32_e32 vcc, s9, v8
	v_cndmask_b32_e32 v10, 0, v11, vcc
	v_fmac_f32_e32 v10, 0x3fb8aa3b, v7
	v_exp_f32_e32 v10, v10
	v_cndmask_b32_e32 v8, 1.0, v9, vcc
	v_fma_f32 v8, v10, v8, 1.0
	v_cmp_gt_f32_e32 vcc, s12, v8
	v_cndmask_b32_e32 v10, 1.0, v13, vcc
	v_mul_f32_e32 v8, v8, v10
	v_log_f32_e32 v8, v8
	v_mov_b32_e32 v10, 0x42000000
	v_cndmask_b32_e32 v12, 0, v10, vcc
	v_cmp_lt_f32_e32 vcc, s7, v7
	v_sub_f32_e32 v8, v8, v12
	v_mul_f32_e32 v8, 0x3f317218, v8
	v_cndmask_b32_e32 v7, v8, v7, vcc
	v_mul_f32_e32 v8, 0x4f800000, v7
	v_cmp_gt_f32_e32 vcc, s8, v7
	v_cndmask_b32_e32 v7, v7, v8, vcc
	v_sqrt_f32_e32 v8, v7
	v_mov_b32_e32 v12, 0x260
	v_add_u32_e32 v14, -1, v8
	v_add_u32_e32 v15, 1, v8
	v_fma_f32 v16, -v14, v8, v7
	v_fma_f32 v17, -v15, v8, v7
	v_cmp_ge_f32_e64 s[2:3], 0, v16
	v_cndmask_b32_e64 v8, v8, v14, s[2:3]
	v_cmp_lt_f32_e64 s[2:3], 0, v17
	v_cndmask_b32_e64 v8, v8, v15, s[2:3]
	v_mul_f32_e32 v14, 0x37800000, v8
	v_cndmask_b32_e32 v8, v8, v14, vcc
	v_cmp_class_f32_e32 vcc, v7, v12
	v_cndmask_b32_e32 v7, v8, v7, vcc
	s_and_b64 vcc, exec, s[0:1]
	v_mov_b32_e32 v8, v7
	s_cbranch_vccnz .LBB27_6
; %bb.5:
	global_load_dword v8, v19, s[10:11] offset:512
	s_waitcnt vmcnt(0)
	v_add_f32_e32 v8, v7, v8
.LBB27_6:
	global_load_dword v14, v[2:3], off offset:768
	s_waitcnt vmcnt(0)
	v_mul_f32_e32 v15, 0x3fb8aa3b, v14
	v_cmp_gt_f32_e32 vcc, s9, v15
	v_cndmask_b32_e32 v11, 0, v11, vcc
	v_fmac_f32_e32 v11, 0x3fb8aa3b, v14
	v_exp_f32_e32 v11, v11
	v_cndmask_b32_e32 v9, 1.0, v9, vcc
	v_fma_f32 v9, v11, v9, 1.0
	v_cmp_gt_f32_e32 vcc, s12, v9
	v_cndmask_b32_e32 v11, 1.0, v13, vcc
	v_mul_f32_e32 v9, v9, v11
	v_log_f32_e32 v9, v9
	v_cndmask_b32_e32 v10, 0, v10, vcc
	v_cmp_lt_f32_e32 vcc, s7, v14
	v_sub_f32_e32 v9, v9, v10
	v_mul_f32_e32 v9, 0x3f317218, v9
	v_cndmask_b32_e32 v9, v9, v14, vcc
	v_mul_f32_e32 v10, 0x4f800000, v9
	v_cmp_gt_f32_e32 vcc, s8, v9
	v_cndmask_b32_e32 v9, v9, v10, vcc
	v_sqrt_f32_e32 v10, v9
	v_add_u32_e32 v11, -1, v10
	v_add_u32_e32 v13, 1, v10
	v_fma_f32 v14, -v11, v10, v9
	v_fma_f32 v15, -v13, v10, v9
	v_cmp_ge_f32_e64 s[2:3], 0, v14
	v_cndmask_b32_e64 v10, v10, v11, s[2:3]
	v_cmp_lt_f32_e64 s[2:3], 0, v15
	v_cndmask_b32_e64 v10, v10, v13, s[2:3]
	v_mul_f32_e32 v11, 0x37800000, v10
	v_cndmask_b32_e32 v10, v10, v11, vcc
	v_cmp_class_f32_e32 vcc, v9, v12
	v_cndmask_b32_e32 v9, v10, v9, vcc
	s_and_b64 vcc, exec, s[0:1]
	v_mov_b32_e32 v10, v9
	s_cbranch_vccnz .LBB27_8
; %bb.7:
	global_load_dword v10, v19, s[10:11] offset:768
	s_waitcnt vmcnt(0)
	v_add_f32_e32 v10, v9, v10
.LBB27_8:
	global_load_dword v11, v[2:3], off offset:1024
	v_mov_b32_e32 v15, 0x42800000
	v_mov_b32_e32 v13, 0x1f800000
	;; [unrolled: 1-line block ×3, first 2 shown]
	s_waitcnt vmcnt(0)
	v_mul_f32_e32 v12, 0x3fb8aa3b, v11
	v_cmp_gt_f32_e32 vcc, s9, v12
	v_cndmask_b32_e32 v14, 0, v15, vcc
	v_fmac_f32_e32 v14, 0x3fb8aa3b, v11
	v_exp_f32_e32 v14, v14
	v_cndmask_b32_e32 v12, 1.0, v13, vcc
	v_fma_f32 v12, v14, v12, 1.0
	v_cmp_gt_f32_e32 vcc, s12, v12
	v_cndmask_b32_e32 v14, 1.0, v17, vcc
	v_mul_f32_e32 v12, v12, v14
	v_log_f32_e32 v12, v12
	v_mov_b32_e32 v14, 0x42000000
	v_cndmask_b32_e32 v16, 0, v14, vcc
	v_cmp_lt_f32_e32 vcc, s7, v11
	v_sub_f32_e32 v12, v12, v16
	v_mul_f32_e32 v12, 0x3f317218, v12
	v_cndmask_b32_e32 v11, v12, v11, vcc
	v_mul_f32_e32 v12, 0x4f800000, v11
	v_cmp_gt_f32_e32 vcc, s8, v11
	v_cndmask_b32_e32 v11, v11, v12, vcc
	v_sqrt_f32_e32 v12, v11
	v_mov_b32_e32 v16, 0x260
	v_add_u32_e32 v18, -1, v12
	v_add_u32_e32 v20, 1, v12
	v_fma_f32 v21, -v18, v12, v11
	v_fma_f32 v22, -v20, v12, v11
	v_cmp_ge_f32_e64 s[2:3], 0, v21
	v_cndmask_b32_e64 v12, v12, v18, s[2:3]
	v_cmp_lt_f32_e64 s[2:3], 0, v22
	v_cndmask_b32_e64 v12, v12, v20, s[2:3]
	v_mul_f32_e32 v18, 0x37800000, v12
	v_cndmask_b32_e32 v12, v12, v18, vcc
	v_cmp_class_f32_e32 vcc, v11, v16
	v_cndmask_b32_e32 v11, v12, v11, vcc
	s_and_b64 vcc, exec, s[0:1]
	v_mov_b32_e32 v12, v11
	s_cbranch_vccnz .LBB27_10
; %bb.9:
	global_load_dword v12, v19, s[10:11] offset:1024
	s_waitcnt vmcnt(0)
	v_add_f32_e32 v12, v11, v12
.LBB27_10:
	global_load_dword v2, v[2:3], off offset:1280
	s_waitcnt vmcnt(0)
	v_mul_f32_e32 v3, 0x3fb8aa3b, v2
	v_cmp_gt_f32_e32 vcc, s9, v3
	v_cndmask_b32_e32 v3, 1.0, v13, vcc
	v_cndmask_b32_e32 v13, 0, v15, vcc
	v_fmac_f32_e32 v13, 0x3fb8aa3b, v2
	v_exp_f32_e32 v13, v13
	v_fma_f32 v3, v13, v3, 1.0
	v_cmp_gt_f32_e32 vcc, s12, v3
	v_cndmask_b32_e32 v13, 1.0, v17, vcc
	v_mul_f32_e32 v3, v3, v13
	v_log_f32_e32 v3, v3
	v_cndmask_b32_e32 v13, 0, v14, vcc
	v_cmp_lt_f32_e32 vcc, s7, v2
	v_sub_f32_e32 v3, v3, v13
	v_mul_f32_e32 v3, 0x3f317218, v3
	v_cndmask_b32_e32 v2, v3, v2, vcc
	v_mul_f32_e32 v3, 0x4f800000, v2
	v_cmp_gt_f32_e32 vcc, s8, v2
	v_cndmask_b32_e32 v2, v2, v3, vcc
	v_sqrt_f32_e32 v3, v2
	v_add_u32_e32 v13, -1, v3
	v_add_u32_e32 v14, 1, v3
	v_fma_f32 v15, -v13, v3, v2
	v_fma_f32 v17, -v14, v3, v2
	v_cmp_ge_f32_e64 s[2:3], 0, v15
	v_cndmask_b32_e64 v3, v3, v13, s[2:3]
	v_cmp_lt_f32_e64 s[2:3], 0, v17
	v_cndmask_b32_e64 v3, v3, v14, s[2:3]
	v_mul_f32_e32 v13, 0x37800000, v3
	v_cndmask_b32_e32 v3, v3, v13, vcc
	v_cmp_class_f32_e32 vcc, v2, v16
	v_cndmask_b32_e32 v2, v3, v2, vcc
	s_and_b64 vcc, exec, s[0:1]
	v_mov_b32_e32 v3, v2
	s_cbranch_vccnz .LBB27_12
; %bb.11:
	global_load_dword v3, v19, s[10:11] offset:1280
	s_waitcnt vmcnt(0)
	v_add_f32_e32 v3, v2, v3
.LBB27_12:
	v_add_u32_e32 v13, 64, v0
	v_cmp_lt_f32_e32 vcc, v4, v6
	v_add_u32_e32 v14, 0x80, v0
	v_add_u32_e32 v15, 0xc0, v0
	v_cndmask_b32_e32 v18, v5, v1, vcc
	v_cndmask_b32_e32 v1, v1, v5, vcc
	;; [unrolled: 1-line block ×6, first 2 shown]
	v_cmp_lt_f32_e32 vcc, v8, v10
	v_add_u32_e32 v16, 0x100, v0
	v_add_u32_e32 v17, 0x140, v0
	v_cndmask_b32_e32 v6, v9, v7, vcc
	v_cndmask_b32_e32 v7, v7, v9, vcc
	v_cndmask_b32_e32 v9, v15, v14, vcc
	v_cndmask_b32_e32 v14, v14, v15, vcc
	v_cndmask_b32_e32 v15, v10, v8, vcc
	v_cndmask_b32_e32 v8, v8, v10, vcc
	v_cmp_lt_f32_e32 vcc, v12, v3
	v_cndmask_b32_e32 v10, v2, v11, vcc
	v_cndmask_b32_e32 v2, v11, v2, vcc
	v_cndmask_b32_e32 v11, v17, v16, vcc
	v_cndmask_b32_e32 v16, v16, v17, vcc
	v_cndmask_b32_e32 v17, v3, v12, vcc
	v_cndmask_b32_e32 v3, v12, v3, vcc
	v_cmp_lt_f32_e32 vcc, v4, v8
	;; [unrolled: 7-line block ×7, first 2 shown]
	v_cndmask_b32_e32 v12, v23, v11, vcc
	v_cmp_lt_f32_e64 s[0:1], v25, v27
	v_cndmask_b32_e32 v5, v18, v21, vcc
	v_cndmask_b32_e32 v8, v21, v18, vcc
	;; [unrolled: 1-line block ×3, first 2 shown]
	v_cndmask_b32_e64 v18, v3, v1, s[0:1]
	v_cndmask_b32_e64 v14, v26, v13, s[0:1]
	;; [unrolled: 1-line block ×3, first 2 shown]
	v_cmp_lt_f32_e64 s[2:3], v16, v12
	v_cndmask_b32_e32 v10, v22, v24, vcc
	v_cndmask_b32_e32 v9, v11, v23, vcc
	v_cndmask_b32_e64 v1, v1, v3, s[0:1]
	v_cndmask_b32_e64 v3, v13, v26, s[0:1]
	;; [unrolled: 1-line block ×3, first 2 shown]
	s_and_saveexec_b64 s[0:1], s[2:3]
	s_xor_b64 s[0:1], exec, s[0:1]
; %bb.13:
	v_mov_b32_e32 v13, v20
	v_mov_b32_e32 v21, v15
	v_mov_b32_e32 v22, v16
	v_swap_b32 v16, v12
	v_swap_b32 v20, v8
	;; [unrolled: 1-line block ×3, first 2 shown]
; %bb.14:
	s_or_b64 exec, exec, s[0:1]
	s_load_dword s7, s[4:5], 0x28
	s_load_dwordx4 s[16:19], s[4:5], 0x10
	v_mov_b32_e32 v22, 0
	s_waitcnt lgkmcnt(0)
	s_cmp_lt_i32 s7, 1
	s_cbranch_scc1 .LBB27_20
; %bb.15:
	v_cmp_lt_f32_e32 vcc, v17, v16
	v_cndmask_b32_e32 v13, v15, v14, vcc
	v_cndmask_b32_e32 v14, v14, v15, vcc
	;; [unrolled: 1-line block ×6, first 2 shown]
	v_mbcnt_lo_u32_b32 v20, -1, 0
	v_mbcnt_hi_u32_b32 v20, -1, v20
	v_bfrev_b32_e32 v21, 0.5
	v_mov_b32_e32 v22, 0
	v_mov_b32_e32 v23, 0
	;; [unrolled: 1-line block ×3, first 2 shown]
	v_lshl_or_b32 v25, v20, 2, v21
	v_mov_b32_e32 v26, v0
	s_mov_b32 s20, s7
	v_mov_b32_e32 v20, 0
	v_mov_b32_e32 v21, 0
.LBB27_16:                              ; =>This Inner Loop Header: Depth=1
	v_cmp_eq_u32_e32 vcc, 1, v23
	v_cndmask_b32_e32 v27, v6, v11, vcc
	v_cmp_eq_u32_e64 s[0:1], 2, v23
	v_cndmask_b32_e64 v27, v27, v16, s[0:1]
	v_cmp_eq_u32_e64 s[2:3], 3, v23
	v_cndmask_b32_e64 v27, v27, v15, s[2:3]
	;; [unrolled: 2-line block ×4, first 2 shown]
	v_cmp_gt_u32_e64 s[12:13], 6, v23
	v_cndmask_b32_e64 v27, v24, v27, s[12:13]
	;;#ASMSTART
	v_max_f32 v28, v27, v27 quad_perm:[1,0,3,2] row_mask:0xf bank_mask:0xf bound_ctrl:1
	;;#ASMEND
	;;#ASMSTART
	v_max_f32 v29, v28, v28 quad_perm:[2,3,0,1] row_mask:0xf bank_mask:0xf bound_ctrl:1
	;;#ASMEND
	;;#ASMSTART
	v_max_f32 v28, v29, v29 row_half_mirror row_mask:0xf bank_mask:0xf bound_ctrl:1
	;;#ASMEND
	;;#ASMSTART
	v_max_f32 v29, v28, v28 row_mirror row_mask:0xf bank_mask:0xf bound_ctrl:1
	;;#ASMEND
	;;#ASMSTART
	v_max_f32 v28, v29, v29 row_ror:4 row_mask:0xf bank_mask:0xf bound_ctrl:1
	;;#ASMEND
	;;#ASMSTART
	v_max_f32 v29, v28, v28 row_ror:8 row_mask:0xf bank_mask:0xf bound_ctrl:1
	;;#ASMEND
	;;#ASMSTART
	v_max_f32 v28, v29, v29 row_bcast:15 row_mask:0xf bank_mask:0xf bound_ctrl:1
	;;#ASMEND
	;;#ASMSTART
	v_max_f32 v29, v28, v28 row_bcast:31 row_mask:0xf bank_mask:0xf bound_ctrl:1
	;;#ASMEND
	ds_bpermute_b32 v28, v25, v29
	s_waitcnt lgkmcnt(0)
	v_cmp_eq_f32_e64 s[14:15], v27, v28
	v_cndmask_b32_e32 v27, v4, v3, vcc
	v_cndmask_b32_e64 v27, v27, v14, s[0:1]
	v_cndmask_b32_e64 v27, v27, v13, s[2:3]
	;; [unrolled: 1-line block ×4, first 2 shown]
	s_ff1_i32_b64 s21, s[14:15]
	s_cmp_lg_u64 s[14:15], 0
	s_cselect_b32 s14, s21, 0
	v_cndmask_b32_e64 v28, 0, v27, s[12:13]
	v_readlane_b32 s21, v28, s14
	v_cmp_eq_u32_e64 s[14:15], s21, v27
	v_cndmask_b32_e32 v27, v2, v1, vcc
	v_cndmask_b32_e64 v27, v27, v18, s[0:1]
	v_cndmask_b32_e64 v27, v27, v17, s[2:3]
	;; [unrolled: 1-line block ×4, first 2 shown]
	s_and_b64 vcc, s[12:13], s[14:15]
	s_and_b32 s0, s21, 63
	v_cndmask_b32_e32 v27, 0, v27, vcc
	v_readlane_b32 s2, v27, s0
	v_mov_b32_e32 v27, s2
	v_cmp_eq_u32_e64 s[0:1], 0, v26
	v_cndmask_b32_e64 v21, v21, v27, s[0:1]
	v_mov_b32_e32 v27, s21
	s_add_i32 s20, s20, -1
	v_cndmask_b32_e64 v20, v20, v27, s[0:1]
	v_addc_co_u32_e32 v23, vcc, 0, v23, vcc
	s_cmp_eq_u32 s20, 0
	v_add_f32_e32 v22, s2, v22
	v_add_u32_e32 v26, -1, v26
	s_cbranch_scc0 .LBB27_16
; %bb.17:
	v_cmp_gt_i32_e32 vcc, s7, v0
	s_and_saveexec_b64 s[0:1], vcc
	s_cbranch_execz .LBB27_19
.LBB27_18:
	s_load_dword s2, s[4:5], 0x30
	v_max_f32_e32 v0, v22, v22
	v_max_f32_e32 v0, 0x1e3ce508, v0
	s_waitcnt lgkmcnt(0)
	v_div_scale_f32 v1, s[0:1], v0, v0, s2
	v_rcp_f32_e32 v2, v1
	v_div_scale_f32 v3, vcc, s2, v0, s2
	s_load_dwordx2 s[0:1], s[4:5], 0x20
	v_fma_f32 v4, -v1, v2, 1.0
	v_fmac_f32_e32 v2, v4, v2
	v_mul_f32_e32 v4, v3, v2
	v_fma_f32 v5, -v1, v4, v3
	v_fmac_f32_e32 v4, v5, v2
	v_fma_f32 v1, -v1, v4, v3
	v_div_fmas_f32 v1, v1, v2, v4
	v_div_fixup_f32 v0, v1, v0, s2
	s_ashr_i32 s2, s6, 31
	s_waitcnt lgkmcnt(0)
	s_mul_i32 s1, s6, s1
	s_mul_hi_u32 s3, s6, s0
	s_add_i32 s1, s3, s1
	s_mul_i32 s2, s2, s0
	s_add_i32 s1, s1, s2
	s_mul_i32 s0, s6, s0
	s_lshl_b64 s[0:1], s[0:1], 2
	s_add_u32 s2, s16, s0
	s_addc_u32 s3, s17, s1
	s_add_u32 s0, s18, s0
	v_mul_f32_e32 v0, v21, v0
	s_addc_u32 s1, s19, s1
	global_store_dword v19, v0, s[2:3]
	global_store_dword v19, v20, s[0:1]
.LBB27_19:
	s_endpgm
.LBB27_20:
	v_mov_b32_e32 v20, 0
	v_mov_b32_e32 v21, 0
	v_cmp_gt_i32_e32 vcc, s7, v0
	s_and_saveexec_b64 s[0:1], vcc
	s_cbranch_execnz .LBB27_18
	s_branch .LBB27_19
	.section	.rodata,"a",@progbits
	.p2align	6, 0x0
	.amdhsa_kernel _ZN5aiter24topk_softplus_kernel_optIffLi384ELb1ELi0EEEvPKT_PKT0_PfPimiif
		.amdhsa_group_segment_fixed_size 0
		.amdhsa_private_segment_fixed_size 0
		.amdhsa_kernarg_size 52
		.amdhsa_user_sgpr_count 6
		.amdhsa_user_sgpr_private_segment_buffer 1
		.amdhsa_user_sgpr_dispatch_ptr 0
		.amdhsa_user_sgpr_queue_ptr 0
		.amdhsa_user_sgpr_kernarg_segment_ptr 1
		.amdhsa_user_sgpr_dispatch_id 0
		.amdhsa_user_sgpr_flat_scratch_init 0
		.amdhsa_user_sgpr_kernarg_preload_length 0
		.amdhsa_user_sgpr_kernarg_preload_offset 0
		.amdhsa_user_sgpr_private_segment_size 0
		.amdhsa_uses_dynamic_stack 0
		.amdhsa_system_sgpr_private_segment_wavefront_offset 0
		.amdhsa_system_sgpr_workgroup_id_x 1
		.amdhsa_system_sgpr_workgroup_id_y 0
		.amdhsa_system_sgpr_workgroup_id_z 0
		.amdhsa_system_sgpr_workgroup_info 0
		.amdhsa_system_vgpr_workitem_id 0
		.amdhsa_next_free_vgpr 30
		.amdhsa_next_free_sgpr 22
		.amdhsa_accum_offset 32
		.amdhsa_reserve_vcc 1
		.amdhsa_reserve_flat_scratch 0
		.amdhsa_float_round_mode_32 0
		.amdhsa_float_round_mode_16_64 0
		.amdhsa_float_denorm_mode_32 3
		.amdhsa_float_denorm_mode_16_64 3
		.amdhsa_dx10_clamp 1
		.amdhsa_ieee_mode 1
		.amdhsa_fp16_overflow 0
		.amdhsa_tg_split 0
		.amdhsa_exception_fp_ieee_invalid_op 0
		.amdhsa_exception_fp_denorm_src 0
		.amdhsa_exception_fp_ieee_div_zero 0
		.amdhsa_exception_fp_ieee_overflow 0
		.amdhsa_exception_fp_ieee_underflow 0
		.amdhsa_exception_fp_ieee_inexact 0
		.amdhsa_exception_int_div_zero 0
	.end_amdhsa_kernel
	.section	.text._ZN5aiter24topk_softplus_kernel_optIffLi384ELb1ELi0EEEvPKT_PKT0_PfPimiif,"axG",@progbits,_ZN5aiter24topk_softplus_kernel_optIffLi384ELb1ELi0EEEvPKT_PKT0_PfPimiif,comdat
.Lfunc_end27:
	.size	_ZN5aiter24topk_softplus_kernel_optIffLi384ELb1ELi0EEEvPKT_PKT0_PfPimiif, .Lfunc_end27-_ZN5aiter24topk_softplus_kernel_optIffLi384ELb1ELi0EEEvPKT_PKT0_PfPimiif
                                        ; -- End function
	.section	.AMDGPU.csdata,"",@progbits
; Kernel info:
; codeLenInByte = 2640
; NumSgprs: 26
; NumVgprs: 30
; NumAgprs: 0
; TotalNumVgprs: 30
; ScratchSize: 0
; MemoryBound: 0
; FloatMode: 240
; IeeeMode: 1
; LDSByteSize: 0 bytes/workgroup (compile time only)
; SGPRBlocks: 3
; VGPRBlocks: 3
; NumSGPRsForWavesPerEU: 26
; NumVGPRsForWavesPerEU: 30
; AccumOffset: 32
; Occupancy: 8
; WaveLimiterHint : 0
; COMPUTE_PGM_RSRC2:SCRATCH_EN: 0
; COMPUTE_PGM_RSRC2:USER_SGPR: 6
; COMPUTE_PGM_RSRC2:TRAP_HANDLER: 0
; COMPUTE_PGM_RSRC2:TGID_X_EN: 1
; COMPUTE_PGM_RSRC2:TGID_Y_EN: 0
; COMPUTE_PGM_RSRC2:TGID_Z_EN: 0
; COMPUTE_PGM_RSRC2:TIDIG_COMP_CNT: 0
; COMPUTE_PGM_RSRC3_GFX90A:ACCUM_OFFSET: 7
; COMPUTE_PGM_RSRC3_GFX90A:TG_SPLIT: 0
	.section	.text._ZN5aiter24topk_softplus_kernel_optIffLi384ELb0ELi0EEEvPKT_PKT0_PfPimiif,"axG",@progbits,_ZN5aiter24topk_softplus_kernel_optIffLi384ELb0ELi0EEEvPKT_PKT0_PfPimiif,comdat
	.protected	_ZN5aiter24topk_softplus_kernel_optIffLi384ELb0ELi0EEEvPKT_PKT0_PfPimiif ; -- Begin function _ZN5aiter24topk_softplus_kernel_optIffLi384ELb0ELi0EEEvPKT_PKT0_PfPimiif
	.globl	_ZN5aiter24topk_softplus_kernel_optIffLi384ELb0ELi0EEEvPKT_PKT0_PfPimiif
	.p2align	8
	.type	_ZN5aiter24topk_softplus_kernel_optIffLi384ELb0ELi0EEEvPKT_PKT0_PfPimiif,@function
_ZN5aiter24topk_softplus_kernel_optIffLi384ELb0ELi0EEEvPKT_PKT0_PfPimiif: ; @_ZN5aiter24topk_softplus_kernel_optIffLi384ELb0ELi0EEEvPKT_PKT0_PfPimiif
; %bb.0:
	s_load_dwordx4 s[8:11], s[4:5], 0x0
	s_mul_i32 s0, s6, 0x180
	s_ashr_i32 s1, s0, 31
	s_lshl_b64 s[0:1], s[0:1], 2
	v_lshlrev_b32_e32 v19, 2, v0
	s_waitcnt lgkmcnt(0)
	s_add_u32 s0, s8, s0
	s_addc_u32 s1, s9, s1
	global_load_dword v1, v19, s[0:1]
	s_mov_b32 s12, 0xc2fc0000
	v_mov_b32_e32 v6, 0x42800000
	v_mov_b32_e32 v9, 0x1f800000
	s_mov_b32 s13, 0x800000
	v_mov_b32_e32 v7, 0x4f800000
	v_mov_b32_e32 v8, 0x42000000
	s_mov_b32 s7, 0x41a00000
	s_mov_b32 s14, 0xf800000
	v_mov_b32_e32 v5, 0x260
	s_cmp_lg_u64 s[10:11], 0
	s_cselect_b64 s[8:9], -1, 0
	s_waitcnt vmcnt(0)
	v_mul_f32_e32 v2, 0x3fb8aa3b, v1
	v_cmp_gt_f32_e32 vcc, s12, v2
	v_cndmask_b32_e32 v2, 0, v6, vcc
	v_fmac_f32_e32 v2, 0x3fb8aa3b, v1
	v_exp_f32_e32 v2, v2
	v_cndmask_b32_e32 v3, 1.0, v9, vcc
	v_fma_f32 v2, v2, v3, 1.0
	v_cmp_gt_f32_e32 vcc, s13, v2
	v_cndmask_b32_e32 v3, 1.0, v7, vcc
	v_mul_f32_e32 v2, v2, v3
	v_log_f32_e32 v2, v2
	v_cndmask_b32_e32 v4, 0, v8, vcc
	v_cmp_lt_f32_e32 vcc, s7, v1
	v_mov_b32_e32 v3, s1
	v_sub_f32_e32 v2, v2, v4
	v_mul_f32_e32 v2, 0x3f317218, v2
	v_cndmask_b32_e32 v1, v2, v1, vcc
	v_mul_f32_e32 v2, 0x4f800000, v1
	v_cmp_gt_f32_e32 vcc, s14, v1
	v_cndmask_b32_e32 v1, v1, v2, vcc
	v_sqrt_f32_e32 v4, v1
	v_add_co_u32_e64 v2, s[0:1], s0, v19
	v_addc_co_u32_e64 v3, s[0:1], 0, v3, s[0:1]
	v_add_u32_e32 v10, -1, v4
	v_add_u32_e32 v11, 1, v4
	v_fma_f32 v12, -v10, v4, v1
	v_fma_f32 v13, -v11, v4, v1
	v_cmp_ge_f32_e64 s[2:3], 0, v12
	v_cndmask_b32_e64 v4, v4, v10, s[2:3]
	v_cmp_lt_f32_e64 s[2:3], 0, v13
	v_cndmask_b32_e64 v4, v4, v11, s[2:3]
	v_mul_f32_e32 v10, 0x37800000, v4
	v_cndmask_b32_e32 v4, v4, v10, vcc
	v_cmp_class_f32_e32 vcc, v1, v5
	s_and_b64 s[0:1], exec, s[8:9]
	v_cndmask_b32_e32 v1, v4, v1, vcc
	v_mov_b32_e32 v4, v1
	s_mov_b64 vcc, s[0:1]
	s_cbranch_vccz .LBB28_2
; %bb.1:
	global_load_dword v4, v19, s[10:11]
	s_waitcnt vmcnt(0)
	v_add_f32_e32 v4, v1, v4
.LBB28_2:
	global_load_dword v10, v[2:3], off offset:256
	s_waitcnt vmcnt(0)
	v_mul_f32_e32 v11, 0x3fb8aa3b, v10
	v_cmp_gt_f32_e32 vcc, s12, v11
	v_cndmask_b32_e32 v6, 0, v6, vcc
	v_fmac_f32_e32 v6, 0x3fb8aa3b, v10
	v_exp_f32_e32 v6, v6
	v_cndmask_b32_e32 v9, 1.0, v9, vcc
	v_fma_f32 v6, v6, v9, 1.0
	v_cmp_gt_f32_e32 vcc, s13, v6
	v_cndmask_b32_e32 v7, 1.0, v7, vcc
	v_mul_f32_e32 v6, v6, v7
	v_log_f32_e32 v6, v6
	v_cndmask_b32_e32 v7, 0, v8, vcc
	v_cmp_lt_f32_e32 vcc, s7, v10
	v_cndmask_b32_e64 v8, 0, 1, s[8:9]
	v_sub_f32_e32 v6, v6, v7
	v_mul_f32_e32 v6, 0x3f317218, v6
	v_cndmask_b32_e32 v6, v6, v10, vcc
	v_mul_f32_e32 v7, 0x4f800000, v6
	v_cmp_gt_f32_e32 vcc, s14, v6
	v_cndmask_b32_e32 v6, v6, v7, vcc
	v_sqrt_f32_e32 v7, v6
	v_cmp_ne_u32_e64 s[0:1], 1, v8
	v_add_u32_e32 v8, -1, v7
	v_add_u32_e32 v9, 1, v7
	v_fma_f32 v10, -v8, v7, v6
	v_fma_f32 v11, -v9, v7, v6
	v_cmp_ge_f32_e64 s[2:3], 0, v10
	v_cndmask_b32_e64 v7, v7, v8, s[2:3]
	v_cmp_lt_f32_e64 s[2:3], 0, v11
	v_cndmask_b32_e64 v7, v7, v9, s[2:3]
	v_mul_f32_e32 v8, 0x37800000, v7
	v_cndmask_b32_e32 v7, v7, v8, vcc
	v_cmp_class_f32_e32 vcc, v6, v5
	v_cndmask_b32_e32 v5, v7, v6, vcc
	s_andn2_b64 vcc, exec, s[8:9]
	v_mov_b32_e32 v6, v5
	s_cbranch_vccnz .LBB28_4
; %bb.3:
	global_load_dword v6, v19, s[10:11] offset:256
	s_waitcnt vmcnt(0)
	v_add_f32_e32 v6, v5, v6
.LBB28_4:
	global_load_dword v7, v[2:3], off offset:512
	s_mov_b32 s9, 0xc2fc0000
	v_mov_b32_e32 v11, 0x42800000
	v_mov_b32_e32 v9, 0x1f800000
	s_mov_b32 s12, 0x800000
	v_mov_b32_e32 v13, 0x4f800000
	s_mov_b32 s8, 0xf800000
	s_waitcnt vmcnt(0)
	v_mul_f32_e32 v8, 0x3fb8aa3b, v7
	v_cmp_gt_f32_e32 vcc, s9, v8
	v_cndmask_b32_e32 v10, 0, v11, vcc
	v_fmac_f32_e32 v10, 0x3fb8aa3b, v7
	v_exp_f32_e32 v10, v10
	v_cndmask_b32_e32 v8, 1.0, v9, vcc
	v_fma_f32 v8, v10, v8, 1.0
	v_cmp_gt_f32_e32 vcc, s12, v8
	v_cndmask_b32_e32 v10, 1.0, v13, vcc
	v_mul_f32_e32 v8, v8, v10
	v_log_f32_e32 v8, v8
	v_mov_b32_e32 v10, 0x42000000
	v_cndmask_b32_e32 v12, 0, v10, vcc
	v_cmp_lt_f32_e32 vcc, s7, v7
	v_sub_f32_e32 v8, v8, v12
	v_mul_f32_e32 v8, 0x3f317218, v8
	v_cndmask_b32_e32 v7, v8, v7, vcc
	v_mul_f32_e32 v8, 0x4f800000, v7
	v_cmp_gt_f32_e32 vcc, s8, v7
	v_cndmask_b32_e32 v7, v7, v8, vcc
	v_sqrt_f32_e32 v8, v7
	v_mov_b32_e32 v12, 0x260
	v_add_u32_e32 v14, -1, v8
	v_add_u32_e32 v15, 1, v8
	v_fma_f32 v16, -v14, v8, v7
	v_fma_f32 v17, -v15, v8, v7
	v_cmp_ge_f32_e64 s[2:3], 0, v16
	v_cndmask_b32_e64 v8, v8, v14, s[2:3]
	v_cmp_lt_f32_e64 s[2:3], 0, v17
	v_cndmask_b32_e64 v8, v8, v15, s[2:3]
	v_mul_f32_e32 v14, 0x37800000, v8
	v_cndmask_b32_e32 v8, v8, v14, vcc
	v_cmp_class_f32_e32 vcc, v7, v12
	v_cndmask_b32_e32 v7, v8, v7, vcc
	s_and_b64 vcc, exec, s[0:1]
	v_mov_b32_e32 v8, v7
	s_cbranch_vccnz .LBB28_6
; %bb.5:
	global_load_dword v8, v19, s[10:11] offset:512
	s_waitcnt vmcnt(0)
	v_add_f32_e32 v8, v7, v8
.LBB28_6:
	global_load_dword v14, v[2:3], off offset:768
	s_waitcnt vmcnt(0)
	v_mul_f32_e32 v15, 0x3fb8aa3b, v14
	v_cmp_gt_f32_e32 vcc, s9, v15
	v_cndmask_b32_e32 v11, 0, v11, vcc
	v_fmac_f32_e32 v11, 0x3fb8aa3b, v14
	v_exp_f32_e32 v11, v11
	v_cndmask_b32_e32 v9, 1.0, v9, vcc
	v_fma_f32 v9, v11, v9, 1.0
	v_cmp_gt_f32_e32 vcc, s12, v9
	v_cndmask_b32_e32 v11, 1.0, v13, vcc
	v_mul_f32_e32 v9, v9, v11
	v_log_f32_e32 v9, v9
	v_cndmask_b32_e32 v10, 0, v10, vcc
	v_cmp_lt_f32_e32 vcc, s7, v14
	v_sub_f32_e32 v9, v9, v10
	v_mul_f32_e32 v9, 0x3f317218, v9
	v_cndmask_b32_e32 v9, v9, v14, vcc
	v_mul_f32_e32 v10, 0x4f800000, v9
	v_cmp_gt_f32_e32 vcc, s8, v9
	v_cndmask_b32_e32 v9, v9, v10, vcc
	v_sqrt_f32_e32 v10, v9
	v_add_u32_e32 v11, -1, v10
	v_add_u32_e32 v13, 1, v10
	v_fma_f32 v14, -v11, v10, v9
	v_fma_f32 v15, -v13, v10, v9
	v_cmp_ge_f32_e64 s[2:3], 0, v14
	v_cndmask_b32_e64 v10, v10, v11, s[2:3]
	v_cmp_lt_f32_e64 s[2:3], 0, v15
	v_cndmask_b32_e64 v10, v10, v13, s[2:3]
	v_mul_f32_e32 v11, 0x37800000, v10
	v_cndmask_b32_e32 v10, v10, v11, vcc
	v_cmp_class_f32_e32 vcc, v9, v12
	v_cndmask_b32_e32 v9, v10, v9, vcc
	s_and_b64 vcc, exec, s[0:1]
	v_mov_b32_e32 v10, v9
	s_cbranch_vccnz .LBB28_8
; %bb.7:
	global_load_dword v10, v19, s[10:11] offset:768
	s_waitcnt vmcnt(0)
	v_add_f32_e32 v10, v9, v10
.LBB28_8:
	global_load_dword v11, v[2:3], off offset:1024
	v_mov_b32_e32 v15, 0x42800000
	v_mov_b32_e32 v13, 0x1f800000
	;; [unrolled: 1-line block ×3, first 2 shown]
	s_waitcnt vmcnt(0)
	v_mul_f32_e32 v12, 0x3fb8aa3b, v11
	v_cmp_gt_f32_e32 vcc, s9, v12
	v_cndmask_b32_e32 v14, 0, v15, vcc
	v_fmac_f32_e32 v14, 0x3fb8aa3b, v11
	v_exp_f32_e32 v14, v14
	v_cndmask_b32_e32 v12, 1.0, v13, vcc
	v_fma_f32 v12, v14, v12, 1.0
	v_cmp_gt_f32_e32 vcc, s12, v12
	v_cndmask_b32_e32 v14, 1.0, v17, vcc
	v_mul_f32_e32 v12, v12, v14
	v_log_f32_e32 v12, v12
	v_mov_b32_e32 v14, 0x42000000
	v_cndmask_b32_e32 v16, 0, v14, vcc
	v_cmp_lt_f32_e32 vcc, s7, v11
	v_sub_f32_e32 v12, v12, v16
	v_mul_f32_e32 v12, 0x3f317218, v12
	v_cndmask_b32_e32 v11, v12, v11, vcc
	v_mul_f32_e32 v12, 0x4f800000, v11
	v_cmp_gt_f32_e32 vcc, s8, v11
	v_cndmask_b32_e32 v11, v11, v12, vcc
	v_sqrt_f32_e32 v12, v11
	v_mov_b32_e32 v16, 0x260
	v_add_u32_e32 v18, -1, v12
	v_add_u32_e32 v20, 1, v12
	v_fma_f32 v21, -v18, v12, v11
	v_fma_f32 v22, -v20, v12, v11
	v_cmp_ge_f32_e64 s[2:3], 0, v21
	v_cndmask_b32_e64 v12, v12, v18, s[2:3]
	v_cmp_lt_f32_e64 s[2:3], 0, v22
	v_cndmask_b32_e64 v12, v12, v20, s[2:3]
	v_mul_f32_e32 v18, 0x37800000, v12
	v_cndmask_b32_e32 v12, v12, v18, vcc
	v_cmp_class_f32_e32 vcc, v11, v16
	v_cndmask_b32_e32 v11, v12, v11, vcc
	s_and_b64 vcc, exec, s[0:1]
	v_mov_b32_e32 v12, v11
	s_cbranch_vccnz .LBB28_10
; %bb.9:
	global_load_dword v12, v19, s[10:11] offset:1024
	s_waitcnt vmcnt(0)
	v_add_f32_e32 v12, v11, v12
.LBB28_10:
	global_load_dword v2, v[2:3], off offset:1280
	s_waitcnt vmcnt(0)
	v_mul_f32_e32 v3, 0x3fb8aa3b, v2
	v_cmp_gt_f32_e32 vcc, s9, v3
	v_cndmask_b32_e32 v3, 1.0, v13, vcc
	v_cndmask_b32_e32 v13, 0, v15, vcc
	v_fmac_f32_e32 v13, 0x3fb8aa3b, v2
	v_exp_f32_e32 v13, v13
	v_fma_f32 v3, v13, v3, 1.0
	v_cmp_gt_f32_e32 vcc, s12, v3
	v_cndmask_b32_e32 v13, 1.0, v17, vcc
	v_mul_f32_e32 v3, v3, v13
	v_log_f32_e32 v3, v3
	v_cndmask_b32_e32 v13, 0, v14, vcc
	v_cmp_lt_f32_e32 vcc, s7, v2
	v_sub_f32_e32 v3, v3, v13
	v_mul_f32_e32 v3, 0x3f317218, v3
	v_cndmask_b32_e32 v2, v3, v2, vcc
	v_mul_f32_e32 v3, 0x4f800000, v2
	v_cmp_gt_f32_e32 vcc, s8, v2
	v_cndmask_b32_e32 v2, v2, v3, vcc
	v_sqrt_f32_e32 v3, v2
	v_add_u32_e32 v13, -1, v3
	v_add_u32_e32 v14, 1, v3
	v_fma_f32 v15, -v13, v3, v2
	v_fma_f32 v17, -v14, v3, v2
	v_cmp_ge_f32_e64 s[2:3], 0, v15
	v_cndmask_b32_e64 v3, v3, v13, s[2:3]
	v_cmp_lt_f32_e64 s[2:3], 0, v17
	v_cndmask_b32_e64 v3, v3, v14, s[2:3]
	v_mul_f32_e32 v13, 0x37800000, v3
	v_cndmask_b32_e32 v3, v3, v13, vcc
	v_cmp_class_f32_e32 vcc, v2, v16
	v_cndmask_b32_e32 v2, v3, v2, vcc
	s_and_b64 vcc, exec, s[0:1]
	v_mov_b32_e32 v3, v2
	s_cbranch_vccnz .LBB28_12
; %bb.11:
	global_load_dword v3, v19, s[10:11] offset:1280
	s_waitcnt vmcnt(0)
	v_add_f32_e32 v3, v2, v3
.LBB28_12:
	v_add_u32_e32 v13, 64, v0
	v_cmp_lt_f32_e32 vcc, v4, v6
	v_add_u32_e32 v14, 0x80, v0
	v_add_u32_e32 v15, 0xc0, v0
	v_cndmask_b32_e32 v18, v5, v1, vcc
	v_cndmask_b32_e32 v1, v1, v5, vcc
	;; [unrolled: 1-line block ×6, first 2 shown]
	v_cmp_lt_f32_e32 vcc, v8, v10
	v_add_u32_e32 v16, 0x100, v0
	v_add_u32_e32 v17, 0x140, v0
	v_cndmask_b32_e32 v6, v9, v7, vcc
	v_cndmask_b32_e32 v7, v7, v9, vcc
	v_cndmask_b32_e32 v9, v15, v14, vcc
	v_cndmask_b32_e32 v14, v14, v15, vcc
	v_cndmask_b32_e32 v15, v10, v8, vcc
	v_cndmask_b32_e32 v8, v8, v10, vcc
	v_cmp_lt_f32_e32 vcc, v12, v3
	v_cndmask_b32_e32 v10, v2, v11, vcc
	v_cndmask_b32_e32 v2, v11, v2, vcc
	v_cndmask_b32_e32 v11, v17, v16, vcc
	v_cndmask_b32_e32 v16, v16, v17, vcc
	v_cndmask_b32_e32 v17, v3, v12, vcc
	v_cndmask_b32_e32 v3, v12, v3, vcc
	v_cmp_lt_f32_e32 vcc, v4, v8
	;; [unrolled: 7-line block ×7, first 2 shown]
	v_cndmask_b32_e32 v12, v23, v11, vcc
	v_cmp_lt_f32_e64 s[0:1], v25, v27
	v_cndmask_b32_e32 v5, v18, v21, vcc
	v_cndmask_b32_e32 v8, v21, v18, vcc
	;; [unrolled: 1-line block ×3, first 2 shown]
	v_cndmask_b32_e64 v18, v3, v1, s[0:1]
	v_cndmask_b32_e64 v14, v26, v13, s[0:1]
	;; [unrolled: 1-line block ×3, first 2 shown]
	v_cmp_lt_f32_e64 s[2:3], v16, v12
	v_cndmask_b32_e32 v10, v22, v24, vcc
	v_cndmask_b32_e32 v9, v11, v23, vcc
	v_cndmask_b32_e64 v1, v1, v3, s[0:1]
	v_cndmask_b32_e64 v3, v13, v26, s[0:1]
	;; [unrolled: 1-line block ×3, first 2 shown]
	s_and_saveexec_b64 s[0:1], s[2:3]
	s_xor_b64 s[0:1], exec, s[0:1]
; %bb.13:
	v_mov_b32_e32 v13, v20
	v_mov_b32_e32 v21, v15
	;; [unrolled: 1-line block ×3, first 2 shown]
	v_swap_b32 v16, v12
	v_swap_b32 v20, v8
	v_swap_b32 v15, v10
; %bb.14:
	s_or_b64 exec, exec, s[0:1]
	s_load_dword s7, s[4:5], 0x28
	s_load_dwordx4 s[16:19], s[4:5], 0x10
	s_waitcnt lgkmcnt(0)
	s_cmp_lt_i32 s7, 1
	s_cbranch_scc1 .LBB28_20
; %bb.15:
	v_cmp_lt_f32_e32 vcc, v17, v16
	v_cndmask_b32_e32 v13, v15, v14, vcc
	v_cndmask_b32_e32 v14, v14, v15, vcc
	;; [unrolled: 1-line block ×6, first 2 shown]
	v_mbcnt_lo_u32_b32 v20, -1, 0
	v_mbcnt_hi_u32_b32 v20, -1, v20
	v_bfrev_b32_e32 v24, 0.5
	v_mov_b32_e32 v22, 0
	v_mov_b32_e32 v21, 0
	;; [unrolled: 1-line block ×3, first 2 shown]
	v_lshl_or_b32 v24, v20, 2, v24
	v_mov_b32_e32 v25, v0
	s_mov_b32 s20, s7
	v_mov_b32_e32 v20, 0
.LBB28_16:                              ; =>This Inner Loop Header: Depth=1
	v_cmp_eq_u32_e32 vcc, 1, v22
	v_cndmask_b32_e32 v26, v6, v11, vcc
	v_cmp_eq_u32_e64 s[0:1], 2, v22
	v_cndmask_b32_e64 v26, v26, v16, s[0:1]
	v_cmp_eq_u32_e64 s[2:3], 3, v22
	v_cndmask_b32_e64 v26, v26, v15, s[2:3]
	;; [unrolled: 2-line block ×4, first 2 shown]
	v_cmp_gt_u32_e64 s[12:13], 6, v22
	v_cndmask_b32_e64 v26, v23, v26, s[12:13]
	;;#ASMSTART
	v_max_f32 v27, v26, v26 quad_perm:[1,0,3,2] row_mask:0xf bank_mask:0xf bound_ctrl:1
	;;#ASMEND
	;;#ASMSTART
	v_max_f32 v28, v27, v27 quad_perm:[2,3,0,1] row_mask:0xf bank_mask:0xf bound_ctrl:1
	;;#ASMEND
	;;#ASMSTART
	v_max_f32 v27, v28, v28 row_half_mirror row_mask:0xf bank_mask:0xf bound_ctrl:1
	;;#ASMEND
	;;#ASMSTART
	v_max_f32 v28, v27, v27 row_mirror row_mask:0xf bank_mask:0xf bound_ctrl:1
	;;#ASMEND
	;;#ASMSTART
	v_max_f32 v27, v28, v28 row_ror:4 row_mask:0xf bank_mask:0xf bound_ctrl:1
	;;#ASMEND
	;;#ASMSTART
	v_max_f32 v28, v27, v27 row_ror:8 row_mask:0xf bank_mask:0xf bound_ctrl:1
	;;#ASMEND
	;;#ASMSTART
	v_max_f32 v27, v28, v28 row_bcast:15 row_mask:0xf bank_mask:0xf bound_ctrl:1
	;;#ASMEND
	;;#ASMSTART
	v_max_f32 v28, v27, v27 row_bcast:31 row_mask:0xf bank_mask:0xf bound_ctrl:1
	;;#ASMEND
	ds_bpermute_b32 v27, v24, v28
	s_waitcnt lgkmcnt(0)
	v_cmp_eq_f32_e64 s[14:15], v26, v27
	v_cndmask_b32_e32 v26, v4, v3, vcc
	v_cndmask_b32_e64 v26, v26, v14, s[0:1]
	v_cndmask_b32_e64 v26, v26, v13, s[2:3]
	;; [unrolled: 1-line block ×4, first 2 shown]
	s_ff1_i32_b64 s21, s[14:15]
	s_cmp_lg_u64 s[14:15], 0
	s_cselect_b32 s14, s21, 0
	v_cndmask_b32_e64 v27, 0, v26, s[12:13]
	v_readlane_b32 s21, v27, s14
	v_cmp_eq_u32_e64 s[14:15], s21, v26
	v_cndmask_b32_e32 v26, v2, v1, vcc
	v_cndmask_b32_e64 v26, v26, v18, s[0:1]
	v_cndmask_b32_e64 v26, v26, v17, s[2:3]
	;; [unrolled: 1-line block ×4, first 2 shown]
	s_and_b64 vcc, s[12:13], s[14:15]
	s_and_b32 s0, s21, 63
	v_cndmask_b32_e32 v26, 0, v26, vcc
	v_readlane_b32 s0, v26, s0
	v_mov_b32_e32 v26, s0
	v_cmp_eq_u32_e64 s[0:1], 0, v25
	v_cndmask_b32_e64 v21, v21, v26, s[0:1]
	v_mov_b32_e32 v26, s21
	s_add_i32 s20, s20, -1
	v_cndmask_b32_e64 v20, v20, v26, s[0:1]
	v_addc_co_u32_e32 v22, vcc, 0, v22, vcc
	s_cmp_eq_u32 s20, 0
	v_add_u32_e32 v25, -1, v25
	s_cbranch_scc0 .LBB28_16
; %bb.17:
	v_cmp_gt_i32_e32 vcc, s7, v0
	s_and_saveexec_b64 s[0:1], vcc
	s_cbranch_execz .LBB28_19
.LBB28_18:
	s_load_dword s2, s[4:5], 0x30
	s_load_dwordx2 s[0:1], s[4:5], 0x20
	s_ashr_i32 s3, s6, 31
	s_waitcnt lgkmcnt(0)
	v_mul_f32_e32 v0, s2, v21
	s_mul_i32 s1, s6, s1
	s_mul_hi_u32 s2, s6, s0
	s_add_i32 s1, s2, s1
	s_mul_i32 s3, s3, s0
	s_add_i32 s1, s1, s3
	s_mul_i32 s0, s6, s0
	s_lshl_b64 s[0:1], s[0:1], 2
	s_add_u32 s2, s16, s0
	s_addc_u32 s3, s17, s1
	s_add_u32 s0, s18, s0
	s_addc_u32 s1, s19, s1
	global_store_dword v19, v0, s[2:3]
	global_store_dword v19, v20, s[0:1]
.LBB28_19:
	s_endpgm
.LBB28_20:
	v_mov_b32_e32 v20, 0
	v_mov_b32_e32 v21, 0
	v_cmp_gt_i32_e32 vcc, s7, v0
	s_and_saveexec_b64 s[0:1], vcc
	s_cbranch_execnz .LBB28_18
	s_branch .LBB28_19
	.section	.rodata,"a",@progbits
	.p2align	6, 0x0
	.amdhsa_kernel _ZN5aiter24topk_softplus_kernel_optIffLi384ELb0ELi0EEEvPKT_PKT0_PfPimiif
		.amdhsa_group_segment_fixed_size 0
		.amdhsa_private_segment_fixed_size 0
		.amdhsa_kernarg_size 52
		.amdhsa_user_sgpr_count 6
		.amdhsa_user_sgpr_private_segment_buffer 1
		.amdhsa_user_sgpr_dispatch_ptr 0
		.amdhsa_user_sgpr_queue_ptr 0
		.amdhsa_user_sgpr_kernarg_segment_ptr 1
		.amdhsa_user_sgpr_dispatch_id 0
		.amdhsa_user_sgpr_flat_scratch_init 0
		.amdhsa_user_sgpr_kernarg_preload_length 0
		.amdhsa_user_sgpr_kernarg_preload_offset 0
		.amdhsa_user_sgpr_private_segment_size 0
		.amdhsa_uses_dynamic_stack 0
		.amdhsa_system_sgpr_private_segment_wavefront_offset 0
		.amdhsa_system_sgpr_workgroup_id_x 1
		.amdhsa_system_sgpr_workgroup_id_y 0
		.amdhsa_system_sgpr_workgroup_id_z 0
		.amdhsa_system_sgpr_workgroup_info 0
		.amdhsa_system_vgpr_workitem_id 0
		.amdhsa_next_free_vgpr 29
		.amdhsa_next_free_sgpr 22
		.amdhsa_accum_offset 32
		.amdhsa_reserve_vcc 1
		.amdhsa_reserve_flat_scratch 0
		.amdhsa_float_round_mode_32 0
		.amdhsa_float_round_mode_16_64 0
		.amdhsa_float_denorm_mode_32 3
		.amdhsa_float_denorm_mode_16_64 3
		.amdhsa_dx10_clamp 1
		.amdhsa_ieee_mode 1
		.amdhsa_fp16_overflow 0
		.amdhsa_tg_split 0
		.amdhsa_exception_fp_ieee_invalid_op 0
		.amdhsa_exception_fp_denorm_src 0
		.amdhsa_exception_fp_ieee_div_zero 0
		.amdhsa_exception_fp_ieee_overflow 0
		.amdhsa_exception_fp_ieee_underflow 0
		.amdhsa_exception_fp_ieee_inexact 0
		.amdhsa_exception_int_div_zero 0
	.end_amdhsa_kernel
	.section	.text._ZN5aiter24topk_softplus_kernel_optIffLi384ELb0ELi0EEEvPKT_PKT0_PfPimiif,"axG",@progbits,_ZN5aiter24topk_softplus_kernel_optIffLi384ELb0ELi0EEEvPKT_PKT0_PfPimiif,comdat
.Lfunc_end28:
	.size	_ZN5aiter24topk_softplus_kernel_optIffLi384ELb0ELi0EEEvPKT_PKT0_PfPimiif, .Lfunc_end28-_ZN5aiter24topk_softplus_kernel_optIffLi384ELb0ELi0EEEvPKT_PKT0_PfPimiif
                                        ; -- End function
	.section	.AMDGPU.csdata,"",@progbits
; Kernel info:
; codeLenInByte = 2540
; NumSgprs: 26
; NumVgprs: 29
; NumAgprs: 0
; TotalNumVgprs: 29
; ScratchSize: 0
; MemoryBound: 0
; FloatMode: 240
; IeeeMode: 1
; LDSByteSize: 0 bytes/workgroup (compile time only)
; SGPRBlocks: 3
; VGPRBlocks: 3
; NumSGPRsForWavesPerEU: 26
; NumVGPRsForWavesPerEU: 29
; AccumOffset: 32
; Occupancy: 8
; WaveLimiterHint : 0
; COMPUTE_PGM_RSRC2:SCRATCH_EN: 0
; COMPUTE_PGM_RSRC2:USER_SGPR: 6
; COMPUTE_PGM_RSRC2:TRAP_HANDLER: 0
; COMPUTE_PGM_RSRC2:TGID_X_EN: 1
; COMPUTE_PGM_RSRC2:TGID_Y_EN: 0
; COMPUTE_PGM_RSRC2:TGID_Z_EN: 0
; COMPUTE_PGM_RSRC2:TIDIG_COMP_CNT: 0
; COMPUTE_PGM_RSRC3_GFX90A:ACCUM_OFFSET: 7
; COMPUTE_PGM_RSRC3_GFX90A:TG_SPLIT: 0
	.section	.text._ZN5aiter20topk_softplus_kernelIffDv4_fLb1ELi0EEEvPKT_PKT0_PfPimiiif,"axG",@progbits,_ZN5aiter20topk_softplus_kernelIffDv4_fLb1ELi0EEEvPKT_PKT0_PfPimiiif,comdat
	.protected	_ZN5aiter20topk_softplus_kernelIffDv4_fLb1ELi0EEEvPKT_PKT0_PfPimiiif ; -- Begin function _ZN5aiter20topk_softplus_kernelIffDv4_fLb1ELi0EEEvPKT_PKT0_PfPimiiif
	.globl	_ZN5aiter20topk_softplus_kernelIffDv4_fLb1ELi0EEEvPKT_PKT0_PfPimiiif
	.p2align	8
	.type	_ZN5aiter20topk_softplus_kernelIffDv4_fLb1ELi0EEEvPKT_PKT0_PfPimiiif,@function
_ZN5aiter20topk_softplus_kernelIffDv4_fLb1ELi0EEEvPKT_PKT0_PfPimiiif: ; @_ZN5aiter20topk_softplus_kernelIffDv4_fLb1ELi0EEEvPKT_PKT0_PfPimiiif
; %bb.0:
	s_load_dwordx2 s[20:21], s[4:5], 0x28
	s_load_dwordx8 s[12:19], s[4:5], 0x0
	v_lshlrev_b32_e32 v1, 2, v0
	s_waitcnt lgkmcnt(0)
	s_ashr_i32 s0, s20, 31
	s_lshr_b32 s0, s0, 30
	s_add_i32 s0, s20, s0
	s_mul_i32 s22, s6, s20
	s_ashr_i32 s7, s0, 2
	s_ashr_i32 s23, s22, 31
	v_cmp_gt_i32_e64 s[0:1], s7, v0
	s_and_saveexec_b64 s[24:25], s[0:1]
	s_cbranch_execz .LBB29_11
; %bb.1:
	s_load_dword s8, s[4:5], 0x44
	s_cmp_lg_u64 s[14:15], 0
	s_cselect_b64 s[2:3], -1, 0
	v_lshlrev_b32_e32 v2, 4, v0
	v_add_u32_e32 v12, 0, v2
	s_waitcnt lgkmcnt(0)
	s_and_b32 s29, s8, 0xffff
	s_add_u32 s30, s14, 4
	s_addc_u32 s31, s15, 0
	s_add_u32 s33, s14, 8
	s_addc_u32 s34, s15, 0
	;; [unrolled: 2-line block ×3, first 2 shown]
	s_lshl_b64 s[8:9], s[22:23], 2
	s_add_u32 s8, s12, s8
	s_addc_u32 s9, s13, s9
	v_mov_b32_e32 v3, s9
	v_add_co_u32_e32 v6, vcc, s8, v2
	v_cndmask_b32_e64 v2, 0, 1, s[2:3]
	s_mov_b64 s[26:27], 0
	s_mov_b32 s28, 0
	v_addc_co_u32_e32 v7, vcc, 0, v3, vcc
	s_lshl_b32 s37, s29, 4
	v_lshlrev_b32_e32 v8, 2, v0
	s_lshl_b32 s38, s29, 2
	v_mov_b32_e32 v9, 0
	s_mov_b32 s39, 0x41a00000
	s_mov_b32 s40, 0xc2fc0000
	v_mov_b32_e32 v13, 0x1f800000
	v_mov_b32_e32 v14, 0x42800000
	s_mov_b32 s41, 0x800000
	v_mov_b32_e32 v15, 0x4f800000
	v_mov_b32_e32 v16, 0x42000000
	s_mov_b32 s42, 0xf800000
	v_mov_b32_e32 v17, 0x260
	v_cmp_ne_u32_e64 s[2:3], 1, v2
	v_mov_b32_e32 v18, v0
	s_branch .LBB29_3
.LBB29_2:                               ;   in Loop: Header=BB29_3 Depth=1
	ds_write_b128 v12, v[2:5]
	v_mov_b32_e32 v2, s28
	v_add_co_u32_e32 v6, vcc, s37, v6
	v_add_u32_e32 v18, s29, v18
	v_addc_co_u32_e32 v7, vcc, v7, v2, vcc
	v_cmp_le_i32_e32 vcc, s7, v18
	v_add_u32_e32 v8, s38, v8
	s_or_b64 s[26:27], vcc, s[26:27]
	v_add_u32_e32 v12, s37, v12
	s_andn2_b64 exec, exec, s[26:27]
	s_cbranch_execz .LBB29_11
.LBB29_3:                               ; =>This Inner Loop Header: Depth=1
	global_load_dwordx4 v[2:5], v[6:7], off
	s_waitcnt vmcnt(0)
	v_mul_f32_e32 v10, 0x3fb8aa3b, v2
	v_cmp_gt_f32_e32 vcc, s40, v10
	v_cndmask_b32_e32 v11, 0, v14, vcc
	v_fmac_f32_e32 v11, 0x3fb8aa3b, v2
	v_exp_f32_e32 v11, v11
	v_cndmask_b32_e32 v10, 1.0, v13, vcc
	v_fma_f32 v10, v11, v10, 1.0
	v_cmp_gt_f32_e32 vcc, s41, v10
	v_cndmask_b32_e32 v11, 1.0, v15, vcc
	v_mul_f32_e32 v10, v10, v11
	v_log_f32_e32 v10, v10
	v_cndmask_b32_e32 v11, 0, v16, vcc
	v_cmp_lt_f32_e32 vcc, s39, v2
	v_sub_f32_e32 v10, v10, v11
	v_mul_f32_e32 v10, 0x3f317218, v10
	v_cndmask_b32_e32 v2, v10, v2, vcc
	v_mul_f32_e32 v10, 0x4f800000, v2
	v_cmp_gt_f32_e64 s[8:9], s42, v2
	v_cndmask_b32_e64 v2, v2, v10, s[8:9]
	v_sqrt_f32_e32 v10, v2
	s_and_b64 vcc, exec, s[2:3]
	v_add_u32_e32 v11, -1, v10
	v_add_u32_e32 v19, 1, v10
	v_fma_f32 v20, -v11, v10, v2
	v_fma_f32 v21, -v19, v10, v2
	v_cmp_ge_f32_e64 s[10:11], 0, v20
	v_cndmask_b32_e64 v10, v10, v11, s[10:11]
	v_cmp_lt_f32_e64 s[10:11], 0, v21
	v_cndmask_b32_e64 v10, v10, v19, s[10:11]
	v_mul_f32_e32 v11, 0x37800000, v10
	v_cndmask_b32_e64 v10, v10, v11, s[8:9]
	v_cmp_class_f32_e64 s[8:9], v2, v17
	v_cndmask_b32_e64 v2, v10, v2, s[8:9]
	v_lshlrev_b64 v[10:11], 2, v[8:9]
	s_cbranch_vccnz .LBB29_5
; %bb.4:                                ;   in Loop: Header=BB29_3 Depth=1
	v_mov_b32_e32 v19, s15
	v_add_co_u32_e32 v20, vcc, s14, v10
	v_addc_co_u32_e32 v21, vcc, v19, v11, vcc
	global_load_dword v19, v[20:21], off
	s_waitcnt vmcnt(0)
	v_add_f32_e32 v2, v2, v19
.LBB29_5:                               ;   in Loop: Header=BB29_3 Depth=1
	v_mul_f32_e32 v19, 0x3fb8aa3b, v3
	v_cmp_gt_f32_e32 vcc, s40, v19
	v_cndmask_b32_e32 v20, 0, v14, vcc
	v_fmac_f32_e32 v20, 0x3fb8aa3b, v3
	v_exp_f32_e32 v20, v20
	v_cndmask_b32_e32 v19, 1.0, v13, vcc
	v_fma_f32 v19, v20, v19, 1.0
	v_cmp_gt_f32_e32 vcc, s41, v19
	v_cndmask_b32_e32 v20, 1.0, v15, vcc
	v_mul_f32_e32 v19, v19, v20
	v_log_f32_e32 v19, v19
	v_cndmask_b32_e32 v20, 0, v16, vcc
	v_cmp_lt_f32_e32 vcc, s39, v3
	v_sub_f32_e32 v19, v19, v20
	v_mul_f32_e32 v19, 0x3f317218, v19
	v_cndmask_b32_e32 v3, v19, v3, vcc
	v_mul_f32_e32 v19, 0x4f800000, v3
	v_cmp_gt_f32_e32 vcc, s42, v3
	v_cndmask_b32_e32 v3, v3, v19, vcc
	v_sqrt_f32_e32 v19, v3
	v_add_u32_e32 v20, -1, v19
	v_add_u32_e32 v21, 1, v19
	v_fma_f32 v22, -v20, v19, v3
	v_fma_f32 v23, -v21, v19, v3
	v_cmp_ge_f32_e64 s[8:9], 0, v22
	v_cndmask_b32_e64 v19, v19, v20, s[8:9]
	v_cmp_lt_f32_e64 s[8:9], 0, v23
	v_cndmask_b32_e64 v19, v19, v21, s[8:9]
	v_mul_f32_e32 v20, 0x37800000, v19
	v_cndmask_b32_e32 v19, v19, v20, vcc
	v_cmp_class_f32_e64 s[8:9], v3, v17
	s_and_b64 vcc, exec, s[2:3]
	v_cndmask_b32_e64 v3, v19, v3, s[8:9]
	s_cbranch_vccnz .LBB29_7
; %bb.6:                                ;   in Loop: Header=BB29_3 Depth=1
	v_mov_b32_e32 v19, s31
	v_add_co_u32_e32 v20, vcc, s30, v10
	v_addc_co_u32_e32 v21, vcc, v19, v11, vcc
	global_load_dword v19, v[20:21], off
	s_waitcnt vmcnt(0)
	v_add_f32_e32 v3, v3, v19
.LBB29_7:                               ;   in Loop: Header=BB29_3 Depth=1
	v_mul_f32_e32 v19, 0x3fb8aa3b, v4
	v_cmp_gt_f32_e32 vcc, s40, v19
	v_cndmask_b32_e32 v20, 0, v14, vcc
	v_fmac_f32_e32 v20, 0x3fb8aa3b, v4
	v_exp_f32_e32 v20, v20
	v_cndmask_b32_e32 v19, 1.0, v13, vcc
	v_fma_f32 v19, v20, v19, 1.0
	v_cmp_gt_f32_e32 vcc, s41, v19
	v_cndmask_b32_e32 v20, 1.0, v15, vcc
	v_mul_f32_e32 v19, v19, v20
	v_log_f32_e32 v19, v19
	v_cndmask_b32_e32 v20, 0, v16, vcc
	v_cmp_lt_f32_e32 vcc, s39, v4
	v_sub_f32_e32 v19, v19, v20
	v_mul_f32_e32 v19, 0x3f317218, v19
	v_cndmask_b32_e32 v4, v19, v4, vcc
	v_mul_f32_e32 v19, 0x4f800000, v4
	v_cmp_gt_f32_e32 vcc, s42, v4
	v_cndmask_b32_e32 v4, v4, v19, vcc
	v_sqrt_f32_e32 v19, v4
	v_add_u32_e32 v20, -1, v19
	v_add_u32_e32 v21, 1, v19
	v_fma_f32 v22, -v20, v19, v4
	v_fma_f32 v23, -v21, v19, v4
	v_cmp_ge_f32_e64 s[8:9], 0, v22
	v_cndmask_b32_e64 v19, v19, v20, s[8:9]
	v_cmp_lt_f32_e64 s[8:9], 0, v23
	v_cndmask_b32_e64 v19, v19, v21, s[8:9]
	v_mul_f32_e32 v20, 0x37800000, v19
	v_cndmask_b32_e32 v19, v19, v20, vcc
	v_cmp_class_f32_e64 s[8:9], v4, v17
	s_and_b64 vcc, exec, s[2:3]
	v_cndmask_b32_e64 v4, v19, v4, s[8:9]
	;; [unrolled: 42-line block ×3, first 2 shown]
	s_cbranch_vccnz .LBB29_2
; %bb.10:                               ;   in Loop: Header=BB29_3 Depth=1
	v_mov_b32_e32 v19, s36
	v_add_co_u32_e32 v10, vcc, s35, v10
	v_addc_co_u32_e32 v11, vcc, v19, v11, vcc
	global_load_dword v10, v[10:11], off
	s_waitcnt vmcnt(0)
	v_add_f32_e32 v5, v5, v10
	s_branch .LBB29_2
.LBB29_11:
	s_or_b64 exec, exec, s[24:25]
	v_lshl_add_u32 v2, s7, 2, v0
	v_cmp_gt_i32_e32 vcc, s20, v2
	s_and_saveexec_b64 s[10:11], vcc
	s_cbranch_execz .LBB29_16
; %bb.12:
	s_load_dword s8, s[4:5], 0x44
	s_lshl_b64 s[2:3], s[22:23], 2
	s_add_u32 s22, s12, s2
	s_addc_u32 s9, s13, s3
	s_cmp_lg_u64 s[14:15], 0
	s_cselect_b64 s[2:3], -1, 0
	s_waitcnt lgkmcnt(0)
	s_and_b32 s23, s8, 0xffff
	s_lshl_b32 s8, s7, 4
	s_add_i32 s8, s8, 0
	v_cndmask_b32_e64 v3, 0, 1, s[2:3]
	s_mov_b64 s[12:13], 0
	v_lshl_add_u32 v6, v0, 2, s8
	s_lshl_b32 s24, s23, 2
	v_mov_b32_e32 v7, s9
	s_mov_b32 s25, 0x41a00000
	s_mov_b32 s26, 0xc2fc0000
	v_mov_b32_e32 v8, 0x42800000
	v_mov_b32_e32 v9, 0x1f800000
	s_mov_b32 s27, 0x800000
	v_mov_b32_e32 v10, 0x4f800000
	v_mov_b32_e32 v11, 0x42000000
	s_mov_b32 s28, 0xf800000
	v_mov_b32_e32 v12, 0x260
	v_cmp_ne_u32_e64 s[2:3], 1, v3
	s_branch .LBB29_14
.LBB29_13:                              ;   in Loop: Header=BB29_14 Depth=1
	v_add_u32_e32 v2, s23, v2
	v_cmp_le_i32_e32 vcc, s20, v2
	s_or_b64 s[12:13], vcc, s[12:13]
	v_add_u32_e32 v6, s24, v6
	s_andn2_b64 exec, exec, s[12:13]
	s_cbranch_execz .LBB29_16
.LBB29_14:                              ; =>This Inner Loop Header: Depth=1
	v_ashrrev_i32_e32 v3, 31, v2
	v_lshlrev_b64 v[4:5], 2, v[2:3]
	v_add_co_u32_e32 v14, vcc, s22, v4
	v_addc_co_u32_e32 v15, vcc, v7, v5, vcc
	global_load_dword v3, v[14:15], off
	s_waitcnt vmcnt(0)
	v_mul_f32_e32 v13, 0x3fb8aa3b, v3
	v_cmp_gt_f32_e32 vcc, s26, v13
	v_cndmask_b32_e32 v13, 0, v8, vcc
	v_fmac_f32_e32 v13, 0x3fb8aa3b, v3
	v_exp_f32_e32 v13, v13
	v_cndmask_b32_e32 v14, 1.0, v9, vcc
	v_fma_f32 v13, v13, v14, 1.0
	v_cmp_gt_f32_e32 vcc, s27, v13
	v_cndmask_b32_e32 v14, 1.0, v10, vcc
	v_mul_f32_e32 v13, v13, v14
	v_log_f32_e32 v13, v13
	v_cndmask_b32_e32 v14, 0, v11, vcc
	v_cmp_lt_f32_e32 vcc, s25, v3
	v_sub_f32_e32 v13, v13, v14
	v_mul_f32_e32 v13, 0x3f317218, v13
	v_cndmask_b32_e32 v3, v13, v3, vcc
	v_mul_f32_e32 v13, 0x4f800000, v3
	v_cmp_gt_f32_e32 vcc, s28, v3
	v_cndmask_b32_e32 v3, v3, v13, vcc
	v_sqrt_f32_e32 v13, v3
	v_add_u32_e32 v14, -1, v13
	v_add_u32_e32 v15, 1, v13
	v_fma_f32 v16, -v14, v13, v3
	v_fma_f32 v17, -v15, v13, v3
	v_cmp_ge_f32_e64 s[8:9], 0, v16
	v_cndmask_b32_e64 v13, v13, v14, s[8:9]
	v_cmp_lt_f32_e64 s[8:9], 0, v17
	v_cndmask_b32_e64 v13, v13, v15, s[8:9]
	v_mul_f32_e32 v14, 0x37800000, v13
	v_cndmask_b32_e32 v13, v13, v14, vcc
	v_cmp_class_f32_e32 vcc, v3, v12
	v_cndmask_b32_e32 v3, v13, v3, vcc
	s_and_b64 vcc, exec, s[2:3]
	ds_write_b32 v6, v3
	s_cbranch_vccnz .LBB29_13
; %bb.15:                               ;   in Loop: Header=BB29_14 Depth=1
	v_mov_b32_e32 v13, s15
	v_add_co_u32_e32 v4, vcc, s14, v4
	v_addc_co_u32_e32 v5, vcc, v13, v5, vcc
	global_load_dword v4, v[4:5], off
	s_waitcnt vmcnt(0)
	v_add_f32_e32 v3, v3, v4
	ds_write_b32 v6, v3
	s_branch .LBB29_13
.LBB29_16:
	s_or_b64 exec, exec, s[10:11]
	s_cmp_lt_i32 s21, 1
	v_mov_b32_e32 v3, 0
	s_waitcnt lgkmcnt(0)
	s_barrier
	s_cbranch_scc1 .LBB29_25
; %bb.17:
	s_add_u32 s2, s4, 56
	s_addc_u32 s3, s5, 0
	v_mbcnt_lo_u32_b32 v2, -1, 0
	s_cmp_lg_u64 s[14:15], 0
	v_mbcnt_hi_u32_b32 v2, -1, v2
	v_bfrev_b32_e32 v4, 0.5
	s_cselect_b64 s[8:9], -1, 0
	v_lshl_add_u32 v5, v0, 4, 0
	s_mov_b32 s20, 0
	v_mov_b32_e32 v3, 0
	v_lshl_or_b32 v6, v2, 2, v4
	v_mov_b32_e32 v7, 0xff800000
	v_mov_b32_e32 v2, 0
	;; [unrolled: 1-line block ×3, first 2 shown]
	s_branch .LBB29_19
.LBB29_18:                              ;   in Loop: Header=BB29_19 Depth=1
	s_lshl_b32 s11, s10, 2
	s_add_i32 s11, s11, 0
	v_mov_b32_e32 v8, s11
	ds_write_b32 v8, v7
	v_mov_b32_e32 v8, s10
	v_cmp_eq_u32_e32 vcc, s20, v0
	s_add_i32 s20, s20, 1
	v_cndmask_b32_e32 v2, v2, v8, vcc
	v_cndmask_b32_e32 v3, v3, v10, vcc
	s_cmp_eq_u32 s20, s21
	v_add_f32_e32 v4, v4, v10
	s_cbranch_scc1 .LBB29_26
.LBB29_19:                              ; =>This Loop Header: Depth=1
                                        ;     Child Loop BB29_21 Depth 2
	v_mov_b32_e32 v8, s20
	v_mov_b32_e32 v9, 0xff800000
	s_and_saveexec_b64 s[10:11], s[0:1]
	s_cbranch_execz .LBB29_23
; %bb.20:                               ;   in Loop: Header=BB29_19 Depth=1
	s_load_dword s22, s[2:3], 0xc
	s_mov_b64 s[12:13], 0
	v_mov_b32_e32 v8, s20
	v_mov_b32_e32 v9, 0xff800000
	;; [unrolled: 1-line block ×3, first 2 shown]
	s_waitcnt lgkmcnt(0)
	s_and_b32 s22, s22, 0xffff
	s_lshl_b32 s23, s22, 2
	s_lshl_b32 s24, s22, 4
	v_mov_b32_e32 v11, v1
	v_mov_b32_e32 v12, v0
.LBB29_21:                              ;   Parent Loop BB29_19 Depth=1
                                        ; =>  This Inner Loop Header: Depth=2
	ds_read_b128 v[14:17], v10
	v_add_u32_e32 v12, s22, v12
	v_cmp_le_i32_e32 vcc, s7, v12
	s_or_b64 s[12:13], vcc, s[12:13]
	v_add_u32_e32 v13, 1, v11
	s_waitcnt lgkmcnt(0)
	v_cmp_gt_f32_e32 vcc, v14, v9
	v_cndmask_b32_e32 v9, v9, v14, vcc
	v_cndmask_b32_e32 v8, v8, v11, vcc
	v_cmp_gt_f32_e32 vcc, v15, v9
	v_cndmask_b32_e32 v9, v9, v15, vcc
	v_cndmask_b32_e32 v8, v8, v13, vcc
	v_cmp_gt_f32_e32 vcc, v16, v9
	v_add_u32_e32 v18, 2, v11
	v_cndmask_b32_e32 v9, v9, v16, vcc
	v_add_u32_e32 v19, 3, v11
	v_cndmask_b32_e32 v8, v8, v18, vcc
	v_cmp_gt_f32_e32 vcc, v17, v9
	v_add_u32_e32 v10, s24, v10
	v_add_u32_e32 v11, s23, v11
	v_cndmask_b32_e32 v9, v9, v17, vcc
	v_cndmask_b32_e32 v8, v8, v19, vcc
	s_andn2_b64 exec, exec, s[12:13]
	s_cbranch_execnz .LBB29_21
; %bb.22:                               ;   in Loop: Header=BB29_19 Depth=1
	s_or_b64 exec, exec, s[12:13]
.LBB29_23:                              ;   in Loop: Header=BB29_19 Depth=1
	s_or_b64 exec, exec, s[10:11]
	;;#ASMSTART
	v_max_f32 v10, v9, v9 quad_perm:[1,0,3,2] row_mask:0xf bank_mask:0xf bound_ctrl:1
	;;#ASMEND
	;;#ASMSTART
	v_max_f32 v11, v10, v10 quad_perm:[2,3,0,1] row_mask:0xf bank_mask:0xf bound_ctrl:1
	;;#ASMEND
	;;#ASMSTART
	v_max_f32 v10, v11, v11 row_half_mirror row_mask:0xf bank_mask:0xf bound_ctrl:1
	;;#ASMEND
	;;#ASMSTART
	v_max_f32 v11, v10, v10 row_mirror row_mask:0xf bank_mask:0xf bound_ctrl:1
	;;#ASMEND
	;;#ASMSTART
	v_max_f32 v10, v11, v11 row_ror:4 row_mask:0xf bank_mask:0xf bound_ctrl:1
	;;#ASMEND
	;;#ASMSTART
	v_max_f32 v11, v10, v10 row_ror:8 row_mask:0xf bank_mask:0xf bound_ctrl:1
	;;#ASMEND
	;;#ASMSTART
	v_max_f32 v10, v11, v11 row_bcast:15 row_mask:0xf bank_mask:0xf bound_ctrl:1
	;;#ASMEND
	;;#ASMSTART
	v_max_f32 v11, v10, v10 row_bcast:31 row_mask:0xf bank_mask:0xf bound_ctrl:1
	;;#ASMEND
	ds_bpermute_b32 v10, v6, v11
	s_waitcnt lgkmcnt(0)
	v_cmp_eq_f32_e32 vcc, v9, v10
	s_ff1_i32_b64 s10, vcc
	s_cmp_lg_u64 vcc, 0
	s_cselect_b32 s10, s10, 0
	s_and_b64 vcc, exec, s[8:9]
	v_readlane_b32 s10, v8, s10
	s_cbranch_vccz .LBB29_18
; %bb.24:                               ;   in Loop: Header=BB29_19 Depth=1
	s_ashr_i32 s11, s10, 31
	s_lshl_b64 s[12:13], s[10:11], 2
	s_add_u32 s12, s14, s12
	s_addc_u32 s13, s15, s13
	s_load_dword s11, s[12:13], 0x0
	s_waitcnt lgkmcnt(0)
	v_subrev_f32_e32 v10, s11, v10
	s_branch .LBB29_18
.LBB29_25:
	v_mov_b32_e32 v2, 0
	v_mov_b32_e32 v4, 0
.LBB29_26:
	v_cmp_gt_i32_e32 vcc, s21, v0
	s_and_saveexec_b64 s[0:1], vcc
	s_cbranch_execz .LBB29_29
; %bb.27:
	s_load_dword s2, s[4:5], 0x34
	v_max_f32_e32 v1, v4, v4
	v_max_f32_e32 v1, 0x1e3ce508, v1
	s_load_dword s3, s[4:5], 0x44
	s_waitcnt lgkmcnt(0)
	v_div_scale_f32 v4, s[0:1], v1, v1, s2
	s_load_dwordx2 s[0:1], s[4:5], 0x20
	v_rcp_f32_e32 v5, v4
	v_div_scale_f32 v6, vcc, s2, v1, s2
	s_and_b32 s3, s3, 0xffff
	v_fma_f32 v7, -v4, v5, 1.0
	v_fmac_f32_e32 v5, v7, v5
	v_mul_f32_e32 v7, v6, v5
	v_fma_f32 v8, -v4, v7, v6
	v_fmac_f32_e32 v7, v8, v5
	v_fma_f32 v4, -v4, v7, v6
	v_div_fmas_f32 v4, v4, v5, v7
	v_div_fixup_f32 v1, v4, v1, s2
	s_ashr_i32 s2, s6, 31
	s_waitcnt lgkmcnt(0)
	s_mul_i32 s1, s6, s1
	s_mul_hi_u32 s4, s6, s0
	s_add_i32 s1, s4, s1
	s_mul_i32 s2, s2, s0
	s_add_i32 s4, s1, s2
	v_mul_f32_e32 v1, v3, v1
	s_mul_i32 s2, s6, s0
	s_mov_b64 s[0:1], 0
	v_mov_b32_e32 v3, s4
	v_mov_b32_e32 v4, s17
	;; [unrolled: 1-line block ×3, first 2 shown]
.LBB29_28:                              ; =>This Inner Loop Header: Depth=1
	v_ashrrev_i32_e32 v7, 31, v0
	v_add_co_u32_e32 v6, vcc, s2, v0
	v_addc_co_u32_e32 v7, vcc, v3, v7, vcc
	v_add_u32_e32 v0, s3, v0
	v_cmp_le_i32_e32 vcc, s21, v0
	v_lshlrev_b64 v[6:7], 2, v[6:7]
	s_or_b64 s[0:1], vcc, s[0:1]
	v_add_co_u32_e32 v8, vcc, s16, v6
	v_addc_co_u32_e32 v9, vcc, v4, v7, vcc
	v_add_co_u32_e32 v6, vcc, s18, v6
	v_addc_co_u32_e32 v7, vcc, v5, v7, vcc
	global_store_dword v[8:9], v1, off
	global_store_dword v[6:7], v2, off
	s_andn2_b64 exec, exec, s[0:1]
	s_cbranch_execnz .LBB29_28
.LBB29_29:
	s_endpgm
	.section	.rodata,"a",@progbits
	.p2align	6, 0x0
	.amdhsa_kernel _ZN5aiter20topk_softplus_kernelIffDv4_fLb1ELi0EEEvPKT_PKT0_PfPimiiif
		.amdhsa_group_segment_fixed_size 0
		.amdhsa_private_segment_fixed_size 0
		.amdhsa_kernarg_size 312
		.amdhsa_user_sgpr_count 6
		.amdhsa_user_sgpr_private_segment_buffer 1
		.amdhsa_user_sgpr_dispatch_ptr 0
		.amdhsa_user_sgpr_queue_ptr 0
		.amdhsa_user_sgpr_kernarg_segment_ptr 1
		.amdhsa_user_sgpr_dispatch_id 0
		.amdhsa_user_sgpr_flat_scratch_init 0
		.amdhsa_user_sgpr_kernarg_preload_length 0
		.amdhsa_user_sgpr_kernarg_preload_offset 0
		.amdhsa_user_sgpr_private_segment_size 0
		.amdhsa_uses_dynamic_stack 0
		.amdhsa_system_sgpr_private_segment_wavefront_offset 0
		.amdhsa_system_sgpr_workgroup_id_x 1
		.amdhsa_system_sgpr_workgroup_id_y 0
		.amdhsa_system_sgpr_workgroup_id_z 0
		.amdhsa_system_sgpr_workgroup_info 0
		.amdhsa_system_vgpr_workitem_id 0
		.amdhsa_next_free_vgpr 24
		.amdhsa_next_free_sgpr 43
		.amdhsa_accum_offset 24
		.amdhsa_reserve_vcc 1
		.amdhsa_reserve_flat_scratch 0
		.amdhsa_float_round_mode_32 0
		.amdhsa_float_round_mode_16_64 0
		.amdhsa_float_denorm_mode_32 3
		.amdhsa_float_denorm_mode_16_64 3
		.amdhsa_dx10_clamp 1
		.amdhsa_ieee_mode 1
		.amdhsa_fp16_overflow 0
		.amdhsa_tg_split 0
		.amdhsa_exception_fp_ieee_invalid_op 0
		.amdhsa_exception_fp_denorm_src 0
		.amdhsa_exception_fp_ieee_div_zero 0
		.amdhsa_exception_fp_ieee_overflow 0
		.amdhsa_exception_fp_ieee_underflow 0
		.amdhsa_exception_fp_ieee_inexact 0
		.amdhsa_exception_int_div_zero 0
	.end_amdhsa_kernel
	.section	.text._ZN5aiter20topk_softplus_kernelIffDv4_fLb1ELi0EEEvPKT_PKT0_PfPimiiif,"axG",@progbits,_ZN5aiter20topk_softplus_kernelIffDv4_fLb1ELi0EEEvPKT_PKT0_PfPimiiif,comdat
.Lfunc_end29:
	.size	_ZN5aiter20topk_softplus_kernelIffDv4_fLb1ELi0EEEvPKT_PKT0_PfPimiiif, .Lfunc_end29-_ZN5aiter20topk_softplus_kernelIffDv4_fLb1ELi0EEEvPKT_PKT0_PfPimiiif
                                        ; -- End function
	.section	.AMDGPU.csdata,"",@progbits
; Kernel info:
; codeLenInByte = 2456
; NumSgprs: 47
; NumVgprs: 24
; NumAgprs: 0
; TotalNumVgprs: 24
; ScratchSize: 0
; MemoryBound: 0
; FloatMode: 240
; IeeeMode: 1
; LDSByteSize: 0 bytes/workgroup (compile time only)
; SGPRBlocks: 5
; VGPRBlocks: 2
; NumSGPRsForWavesPerEU: 47
; NumVGPRsForWavesPerEU: 24
; AccumOffset: 24
; Occupancy: 8
; WaveLimiterHint : 0
; COMPUTE_PGM_RSRC2:SCRATCH_EN: 0
; COMPUTE_PGM_RSRC2:USER_SGPR: 6
; COMPUTE_PGM_RSRC2:TRAP_HANDLER: 0
; COMPUTE_PGM_RSRC2:TGID_X_EN: 1
; COMPUTE_PGM_RSRC2:TGID_Y_EN: 0
; COMPUTE_PGM_RSRC2:TGID_Z_EN: 0
; COMPUTE_PGM_RSRC2:TIDIG_COMP_CNT: 0
; COMPUTE_PGM_RSRC3_GFX90A:ACCUM_OFFSET: 5
; COMPUTE_PGM_RSRC3_GFX90A:TG_SPLIT: 0
	.section	.text._ZN5aiter20topk_softplus_kernelIffDv4_fLb0ELi0EEEvPKT_PKT0_PfPimiiif,"axG",@progbits,_ZN5aiter20topk_softplus_kernelIffDv4_fLb0ELi0EEEvPKT_PKT0_PfPimiiif,comdat
	.protected	_ZN5aiter20topk_softplus_kernelIffDv4_fLb0ELi0EEEvPKT_PKT0_PfPimiiif ; -- Begin function _ZN5aiter20topk_softplus_kernelIffDv4_fLb0ELi0EEEvPKT_PKT0_PfPimiiif
	.globl	_ZN5aiter20topk_softplus_kernelIffDv4_fLb0ELi0EEEvPKT_PKT0_PfPimiiif
	.p2align	8
	.type	_ZN5aiter20topk_softplus_kernelIffDv4_fLb0ELi0EEEvPKT_PKT0_PfPimiiif,@function
_ZN5aiter20topk_softplus_kernelIffDv4_fLb0ELi0EEEvPKT_PKT0_PfPimiiif: ; @_ZN5aiter20topk_softplus_kernelIffDv4_fLb0ELi0EEEvPKT_PKT0_PfPimiiif
; %bb.0:
	s_load_dwordx2 s[20:21], s[4:5], 0x28
	s_load_dwordx8 s[12:19], s[4:5], 0x0
	v_lshlrev_b32_e32 v1, 2, v0
	s_waitcnt lgkmcnt(0)
	s_ashr_i32 s0, s20, 31
	s_lshr_b32 s0, s0, 30
	s_add_i32 s0, s20, s0
	s_mul_i32 s22, s6, s20
	s_ashr_i32 s7, s0, 2
	s_ashr_i32 s23, s22, 31
	v_cmp_gt_i32_e64 s[0:1], s7, v0
	s_and_saveexec_b64 s[24:25], s[0:1]
	s_cbranch_execz .LBB30_11
; %bb.1:
	s_load_dword s8, s[4:5], 0x44
	s_cmp_lg_u64 s[14:15], 0
	s_cselect_b64 s[2:3], -1, 0
	v_lshlrev_b32_e32 v2, 4, v0
	v_add_u32_e32 v12, 0, v2
	s_waitcnt lgkmcnt(0)
	s_and_b32 s29, s8, 0xffff
	s_add_u32 s30, s14, 4
	s_addc_u32 s31, s15, 0
	s_add_u32 s33, s14, 8
	s_addc_u32 s34, s15, 0
	;; [unrolled: 2-line block ×3, first 2 shown]
	s_lshl_b64 s[8:9], s[22:23], 2
	s_add_u32 s8, s12, s8
	s_addc_u32 s9, s13, s9
	v_mov_b32_e32 v3, s9
	v_add_co_u32_e32 v6, vcc, s8, v2
	v_cndmask_b32_e64 v2, 0, 1, s[2:3]
	s_mov_b64 s[26:27], 0
	s_mov_b32 s28, 0
	v_addc_co_u32_e32 v7, vcc, 0, v3, vcc
	s_lshl_b32 s37, s29, 4
	v_lshlrev_b32_e32 v8, 2, v0
	s_lshl_b32 s38, s29, 2
	v_mov_b32_e32 v9, 0
	s_mov_b32 s39, 0x41a00000
	s_mov_b32 s40, 0xc2fc0000
	v_mov_b32_e32 v13, 0x1f800000
	v_mov_b32_e32 v14, 0x42800000
	s_mov_b32 s41, 0x800000
	v_mov_b32_e32 v15, 0x4f800000
	v_mov_b32_e32 v16, 0x42000000
	s_mov_b32 s42, 0xf800000
	v_mov_b32_e32 v17, 0x260
	v_cmp_ne_u32_e64 s[2:3], 1, v2
	v_mov_b32_e32 v18, v0
	s_branch .LBB30_3
.LBB30_2:                               ;   in Loop: Header=BB30_3 Depth=1
	ds_write_b128 v12, v[2:5]
	v_mov_b32_e32 v2, s28
	v_add_co_u32_e32 v6, vcc, s37, v6
	v_add_u32_e32 v18, s29, v18
	v_addc_co_u32_e32 v7, vcc, v7, v2, vcc
	v_cmp_le_i32_e32 vcc, s7, v18
	v_add_u32_e32 v8, s38, v8
	s_or_b64 s[26:27], vcc, s[26:27]
	v_add_u32_e32 v12, s37, v12
	s_andn2_b64 exec, exec, s[26:27]
	s_cbranch_execz .LBB30_11
.LBB30_3:                               ; =>This Inner Loop Header: Depth=1
	global_load_dwordx4 v[2:5], v[6:7], off
	s_waitcnt vmcnt(0)
	v_mul_f32_e32 v10, 0x3fb8aa3b, v2
	v_cmp_gt_f32_e32 vcc, s40, v10
	v_cndmask_b32_e32 v11, 0, v14, vcc
	v_fmac_f32_e32 v11, 0x3fb8aa3b, v2
	v_exp_f32_e32 v11, v11
	v_cndmask_b32_e32 v10, 1.0, v13, vcc
	v_fma_f32 v10, v11, v10, 1.0
	v_cmp_gt_f32_e32 vcc, s41, v10
	v_cndmask_b32_e32 v11, 1.0, v15, vcc
	v_mul_f32_e32 v10, v10, v11
	v_log_f32_e32 v10, v10
	v_cndmask_b32_e32 v11, 0, v16, vcc
	v_cmp_lt_f32_e32 vcc, s39, v2
	v_sub_f32_e32 v10, v10, v11
	v_mul_f32_e32 v10, 0x3f317218, v10
	v_cndmask_b32_e32 v2, v10, v2, vcc
	v_mul_f32_e32 v10, 0x4f800000, v2
	v_cmp_gt_f32_e64 s[8:9], s42, v2
	v_cndmask_b32_e64 v2, v2, v10, s[8:9]
	v_sqrt_f32_e32 v10, v2
	s_and_b64 vcc, exec, s[2:3]
	v_add_u32_e32 v11, -1, v10
	v_add_u32_e32 v19, 1, v10
	v_fma_f32 v20, -v11, v10, v2
	v_fma_f32 v21, -v19, v10, v2
	v_cmp_ge_f32_e64 s[10:11], 0, v20
	v_cndmask_b32_e64 v10, v10, v11, s[10:11]
	v_cmp_lt_f32_e64 s[10:11], 0, v21
	v_cndmask_b32_e64 v10, v10, v19, s[10:11]
	v_mul_f32_e32 v11, 0x37800000, v10
	v_cndmask_b32_e64 v10, v10, v11, s[8:9]
	v_cmp_class_f32_e64 s[8:9], v2, v17
	v_cndmask_b32_e64 v2, v10, v2, s[8:9]
	v_lshlrev_b64 v[10:11], 2, v[8:9]
	s_cbranch_vccnz .LBB30_5
; %bb.4:                                ;   in Loop: Header=BB30_3 Depth=1
	v_mov_b32_e32 v19, s15
	v_add_co_u32_e32 v20, vcc, s14, v10
	v_addc_co_u32_e32 v21, vcc, v19, v11, vcc
	global_load_dword v19, v[20:21], off
	s_waitcnt vmcnt(0)
	v_add_f32_e32 v2, v2, v19
.LBB30_5:                               ;   in Loop: Header=BB30_3 Depth=1
	v_mul_f32_e32 v19, 0x3fb8aa3b, v3
	v_cmp_gt_f32_e32 vcc, s40, v19
	v_cndmask_b32_e32 v20, 0, v14, vcc
	v_fmac_f32_e32 v20, 0x3fb8aa3b, v3
	v_exp_f32_e32 v20, v20
	v_cndmask_b32_e32 v19, 1.0, v13, vcc
	v_fma_f32 v19, v20, v19, 1.0
	v_cmp_gt_f32_e32 vcc, s41, v19
	v_cndmask_b32_e32 v20, 1.0, v15, vcc
	v_mul_f32_e32 v19, v19, v20
	v_log_f32_e32 v19, v19
	v_cndmask_b32_e32 v20, 0, v16, vcc
	v_cmp_lt_f32_e32 vcc, s39, v3
	v_sub_f32_e32 v19, v19, v20
	v_mul_f32_e32 v19, 0x3f317218, v19
	v_cndmask_b32_e32 v3, v19, v3, vcc
	v_mul_f32_e32 v19, 0x4f800000, v3
	v_cmp_gt_f32_e32 vcc, s42, v3
	v_cndmask_b32_e32 v3, v3, v19, vcc
	v_sqrt_f32_e32 v19, v3
	v_add_u32_e32 v20, -1, v19
	v_add_u32_e32 v21, 1, v19
	v_fma_f32 v22, -v20, v19, v3
	v_fma_f32 v23, -v21, v19, v3
	v_cmp_ge_f32_e64 s[8:9], 0, v22
	v_cndmask_b32_e64 v19, v19, v20, s[8:9]
	v_cmp_lt_f32_e64 s[8:9], 0, v23
	v_cndmask_b32_e64 v19, v19, v21, s[8:9]
	v_mul_f32_e32 v20, 0x37800000, v19
	v_cndmask_b32_e32 v19, v19, v20, vcc
	v_cmp_class_f32_e64 s[8:9], v3, v17
	s_and_b64 vcc, exec, s[2:3]
	v_cndmask_b32_e64 v3, v19, v3, s[8:9]
	s_cbranch_vccnz .LBB30_7
; %bb.6:                                ;   in Loop: Header=BB30_3 Depth=1
	v_mov_b32_e32 v19, s31
	v_add_co_u32_e32 v20, vcc, s30, v10
	v_addc_co_u32_e32 v21, vcc, v19, v11, vcc
	global_load_dword v19, v[20:21], off
	s_waitcnt vmcnt(0)
	v_add_f32_e32 v3, v3, v19
.LBB30_7:                               ;   in Loop: Header=BB30_3 Depth=1
	v_mul_f32_e32 v19, 0x3fb8aa3b, v4
	v_cmp_gt_f32_e32 vcc, s40, v19
	v_cndmask_b32_e32 v20, 0, v14, vcc
	v_fmac_f32_e32 v20, 0x3fb8aa3b, v4
	v_exp_f32_e32 v20, v20
	v_cndmask_b32_e32 v19, 1.0, v13, vcc
	v_fma_f32 v19, v20, v19, 1.0
	v_cmp_gt_f32_e32 vcc, s41, v19
	v_cndmask_b32_e32 v20, 1.0, v15, vcc
	v_mul_f32_e32 v19, v19, v20
	v_log_f32_e32 v19, v19
	v_cndmask_b32_e32 v20, 0, v16, vcc
	v_cmp_lt_f32_e32 vcc, s39, v4
	v_sub_f32_e32 v19, v19, v20
	v_mul_f32_e32 v19, 0x3f317218, v19
	v_cndmask_b32_e32 v4, v19, v4, vcc
	v_mul_f32_e32 v19, 0x4f800000, v4
	v_cmp_gt_f32_e32 vcc, s42, v4
	v_cndmask_b32_e32 v4, v4, v19, vcc
	v_sqrt_f32_e32 v19, v4
	v_add_u32_e32 v20, -1, v19
	v_add_u32_e32 v21, 1, v19
	v_fma_f32 v22, -v20, v19, v4
	v_fma_f32 v23, -v21, v19, v4
	v_cmp_ge_f32_e64 s[8:9], 0, v22
	v_cndmask_b32_e64 v19, v19, v20, s[8:9]
	v_cmp_lt_f32_e64 s[8:9], 0, v23
	v_cndmask_b32_e64 v19, v19, v21, s[8:9]
	v_mul_f32_e32 v20, 0x37800000, v19
	v_cndmask_b32_e32 v19, v19, v20, vcc
	v_cmp_class_f32_e64 s[8:9], v4, v17
	s_and_b64 vcc, exec, s[2:3]
	v_cndmask_b32_e64 v4, v19, v4, s[8:9]
	;; [unrolled: 42-line block ×3, first 2 shown]
	s_cbranch_vccnz .LBB30_2
; %bb.10:                               ;   in Loop: Header=BB30_3 Depth=1
	v_mov_b32_e32 v19, s36
	v_add_co_u32_e32 v10, vcc, s35, v10
	v_addc_co_u32_e32 v11, vcc, v19, v11, vcc
	global_load_dword v10, v[10:11], off
	s_waitcnt vmcnt(0)
	v_add_f32_e32 v5, v5, v10
	s_branch .LBB30_2
.LBB30_11:
	s_or_b64 exec, exec, s[24:25]
	v_lshl_add_u32 v2, s7, 2, v0
	v_cmp_gt_i32_e32 vcc, s20, v2
	s_and_saveexec_b64 s[10:11], vcc
	s_cbranch_execz .LBB30_16
; %bb.12:
	s_load_dword s8, s[4:5], 0x44
	s_lshl_b64 s[2:3], s[22:23], 2
	s_add_u32 s22, s12, s2
	s_addc_u32 s9, s13, s3
	s_cmp_lg_u64 s[14:15], 0
	s_cselect_b64 s[2:3], -1, 0
	s_waitcnt lgkmcnt(0)
	s_and_b32 s23, s8, 0xffff
	s_lshl_b32 s8, s7, 4
	s_add_i32 s8, s8, 0
	v_cndmask_b32_e64 v3, 0, 1, s[2:3]
	s_mov_b64 s[12:13], 0
	v_lshl_add_u32 v6, v0, 2, s8
	s_lshl_b32 s24, s23, 2
	v_mov_b32_e32 v7, s9
	s_mov_b32 s25, 0x41a00000
	s_mov_b32 s26, 0xc2fc0000
	v_mov_b32_e32 v8, 0x42800000
	v_mov_b32_e32 v9, 0x1f800000
	s_mov_b32 s27, 0x800000
	v_mov_b32_e32 v10, 0x4f800000
	v_mov_b32_e32 v11, 0x42000000
	s_mov_b32 s28, 0xf800000
	v_mov_b32_e32 v12, 0x260
	v_cmp_ne_u32_e64 s[2:3], 1, v3
	s_branch .LBB30_14
.LBB30_13:                              ;   in Loop: Header=BB30_14 Depth=1
	v_add_u32_e32 v2, s23, v2
	v_cmp_le_i32_e32 vcc, s20, v2
	s_or_b64 s[12:13], vcc, s[12:13]
	v_add_u32_e32 v6, s24, v6
	s_andn2_b64 exec, exec, s[12:13]
	s_cbranch_execz .LBB30_16
.LBB30_14:                              ; =>This Inner Loop Header: Depth=1
	v_ashrrev_i32_e32 v3, 31, v2
	v_lshlrev_b64 v[4:5], 2, v[2:3]
	v_add_co_u32_e32 v14, vcc, s22, v4
	v_addc_co_u32_e32 v15, vcc, v7, v5, vcc
	global_load_dword v3, v[14:15], off
	s_waitcnt vmcnt(0)
	v_mul_f32_e32 v13, 0x3fb8aa3b, v3
	v_cmp_gt_f32_e32 vcc, s26, v13
	v_cndmask_b32_e32 v13, 0, v8, vcc
	v_fmac_f32_e32 v13, 0x3fb8aa3b, v3
	v_exp_f32_e32 v13, v13
	v_cndmask_b32_e32 v14, 1.0, v9, vcc
	v_fma_f32 v13, v13, v14, 1.0
	v_cmp_gt_f32_e32 vcc, s27, v13
	v_cndmask_b32_e32 v14, 1.0, v10, vcc
	v_mul_f32_e32 v13, v13, v14
	v_log_f32_e32 v13, v13
	v_cndmask_b32_e32 v14, 0, v11, vcc
	v_cmp_lt_f32_e32 vcc, s25, v3
	v_sub_f32_e32 v13, v13, v14
	v_mul_f32_e32 v13, 0x3f317218, v13
	v_cndmask_b32_e32 v3, v13, v3, vcc
	v_mul_f32_e32 v13, 0x4f800000, v3
	v_cmp_gt_f32_e32 vcc, s28, v3
	v_cndmask_b32_e32 v3, v3, v13, vcc
	v_sqrt_f32_e32 v13, v3
	v_add_u32_e32 v14, -1, v13
	v_add_u32_e32 v15, 1, v13
	v_fma_f32 v16, -v14, v13, v3
	v_fma_f32 v17, -v15, v13, v3
	v_cmp_ge_f32_e64 s[8:9], 0, v16
	v_cndmask_b32_e64 v13, v13, v14, s[8:9]
	v_cmp_lt_f32_e64 s[8:9], 0, v17
	v_cndmask_b32_e64 v13, v13, v15, s[8:9]
	v_mul_f32_e32 v14, 0x37800000, v13
	v_cndmask_b32_e32 v13, v13, v14, vcc
	v_cmp_class_f32_e32 vcc, v3, v12
	v_cndmask_b32_e32 v3, v13, v3, vcc
	s_and_b64 vcc, exec, s[2:3]
	ds_write_b32 v6, v3
	s_cbranch_vccnz .LBB30_13
; %bb.15:                               ;   in Loop: Header=BB30_14 Depth=1
	v_mov_b32_e32 v13, s15
	v_add_co_u32_e32 v4, vcc, s14, v4
	v_addc_co_u32_e32 v5, vcc, v13, v5, vcc
	global_load_dword v4, v[4:5], off
	s_waitcnt vmcnt(0)
	v_add_f32_e32 v3, v3, v4
	ds_write_b32 v6, v3
	s_branch .LBB30_13
.LBB30_16:
	s_or_b64 exec, exec, s[10:11]
	s_cmp_lt_i32 s21, 1
	s_waitcnt lgkmcnt(0)
	s_barrier
	s_cbranch_scc1 .LBB30_25
; %bb.17:
	s_add_u32 s2, s4, 56
	s_addc_u32 s3, s5, 0
	v_mbcnt_lo_u32_b32 v5, -1, 0
	s_cmp_lg_u64 s[14:15], 0
	v_mbcnt_hi_u32_b32 v5, -1, v5
	v_bfrev_b32_e32 v6, 0.5
	s_cselect_b64 s[8:9], -1, 0
	s_mov_b32 s20, 0
	v_mov_b32_e32 v2, 0
	v_lshl_add_u32 v4, v0, 4, 0
	v_mov_b32_e32 v3, 0
	v_lshl_or_b32 v5, v5, 2, v6
	v_mov_b32_e32 v6, 0xff800000
	s_branch .LBB30_19
.LBB30_18:                              ;   in Loop: Header=BB30_19 Depth=1
	s_lshl_b32 s11, s10, 2
	s_add_i32 s11, s11, 0
	v_mov_b32_e32 v7, s11
	ds_write_b32 v7, v6
	v_mov_b32_e32 v7, s10
	v_cmp_eq_u32_e32 vcc, s20, v0
	s_add_i32 s20, s20, 1
	v_cndmask_b32_e32 v2, v2, v7, vcc
	s_cmp_eq_u32 s20, s21
	v_cndmask_b32_e32 v3, v3, v9, vcc
	s_cbranch_scc1 .LBB30_26
.LBB30_19:                              ; =>This Loop Header: Depth=1
                                        ;     Child Loop BB30_21 Depth 2
	v_mov_b32_e32 v7, s20
	v_mov_b32_e32 v8, 0xff800000
	s_and_saveexec_b64 s[10:11], s[0:1]
	s_cbranch_execz .LBB30_23
; %bb.20:                               ;   in Loop: Header=BB30_19 Depth=1
	s_load_dword s22, s[2:3], 0xc
	s_mov_b64 s[12:13], 0
	v_mov_b32_e32 v7, s20
	v_mov_b32_e32 v8, 0xff800000
	;; [unrolled: 1-line block ×3, first 2 shown]
	s_waitcnt lgkmcnt(0)
	s_and_b32 s22, s22, 0xffff
	s_lshl_b32 s23, s22, 2
	s_lshl_b32 s24, s22, 4
	v_mov_b32_e32 v10, v1
	v_mov_b32_e32 v11, v0
.LBB30_21:                              ;   Parent Loop BB30_19 Depth=1
                                        ; =>  This Inner Loop Header: Depth=2
	ds_read_b128 v[12:15], v9
	v_add_u32_e32 v11, s22, v11
	v_cmp_le_i32_e32 vcc, s7, v11
	s_or_b64 s[12:13], vcc, s[12:13]
	v_add_u32_e32 v16, 1, v10
	s_waitcnt lgkmcnt(0)
	v_cmp_gt_f32_e32 vcc, v12, v8
	v_cndmask_b32_e32 v8, v8, v12, vcc
	v_cndmask_b32_e32 v7, v7, v10, vcc
	v_cmp_gt_f32_e32 vcc, v13, v8
	v_cndmask_b32_e32 v8, v8, v13, vcc
	v_cndmask_b32_e32 v7, v7, v16, vcc
	v_cmp_gt_f32_e32 vcc, v14, v8
	v_add_u32_e32 v17, 2, v10
	v_cndmask_b32_e32 v8, v8, v14, vcc
	v_add_u32_e32 v18, 3, v10
	v_cndmask_b32_e32 v7, v7, v17, vcc
	v_cmp_gt_f32_e32 vcc, v15, v8
	v_add_u32_e32 v9, s24, v9
	v_add_u32_e32 v10, s23, v10
	v_cndmask_b32_e32 v8, v8, v15, vcc
	v_cndmask_b32_e32 v7, v7, v18, vcc
	s_andn2_b64 exec, exec, s[12:13]
	s_cbranch_execnz .LBB30_21
; %bb.22:                               ;   in Loop: Header=BB30_19 Depth=1
	s_or_b64 exec, exec, s[12:13]
.LBB30_23:                              ;   in Loop: Header=BB30_19 Depth=1
	s_or_b64 exec, exec, s[10:11]
	;;#ASMSTART
	v_max_f32 v9, v8, v8 quad_perm:[1,0,3,2] row_mask:0xf bank_mask:0xf bound_ctrl:1
	;;#ASMEND
	;;#ASMSTART
	v_max_f32 v10, v9, v9 quad_perm:[2,3,0,1] row_mask:0xf bank_mask:0xf bound_ctrl:1
	;;#ASMEND
	;;#ASMSTART
	v_max_f32 v9, v10, v10 row_half_mirror row_mask:0xf bank_mask:0xf bound_ctrl:1
	;;#ASMEND
	;;#ASMSTART
	v_max_f32 v10, v9, v9 row_mirror row_mask:0xf bank_mask:0xf bound_ctrl:1
	;;#ASMEND
	;;#ASMSTART
	v_max_f32 v9, v10, v10 row_ror:4 row_mask:0xf bank_mask:0xf bound_ctrl:1
	;;#ASMEND
	;;#ASMSTART
	v_max_f32 v10, v9, v9 row_ror:8 row_mask:0xf bank_mask:0xf bound_ctrl:1
	;;#ASMEND
	;;#ASMSTART
	v_max_f32 v9, v10, v10 row_bcast:15 row_mask:0xf bank_mask:0xf bound_ctrl:1
	;;#ASMEND
	;;#ASMSTART
	v_max_f32 v10, v9, v9 row_bcast:31 row_mask:0xf bank_mask:0xf bound_ctrl:1
	;;#ASMEND
	ds_bpermute_b32 v9, v5, v10
	s_waitcnt lgkmcnt(0)
	v_cmp_eq_f32_e32 vcc, v8, v9
	s_ff1_i32_b64 s10, vcc
	s_cmp_lg_u64 vcc, 0
	s_cselect_b32 s10, s10, 0
	s_and_b64 vcc, exec, s[8:9]
	v_readlane_b32 s10, v7, s10
	s_cbranch_vccz .LBB30_18
; %bb.24:                               ;   in Loop: Header=BB30_19 Depth=1
	s_ashr_i32 s11, s10, 31
	s_lshl_b64 s[12:13], s[10:11], 2
	s_add_u32 s12, s14, s12
	s_addc_u32 s13, s15, s13
	s_load_dword s11, s[12:13], 0x0
	s_waitcnt lgkmcnt(0)
	v_subrev_f32_e32 v9, s11, v9
	s_branch .LBB30_18
.LBB30_25:
	v_mov_b32_e32 v3, 0
	v_mov_b32_e32 v2, 0
.LBB30_26:
	v_cmp_gt_i32_e32 vcc, s21, v0
	s_and_saveexec_b64 s[0:1], vcc
	s_cbranch_execz .LBB30_29
; %bb.27:
	s_load_dword s2, s[4:5], 0x34
	s_load_dwordx2 s[0:1], s[4:5], 0x20
	s_ashr_i32 s3, s6, 31
	s_load_dword s4, s[4:5], 0x44
	v_mov_b32_e32 v4, s17
	s_waitcnt lgkmcnt(0)
	v_mul_f32_e32 v1, s2, v3
	s_mul_i32 s1, s6, s1
	s_mul_hi_u32 s2, s6, s0
	s_add_i32 s1, s2, s1
	s_mul_i32 s3, s3, s0
	s_add_i32 s5, s1, s3
	s_mul_i32 s2, s6, s0
	s_and_b32 s3, s4, 0xffff
	s_mov_b64 s[0:1], 0
	v_mov_b32_e32 v3, s5
	v_mov_b32_e32 v5, s19
.LBB30_28:                              ; =>This Inner Loop Header: Depth=1
	v_ashrrev_i32_e32 v7, 31, v0
	v_add_co_u32_e32 v6, vcc, s2, v0
	v_addc_co_u32_e32 v7, vcc, v3, v7, vcc
	v_add_u32_e32 v0, s3, v0
	v_cmp_le_i32_e32 vcc, s21, v0
	v_lshlrev_b64 v[6:7], 2, v[6:7]
	s_or_b64 s[0:1], vcc, s[0:1]
	v_add_co_u32_e32 v8, vcc, s16, v6
	v_addc_co_u32_e32 v9, vcc, v4, v7, vcc
	v_add_co_u32_e32 v6, vcc, s18, v6
	v_addc_co_u32_e32 v7, vcc, v5, v7, vcc
	global_store_dword v[8:9], v1, off
	global_store_dword v[6:7], v2, off
	s_andn2_b64 exec, exec, s[0:1]
	s_cbranch_execnz .LBB30_28
.LBB30_29:
	s_endpgm
	.section	.rodata,"a",@progbits
	.p2align	6, 0x0
	.amdhsa_kernel _ZN5aiter20topk_softplus_kernelIffDv4_fLb0ELi0EEEvPKT_PKT0_PfPimiiif
		.amdhsa_group_segment_fixed_size 0
		.amdhsa_private_segment_fixed_size 0
		.amdhsa_kernarg_size 312
		.amdhsa_user_sgpr_count 6
		.amdhsa_user_sgpr_private_segment_buffer 1
		.amdhsa_user_sgpr_dispatch_ptr 0
		.amdhsa_user_sgpr_queue_ptr 0
		.amdhsa_user_sgpr_kernarg_segment_ptr 1
		.amdhsa_user_sgpr_dispatch_id 0
		.amdhsa_user_sgpr_flat_scratch_init 0
		.amdhsa_user_sgpr_kernarg_preload_length 0
		.amdhsa_user_sgpr_kernarg_preload_offset 0
		.amdhsa_user_sgpr_private_segment_size 0
		.amdhsa_uses_dynamic_stack 0
		.amdhsa_system_sgpr_private_segment_wavefront_offset 0
		.amdhsa_system_sgpr_workgroup_id_x 1
		.amdhsa_system_sgpr_workgroup_id_y 0
		.amdhsa_system_sgpr_workgroup_id_z 0
		.amdhsa_system_sgpr_workgroup_info 0
		.amdhsa_system_vgpr_workitem_id 0
		.amdhsa_next_free_vgpr 24
		.amdhsa_next_free_sgpr 43
		.amdhsa_accum_offset 24
		.amdhsa_reserve_vcc 1
		.amdhsa_reserve_flat_scratch 0
		.amdhsa_float_round_mode_32 0
		.amdhsa_float_round_mode_16_64 0
		.amdhsa_float_denorm_mode_32 3
		.amdhsa_float_denorm_mode_16_64 3
		.amdhsa_dx10_clamp 1
		.amdhsa_ieee_mode 1
		.amdhsa_fp16_overflow 0
		.amdhsa_tg_split 0
		.amdhsa_exception_fp_ieee_invalid_op 0
		.amdhsa_exception_fp_denorm_src 0
		.amdhsa_exception_fp_ieee_div_zero 0
		.amdhsa_exception_fp_ieee_overflow 0
		.amdhsa_exception_fp_ieee_underflow 0
		.amdhsa_exception_fp_ieee_inexact 0
		.amdhsa_exception_int_div_zero 0
	.end_amdhsa_kernel
	.section	.text._ZN5aiter20topk_softplus_kernelIffDv4_fLb0ELi0EEEvPKT_PKT0_PfPimiiif,"axG",@progbits,_ZN5aiter20topk_softplus_kernelIffDv4_fLb0ELi0EEEvPKT_PKT0_PfPimiiif,comdat
.Lfunc_end30:
	.size	_ZN5aiter20topk_softplus_kernelIffDv4_fLb0ELi0EEEvPKT_PKT0_PfPimiiif, .Lfunc_end30-_ZN5aiter20topk_softplus_kernelIffDv4_fLb0ELi0EEEvPKT_PKT0_PfPimiiif
                                        ; -- End function
	.section	.AMDGPU.csdata,"",@progbits
; Kernel info:
; codeLenInByte = 2356
; NumSgprs: 47
; NumVgprs: 24
; NumAgprs: 0
; TotalNumVgprs: 24
; ScratchSize: 0
; MemoryBound: 0
; FloatMode: 240
; IeeeMode: 1
; LDSByteSize: 0 bytes/workgroup (compile time only)
; SGPRBlocks: 5
; VGPRBlocks: 2
; NumSGPRsForWavesPerEU: 47
; NumVGPRsForWavesPerEU: 24
; AccumOffset: 24
; Occupancy: 8
; WaveLimiterHint : 0
; COMPUTE_PGM_RSRC2:SCRATCH_EN: 0
; COMPUTE_PGM_RSRC2:USER_SGPR: 6
; COMPUTE_PGM_RSRC2:TRAP_HANDLER: 0
; COMPUTE_PGM_RSRC2:TGID_X_EN: 1
; COMPUTE_PGM_RSRC2:TGID_Y_EN: 0
; COMPUTE_PGM_RSRC2:TGID_Z_EN: 0
; COMPUTE_PGM_RSRC2:TIDIG_COMP_CNT: 0
; COMPUTE_PGM_RSRC3_GFX90A:ACCUM_OFFSET: 5
; COMPUTE_PGM_RSRC3_GFX90A:TG_SPLIT: 0
	.section	.text._ZN5aiter20topk_softplus_kernelIffDv2_fLb1ELi0EEEvPKT_PKT0_PfPimiiif,"axG",@progbits,_ZN5aiter20topk_softplus_kernelIffDv2_fLb1ELi0EEEvPKT_PKT0_PfPimiiif,comdat
	.protected	_ZN5aiter20topk_softplus_kernelIffDv2_fLb1ELi0EEEvPKT_PKT0_PfPimiiif ; -- Begin function _ZN5aiter20topk_softplus_kernelIffDv2_fLb1ELi0EEEvPKT_PKT0_PfPimiiif
	.globl	_ZN5aiter20topk_softplus_kernelIffDv2_fLb1ELi0EEEvPKT_PKT0_PfPimiiif
	.p2align	8
	.type	_ZN5aiter20topk_softplus_kernelIffDv2_fLb1ELi0EEEvPKT_PKT0_PfPimiiif,@function
_ZN5aiter20topk_softplus_kernelIffDv2_fLb1ELi0EEEvPKT_PKT0_PfPimiiif: ; @_ZN5aiter20topk_softplus_kernelIffDv2_fLb1ELi0EEEvPKT_PKT0_PfPimiiif
; %bb.0:
	s_load_dwordx2 s[20:21], s[4:5], 0x28
	s_load_dwordx8 s[12:19], s[4:5], 0x0
	s_waitcnt lgkmcnt(0)
	s_lshr_b32 s1, s20, 31
	s_mul_i32 s0, s6, s20
	s_add_i32 s1, s20, s1
	s_ashr_i32 s7, s1, 1
	s_ashr_i32 s1, s0, 31
	s_lshl_b64 s[0:1], s[0:1], 2
	s_add_u32 s24, s12, s0
	s_addc_u32 s25, s13, s1
	v_cmp_gt_i32_e64 s[0:1], s7, v0
	s_and_saveexec_b64 s[12:13], s[0:1]
	s_cbranch_execz .LBB31_7
; %bb.1:
	s_load_dword s8, s[4:5], 0x44
	s_cmp_lg_u64 s[14:15], 0
	s_cselect_b64 s[2:3], -1, 0
	s_mov_b32 s9, 0
	v_lshlrev_b32_e32 v2, 3, v0
	s_waitcnt lgkmcnt(0)
	s_and_b32 s26, s8, 0xffff
	v_cndmask_b32_e64 v4, 0, 1, s[2:3]
	s_mov_b64 s[22:23], 0
	v_mov_b32_e32 v1, 0
	s_lshl_b32 s27, s26, 3
	v_add_u32_e32 v3, 0, v2
	v_mov_b32_e32 v6, s25
	s_mov_b32 s28, 0x41a00000
	s_mov_b32 s29, 0xc2fc0000
	v_mov_b32_e32 v7, 0x42800000
	v_mov_b32_e32 v8, 0x1f800000
	s_mov_b32 s30, 0x800000
	v_mov_b32_e32 v9, 0x4f800000
	v_mov_b32_e32 v10, 0x42000000
	s_mov_b32 s31, 0xf800000
	v_mov_b32_e32 v11, 0x260
	v_cmp_ne_u32_e64 s[2:3], 1, v4
	v_mov_b32_e32 v12, s9
	v_mov_b32_e32 v13, v0
	s_branch .LBB31_3
.LBB31_2:                               ;   in Loop: Header=BB31_3 Depth=1
	v_add_co_u32_e32 v2, vcc, s27, v2
	v_add_u32_e32 v13, s26, v13
	v_addc_co_u32_e32 v1, vcc, v1, v12, vcc
	v_cmp_le_i32_e32 vcc, s7, v13
	ds_write_b64 v3, v[4:5]
	s_or_b64 s[22:23], vcc, s[22:23]
	v_add_u32_e32 v3, s27, v3
	s_andn2_b64 exec, exec, s[22:23]
	s_cbranch_execz .LBB31_7
.LBB31_3:                               ; =>This Inner Loop Header: Depth=1
	v_add_co_u32_e32 v4, vcc, s24, v2
	v_addc_co_u32_e32 v5, vcc, v6, v1, vcc
	global_load_dwordx2 v[4:5], v[4:5], off
	s_waitcnt vmcnt(0)
	v_mul_f32_e32 v14, 0x3fb8aa3b, v4
	v_cmp_gt_f32_e32 vcc, s29, v14
	v_cndmask_b32_e32 v14, 0, v7, vcc
	v_fmac_f32_e32 v14, 0x3fb8aa3b, v4
	v_exp_f32_e32 v14, v14
	v_cndmask_b32_e32 v15, 1.0, v8, vcc
	v_fma_f32 v14, v14, v15, 1.0
	v_cmp_gt_f32_e32 vcc, s30, v14
	v_cndmask_b32_e32 v15, 1.0, v9, vcc
	v_mul_f32_e32 v14, v14, v15
	v_log_f32_e32 v14, v14
	v_cndmask_b32_e32 v15, 0, v10, vcc
	v_cmp_lt_f32_e32 vcc, s28, v4
	v_sub_f32_e32 v14, v14, v15
	v_mul_f32_e32 v14, 0x3f317218, v14
	v_cndmask_b32_e32 v4, v14, v4, vcc
	v_mul_f32_e32 v14, 0x4f800000, v4
	v_cmp_gt_f32_e64 s[8:9], s31, v4
	v_cndmask_b32_e64 v4, v4, v14, s[8:9]
	v_sqrt_f32_e32 v14, v4
	s_and_b64 vcc, exec, s[2:3]
	v_add_u32_e32 v15, -1, v14
	v_add_u32_e32 v16, 1, v14
	v_fma_f32 v17, -v15, v14, v4
	v_fma_f32 v18, -v16, v14, v4
	v_cmp_ge_f32_e64 s[10:11], 0, v17
	v_cndmask_b32_e64 v14, v14, v15, s[10:11]
	v_cmp_lt_f32_e64 s[10:11], 0, v18
	v_cndmask_b32_e64 v14, v14, v16, s[10:11]
	v_mul_f32_e32 v15, 0x37800000, v14
	v_cndmask_b32_e64 v14, v14, v15, s[8:9]
	v_cmp_class_f32_e64 s[8:9], v4, v11
	v_cndmask_b32_e64 v4, v14, v4, s[8:9]
	s_cbranch_vccnz .LBB31_5
; %bb.4:                                ;   in Loop: Header=BB31_3 Depth=1
	v_mov_b32_e32 v15, s15
	v_add_co_u32_e32 v14, vcc, s14, v2
	v_addc_co_u32_e32 v15, vcc, v15, v1, vcc
	global_load_dword v14, v[14:15], off
	s_waitcnt vmcnt(0)
	v_add_f32_e32 v4, v4, v14
.LBB31_5:                               ;   in Loop: Header=BB31_3 Depth=1
	v_mul_f32_e32 v14, 0x3fb8aa3b, v5
	v_cmp_gt_f32_e32 vcc, s29, v14
	v_cndmask_b32_e32 v15, 0, v7, vcc
	v_fmac_f32_e32 v15, 0x3fb8aa3b, v5
	v_exp_f32_e32 v15, v15
	v_cndmask_b32_e32 v14, 1.0, v8, vcc
	v_fma_f32 v14, v15, v14, 1.0
	v_cmp_gt_f32_e32 vcc, s30, v14
	v_cndmask_b32_e32 v15, 1.0, v9, vcc
	v_mul_f32_e32 v14, v14, v15
	v_log_f32_e32 v14, v14
	v_cndmask_b32_e32 v15, 0, v10, vcc
	v_cmp_lt_f32_e32 vcc, s28, v5
	v_sub_f32_e32 v14, v14, v15
	v_mul_f32_e32 v14, 0x3f317218, v14
	v_cndmask_b32_e32 v5, v14, v5, vcc
	v_mul_f32_e32 v14, 0x4f800000, v5
	v_cmp_gt_f32_e32 vcc, s31, v5
	v_cndmask_b32_e32 v5, v5, v14, vcc
	v_sqrt_f32_e32 v14, v5
	v_add_u32_e32 v15, -1, v14
	v_add_u32_e32 v16, 1, v14
	v_fma_f32 v17, -v15, v14, v5
	v_fma_f32 v18, -v16, v14, v5
	v_cmp_ge_f32_e64 s[8:9], 0, v17
	v_cndmask_b32_e64 v14, v14, v15, s[8:9]
	v_cmp_lt_f32_e64 s[8:9], 0, v18
	v_cndmask_b32_e64 v14, v14, v16, s[8:9]
	v_mul_f32_e32 v15, 0x37800000, v14
	v_cndmask_b32_e32 v14, v14, v15, vcc
	v_cmp_class_f32_e64 s[8:9], v5, v11
	s_and_b64 vcc, exec, s[2:3]
	v_cndmask_b32_e64 v5, v14, v5, s[8:9]
	s_cbranch_vccnz .LBB31_2
; %bb.6:                                ;   in Loop: Header=BB31_3 Depth=1
	v_mov_b32_e32 v15, s15
	v_add_co_u32_e32 v14, vcc, s14, v2
	v_addc_co_u32_e32 v15, vcc, v15, v1, vcc
	global_load_dword v14, v[14:15], off offset:4
	s_waitcnt vmcnt(0)
	v_add_f32_e32 v5, v5, v14
	s_branch .LBB31_2
.LBB31_7:
	s_or_b64 exec, exec, s[12:13]
	v_lshl_add_u32 v2, s7, 1, v0
	v_cmp_gt_i32_e32 vcc, s20, v2
	s_and_saveexec_b64 s[10:11], vcc
	s_cbranch_execz .LBB31_12
; %bb.8:
	s_load_dword s8, s[4:5], 0x44
	s_cmp_lg_u64 s[14:15], 0
	s_cselect_b64 s[2:3], -1, 0
	s_lshl_b32 s9, s7, 3
	v_cndmask_b32_e64 v3, 0, 1, s[2:3]
	s_waitcnt lgkmcnt(0)
	s_and_b32 s22, s8, 0xffff
	s_add_i32 s8, s9, 0
	s_mov_b64 s[12:13], 0
	v_lshl_add_u32 v1, v0, 2, s8
	s_lshl_b32 s23, s22, 2
	v_mov_b32_e32 v6, s25
	s_mov_b32 s25, 0x41a00000
	s_mov_b32 s26, 0xc2fc0000
	v_mov_b32_e32 v7, 0x42800000
	v_mov_b32_e32 v8, 0x1f800000
	s_mov_b32 s27, 0x800000
	v_mov_b32_e32 v9, 0x4f800000
	v_mov_b32_e32 v10, 0x42000000
	s_mov_b32 s28, 0xf800000
	v_mov_b32_e32 v11, 0x260
	v_cmp_ne_u32_e64 s[2:3], 1, v3
	s_branch .LBB31_10
.LBB31_9:                               ;   in Loop: Header=BB31_10 Depth=1
	v_add_u32_e32 v2, s22, v2
	v_cmp_le_i32_e32 vcc, s20, v2
	s_or_b64 s[12:13], vcc, s[12:13]
	v_add_u32_e32 v1, s23, v1
	s_andn2_b64 exec, exec, s[12:13]
	s_cbranch_execz .LBB31_12
.LBB31_10:                              ; =>This Inner Loop Header: Depth=1
	v_ashrrev_i32_e32 v3, 31, v2
	v_lshlrev_b64 v[4:5], 2, v[2:3]
	v_add_co_u32_e32 v12, vcc, s24, v4
	v_addc_co_u32_e32 v13, vcc, v6, v5, vcc
	global_load_dword v3, v[12:13], off
	s_waitcnt vmcnt(0)
	v_mul_f32_e32 v12, 0x3fb8aa3b, v3
	v_cmp_gt_f32_e32 vcc, s26, v12
	v_cndmask_b32_e32 v12, 0, v7, vcc
	v_fmac_f32_e32 v12, 0x3fb8aa3b, v3
	v_exp_f32_e32 v12, v12
	v_cndmask_b32_e32 v13, 1.0, v8, vcc
	v_fma_f32 v12, v12, v13, 1.0
	v_cmp_gt_f32_e32 vcc, s27, v12
	v_cndmask_b32_e32 v13, 1.0, v9, vcc
	v_mul_f32_e32 v12, v12, v13
	v_log_f32_e32 v12, v12
	v_cndmask_b32_e32 v13, 0, v10, vcc
	v_cmp_lt_f32_e32 vcc, s25, v3
	v_sub_f32_e32 v12, v12, v13
	v_mul_f32_e32 v12, 0x3f317218, v12
	v_cndmask_b32_e32 v3, v12, v3, vcc
	v_mul_f32_e32 v12, 0x4f800000, v3
	v_cmp_gt_f32_e32 vcc, s28, v3
	v_cndmask_b32_e32 v3, v3, v12, vcc
	v_sqrt_f32_e32 v12, v3
	v_add_u32_e32 v13, -1, v12
	v_add_u32_e32 v14, 1, v12
	v_fma_f32 v15, -v13, v12, v3
	v_fma_f32 v16, -v14, v12, v3
	v_cmp_ge_f32_e64 s[8:9], 0, v15
	v_cndmask_b32_e64 v12, v12, v13, s[8:9]
	v_cmp_lt_f32_e64 s[8:9], 0, v16
	v_cndmask_b32_e64 v12, v12, v14, s[8:9]
	v_mul_f32_e32 v13, 0x37800000, v12
	v_cndmask_b32_e32 v12, v12, v13, vcc
	v_cmp_class_f32_e32 vcc, v3, v11
	v_cndmask_b32_e32 v3, v12, v3, vcc
	s_and_b64 vcc, exec, s[2:3]
	ds_write_b32 v1, v3
	s_cbranch_vccnz .LBB31_9
; %bb.11:                               ;   in Loop: Header=BB31_10 Depth=1
	v_mov_b32_e32 v12, s15
	v_add_co_u32_e32 v4, vcc, s14, v4
	v_addc_co_u32_e32 v5, vcc, v12, v5, vcc
	global_load_dword v4, v[4:5], off
	s_waitcnt vmcnt(0)
	v_add_f32_e32 v3, v3, v4
	ds_write_b32 v1, v3
	s_branch .LBB31_9
.LBB31_12:
	s_or_b64 exec, exec, s[10:11]
	s_cmp_lt_i32 s21, 1
	v_mov_b32_e32 v2, 0
	s_waitcnt lgkmcnt(0)
	s_barrier
	s_cbranch_scc1 .LBB31_21
; %bb.13:
	s_add_u32 s2, s4, 56
	s_addc_u32 s3, s5, 0
	v_mbcnt_lo_u32_b32 v1, -1, 0
	s_cmp_lg_u64 s[14:15], 0
	v_mbcnt_hi_u32_b32 v1, -1, v1
	v_bfrev_b32_e32 v3, 0.5
	s_cselect_b64 s[8:9], -1, 0
	v_lshlrev_b32_e32 v4, 1, v0
	v_lshl_add_u32 v5, v0, 3, 0
	s_mov_b32 s20, 0
	v_mov_b32_e32 v2, 0
	v_lshl_or_b32 v6, v1, 2, v3
	v_mov_b32_e32 v7, 0xff800000
	v_mov_b32_e32 v1, 0
	;; [unrolled: 1-line block ×3, first 2 shown]
	s_branch .LBB31_15
.LBB31_14:                              ;   in Loop: Header=BB31_15 Depth=1
	s_lshl_b32 s11, s10, 2
	s_add_i32 s11, s11, 0
	v_mov_b32_e32 v8, s11
	ds_write_b32 v8, v7
	v_mov_b32_e32 v8, s10
	v_cmp_eq_u32_e32 vcc, s20, v0
	s_add_i32 s20, s20, 1
	v_cndmask_b32_e32 v1, v1, v8, vcc
	v_cndmask_b32_e32 v2, v2, v10, vcc
	s_cmp_eq_u32 s20, s21
	v_add_f32_e32 v3, v3, v10
	s_cbranch_scc1 .LBB31_22
.LBB31_15:                              ; =>This Loop Header: Depth=1
                                        ;     Child Loop BB31_17 Depth 2
	v_mov_b32_e32 v8, s20
	v_mov_b32_e32 v9, 0xff800000
	s_and_saveexec_b64 s[10:11], s[0:1]
	s_cbranch_execz .LBB31_19
; %bb.16:                               ;   in Loop: Header=BB31_15 Depth=1
	s_load_dword s22, s[2:3], 0xc
	s_mov_b64 s[12:13], 0
	v_mov_b32_e32 v8, s20
	v_mov_b32_e32 v9, 0xff800000
	;; [unrolled: 1-line block ×3, first 2 shown]
	s_waitcnt lgkmcnt(0)
	s_and_b32 s22, s22, 0xffff
	s_lshl_b32 s23, s22, 1
	s_lshl_b32 s24, s22, 3
	v_mov_b32_e32 v11, v4
	v_mov_b32_e32 v12, v0
.LBB31_17:                              ;   Parent Loop BB31_15 Depth=1
                                        ; =>  This Inner Loop Header: Depth=2
	ds_read_b64 v[14:15], v10
	v_add_u32_e32 v12, s22, v12
	v_cmp_le_i32_e32 vcc, s7, v12
	s_or_b64 s[12:13], vcc, s[12:13]
	v_add_u32_e32 v13, 1, v11
	s_waitcnt lgkmcnt(0)
	v_cmp_gt_f32_e32 vcc, v14, v9
	v_cndmask_b32_e32 v9, v9, v14, vcc
	v_cndmask_b32_e32 v8, v8, v11, vcc
	v_cmp_gt_f32_e32 vcc, v15, v9
	v_add_u32_e32 v10, s24, v10
	v_cndmask_b32_e32 v9, v9, v15, vcc
	v_add_u32_e32 v11, s23, v11
	v_cndmask_b32_e32 v8, v8, v13, vcc
	s_andn2_b64 exec, exec, s[12:13]
	s_cbranch_execnz .LBB31_17
; %bb.18:                               ;   in Loop: Header=BB31_15 Depth=1
	s_or_b64 exec, exec, s[12:13]
.LBB31_19:                              ;   in Loop: Header=BB31_15 Depth=1
	s_or_b64 exec, exec, s[10:11]
	;;#ASMSTART
	v_max_f32 v10, v9, v9 quad_perm:[1,0,3,2] row_mask:0xf bank_mask:0xf bound_ctrl:1
	;;#ASMEND
	;;#ASMSTART
	v_max_f32 v11, v10, v10 quad_perm:[2,3,0,1] row_mask:0xf bank_mask:0xf bound_ctrl:1
	;;#ASMEND
	;;#ASMSTART
	v_max_f32 v10, v11, v11 row_half_mirror row_mask:0xf bank_mask:0xf bound_ctrl:1
	;;#ASMEND
	;;#ASMSTART
	v_max_f32 v11, v10, v10 row_mirror row_mask:0xf bank_mask:0xf bound_ctrl:1
	;;#ASMEND
	;;#ASMSTART
	v_max_f32 v10, v11, v11 row_ror:4 row_mask:0xf bank_mask:0xf bound_ctrl:1
	;;#ASMEND
	;;#ASMSTART
	v_max_f32 v11, v10, v10 row_ror:8 row_mask:0xf bank_mask:0xf bound_ctrl:1
	;;#ASMEND
	;;#ASMSTART
	v_max_f32 v10, v11, v11 row_bcast:15 row_mask:0xf bank_mask:0xf bound_ctrl:1
	;;#ASMEND
	;;#ASMSTART
	v_max_f32 v11, v10, v10 row_bcast:31 row_mask:0xf bank_mask:0xf bound_ctrl:1
	;;#ASMEND
	ds_bpermute_b32 v10, v6, v11
	s_waitcnt lgkmcnt(0)
	v_cmp_eq_f32_e32 vcc, v9, v10
	s_ff1_i32_b64 s10, vcc
	s_cmp_lg_u64 vcc, 0
	s_cselect_b32 s10, s10, 0
	s_and_b64 vcc, exec, s[8:9]
	v_readlane_b32 s10, v8, s10
	s_cbranch_vccz .LBB31_14
; %bb.20:                               ;   in Loop: Header=BB31_15 Depth=1
	s_ashr_i32 s11, s10, 31
	s_lshl_b64 s[12:13], s[10:11], 2
	s_add_u32 s12, s14, s12
	s_addc_u32 s13, s15, s13
	s_load_dword s11, s[12:13], 0x0
	s_waitcnt lgkmcnt(0)
	v_subrev_f32_e32 v10, s11, v10
	s_branch .LBB31_14
.LBB31_21:
	v_mov_b32_e32 v1, 0
	v_mov_b32_e32 v3, 0
.LBB31_22:
	v_cmp_gt_i32_e32 vcc, s21, v0
	s_and_saveexec_b64 s[0:1], vcc
	s_cbranch_execz .LBB31_25
; %bb.23:
	s_load_dword s2, s[4:5], 0x34
	v_max_f32_e32 v3, v3, v3
	v_max_f32_e32 v3, 0x1e3ce508, v3
	s_load_dword s3, s[4:5], 0x44
	s_waitcnt lgkmcnt(0)
	v_div_scale_f32 v4, s[0:1], v3, v3, s2
	s_load_dwordx2 s[0:1], s[4:5], 0x20
	v_rcp_f32_e32 v5, v4
	v_div_scale_f32 v6, vcc, s2, v3, s2
	s_and_b32 s3, s3, 0xffff
	v_fma_f32 v7, -v4, v5, 1.0
	v_fmac_f32_e32 v5, v7, v5
	v_mul_f32_e32 v7, v6, v5
	v_fma_f32 v8, -v4, v7, v6
	v_fmac_f32_e32 v7, v8, v5
	v_fma_f32 v4, -v4, v7, v6
	v_div_fmas_f32 v4, v4, v5, v7
	v_div_fixup_f32 v3, v4, v3, s2
	s_ashr_i32 s2, s6, 31
	s_waitcnt lgkmcnt(0)
	s_mul_i32 s1, s6, s1
	s_mul_hi_u32 s4, s6, s0
	s_add_i32 s1, s4, s1
	s_mul_i32 s2, s2, s0
	s_add_i32 s4, s1, s2
	v_mul_f32_e32 v2, v2, v3
	s_mul_i32 s2, s6, s0
	s_mov_b64 s[0:1], 0
	v_mov_b32_e32 v3, s4
	v_mov_b32_e32 v4, s17
	;; [unrolled: 1-line block ×3, first 2 shown]
.LBB31_24:                              ; =>This Inner Loop Header: Depth=1
	v_ashrrev_i32_e32 v7, 31, v0
	v_add_co_u32_e32 v6, vcc, s2, v0
	v_addc_co_u32_e32 v7, vcc, v3, v7, vcc
	v_add_u32_e32 v0, s3, v0
	v_cmp_le_i32_e32 vcc, s21, v0
	v_lshlrev_b64 v[6:7], 2, v[6:7]
	s_or_b64 s[0:1], vcc, s[0:1]
	v_add_co_u32_e32 v8, vcc, s16, v6
	v_addc_co_u32_e32 v9, vcc, v4, v7, vcc
	v_add_co_u32_e32 v6, vcc, s18, v6
	v_addc_co_u32_e32 v7, vcc, v5, v7, vcc
	global_store_dword v[8:9], v2, off
	global_store_dword v[6:7], v1, off
	s_andn2_b64 exec, exec, s[0:1]
	s_cbranch_execnz .LBB31_24
.LBB31_25:
	s_endpgm
	.section	.rodata,"a",@progbits
	.p2align	6, 0x0
	.amdhsa_kernel _ZN5aiter20topk_softplus_kernelIffDv2_fLb1ELi0EEEvPKT_PKT0_PfPimiiif
		.amdhsa_group_segment_fixed_size 0
		.amdhsa_private_segment_fixed_size 0
		.amdhsa_kernarg_size 312
		.amdhsa_user_sgpr_count 6
		.amdhsa_user_sgpr_private_segment_buffer 1
		.amdhsa_user_sgpr_dispatch_ptr 0
		.amdhsa_user_sgpr_queue_ptr 0
		.amdhsa_user_sgpr_kernarg_segment_ptr 1
		.amdhsa_user_sgpr_dispatch_id 0
		.amdhsa_user_sgpr_flat_scratch_init 0
		.amdhsa_user_sgpr_kernarg_preload_length 0
		.amdhsa_user_sgpr_kernarg_preload_offset 0
		.amdhsa_user_sgpr_private_segment_size 0
		.amdhsa_uses_dynamic_stack 0
		.amdhsa_system_sgpr_private_segment_wavefront_offset 0
		.amdhsa_system_sgpr_workgroup_id_x 1
		.amdhsa_system_sgpr_workgroup_id_y 0
		.amdhsa_system_sgpr_workgroup_id_z 0
		.amdhsa_system_sgpr_workgroup_info 0
		.amdhsa_system_vgpr_workitem_id 0
		.amdhsa_next_free_vgpr 19
		.amdhsa_next_free_sgpr 32
		.amdhsa_accum_offset 20
		.amdhsa_reserve_vcc 1
		.amdhsa_reserve_flat_scratch 0
		.amdhsa_float_round_mode_32 0
		.amdhsa_float_round_mode_16_64 0
		.amdhsa_float_denorm_mode_32 3
		.amdhsa_float_denorm_mode_16_64 3
		.amdhsa_dx10_clamp 1
		.amdhsa_ieee_mode 1
		.amdhsa_fp16_overflow 0
		.amdhsa_tg_split 0
		.amdhsa_exception_fp_ieee_invalid_op 0
		.amdhsa_exception_fp_denorm_src 0
		.amdhsa_exception_fp_ieee_div_zero 0
		.amdhsa_exception_fp_ieee_overflow 0
		.amdhsa_exception_fp_ieee_underflow 0
		.amdhsa_exception_fp_ieee_inexact 0
		.amdhsa_exception_int_div_zero 0
	.end_amdhsa_kernel
	.section	.text._ZN5aiter20topk_softplus_kernelIffDv2_fLb1ELi0EEEvPKT_PKT0_PfPimiiif,"axG",@progbits,_ZN5aiter20topk_softplus_kernelIffDv2_fLb1ELi0EEEvPKT_PKT0_PfPimiiif,comdat
.Lfunc_end31:
	.size	_ZN5aiter20topk_softplus_kernelIffDv2_fLb1ELi0EEEvPKT_PKT0_PfPimiiif, .Lfunc_end31-_ZN5aiter20topk_softplus_kernelIffDv2_fLb1ELi0EEEvPKT_PKT0_PfPimiiif
                                        ; -- End function
	.section	.AMDGPU.csdata,"",@progbits
; Kernel info:
; codeLenInByte = 1924
; NumSgprs: 36
; NumVgprs: 19
; NumAgprs: 0
; TotalNumVgprs: 19
; ScratchSize: 0
; MemoryBound: 0
; FloatMode: 240
; IeeeMode: 1
; LDSByteSize: 0 bytes/workgroup (compile time only)
; SGPRBlocks: 4
; VGPRBlocks: 2
; NumSGPRsForWavesPerEU: 36
; NumVGPRsForWavesPerEU: 19
; AccumOffset: 20
; Occupancy: 8
; WaveLimiterHint : 0
; COMPUTE_PGM_RSRC2:SCRATCH_EN: 0
; COMPUTE_PGM_RSRC2:USER_SGPR: 6
; COMPUTE_PGM_RSRC2:TRAP_HANDLER: 0
; COMPUTE_PGM_RSRC2:TGID_X_EN: 1
; COMPUTE_PGM_RSRC2:TGID_Y_EN: 0
; COMPUTE_PGM_RSRC2:TGID_Z_EN: 0
; COMPUTE_PGM_RSRC2:TIDIG_COMP_CNT: 0
; COMPUTE_PGM_RSRC3_GFX90A:ACCUM_OFFSET: 4
; COMPUTE_PGM_RSRC3_GFX90A:TG_SPLIT: 0
	.section	.text._ZN5aiter20topk_softplus_kernelIffDv2_fLb0ELi0EEEvPKT_PKT0_PfPimiiif,"axG",@progbits,_ZN5aiter20topk_softplus_kernelIffDv2_fLb0ELi0EEEvPKT_PKT0_PfPimiiif,comdat
	.protected	_ZN5aiter20topk_softplus_kernelIffDv2_fLb0ELi0EEEvPKT_PKT0_PfPimiiif ; -- Begin function _ZN5aiter20topk_softplus_kernelIffDv2_fLb0ELi0EEEvPKT_PKT0_PfPimiiif
	.globl	_ZN5aiter20topk_softplus_kernelIffDv2_fLb0ELi0EEEvPKT_PKT0_PfPimiiif
	.p2align	8
	.type	_ZN5aiter20topk_softplus_kernelIffDv2_fLb0ELi0EEEvPKT_PKT0_PfPimiiif,@function
_ZN5aiter20topk_softplus_kernelIffDv2_fLb0ELi0EEEvPKT_PKT0_PfPimiiif: ; @_ZN5aiter20topk_softplus_kernelIffDv2_fLb0ELi0EEEvPKT_PKT0_PfPimiiif
; %bb.0:
	s_load_dwordx2 s[20:21], s[4:5], 0x28
	s_load_dwordx8 s[12:19], s[4:5], 0x0
	s_waitcnt lgkmcnt(0)
	s_lshr_b32 s1, s20, 31
	s_mul_i32 s0, s6, s20
	s_add_i32 s1, s20, s1
	s_ashr_i32 s7, s1, 1
	s_ashr_i32 s1, s0, 31
	s_lshl_b64 s[0:1], s[0:1], 2
	s_add_u32 s24, s12, s0
	s_addc_u32 s25, s13, s1
	v_cmp_gt_i32_e64 s[0:1], s7, v0
	s_and_saveexec_b64 s[12:13], s[0:1]
	s_cbranch_execz .LBB32_7
; %bb.1:
	s_load_dword s8, s[4:5], 0x44
	s_cmp_lg_u64 s[14:15], 0
	s_cselect_b64 s[2:3], -1, 0
	s_mov_b32 s9, 0
	v_lshlrev_b32_e32 v2, 3, v0
	s_waitcnt lgkmcnt(0)
	s_and_b32 s26, s8, 0xffff
	v_cndmask_b32_e64 v4, 0, 1, s[2:3]
	s_mov_b64 s[22:23], 0
	v_mov_b32_e32 v1, 0
	s_lshl_b32 s27, s26, 3
	v_add_u32_e32 v3, 0, v2
	v_mov_b32_e32 v6, s25
	s_mov_b32 s28, 0x41a00000
	s_mov_b32 s29, 0xc2fc0000
	v_mov_b32_e32 v7, 0x42800000
	v_mov_b32_e32 v8, 0x1f800000
	s_mov_b32 s30, 0x800000
	v_mov_b32_e32 v9, 0x4f800000
	v_mov_b32_e32 v10, 0x42000000
	s_mov_b32 s31, 0xf800000
	v_mov_b32_e32 v11, 0x260
	v_cmp_ne_u32_e64 s[2:3], 1, v4
	v_mov_b32_e32 v12, s9
	v_mov_b32_e32 v13, v0
	s_branch .LBB32_3
.LBB32_2:                               ;   in Loop: Header=BB32_3 Depth=1
	v_add_co_u32_e32 v2, vcc, s27, v2
	v_add_u32_e32 v13, s26, v13
	v_addc_co_u32_e32 v1, vcc, v1, v12, vcc
	v_cmp_le_i32_e32 vcc, s7, v13
	ds_write_b64 v3, v[4:5]
	s_or_b64 s[22:23], vcc, s[22:23]
	v_add_u32_e32 v3, s27, v3
	s_andn2_b64 exec, exec, s[22:23]
	s_cbranch_execz .LBB32_7
.LBB32_3:                               ; =>This Inner Loop Header: Depth=1
	v_add_co_u32_e32 v4, vcc, s24, v2
	v_addc_co_u32_e32 v5, vcc, v6, v1, vcc
	global_load_dwordx2 v[4:5], v[4:5], off
	s_waitcnt vmcnt(0)
	v_mul_f32_e32 v14, 0x3fb8aa3b, v4
	v_cmp_gt_f32_e32 vcc, s29, v14
	v_cndmask_b32_e32 v14, 0, v7, vcc
	v_fmac_f32_e32 v14, 0x3fb8aa3b, v4
	v_exp_f32_e32 v14, v14
	v_cndmask_b32_e32 v15, 1.0, v8, vcc
	v_fma_f32 v14, v14, v15, 1.0
	v_cmp_gt_f32_e32 vcc, s30, v14
	v_cndmask_b32_e32 v15, 1.0, v9, vcc
	v_mul_f32_e32 v14, v14, v15
	v_log_f32_e32 v14, v14
	v_cndmask_b32_e32 v15, 0, v10, vcc
	v_cmp_lt_f32_e32 vcc, s28, v4
	v_sub_f32_e32 v14, v14, v15
	v_mul_f32_e32 v14, 0x3f317218, v14
	v_cndmask_b32_e32 v4, v14, v4, vcc
	v_mul_f32_e32 v14, 0x4f800000, v4
	v_cmp_gt_f32_e64 s[8:9], s31, v4
	v_cndmask_b32_e64 v4, v4, v14, s[8:9]
	v_sqrt_f32_e32 v14, v4
	s_and_b64 vcc, exec, s[2:3]
	v_add_u32_e32 v15, -1, v14
	v_add_u32_e32 v16, 1, v14
	v_fma_f32 v17, -v15, v14, v4
	v_fma_f32 v18, -v16, v14, v4
	v_cmp_ge_f32_e64 s[10:11], 0, v17
	v_cndmask_b32_e64 v14, v14, v15, s[10:11]
	v_cmp_lt_f32_e64 s[10:11], 0, v18
	v_cndmask_b32_e64 v14, v14, v16, s[10:11]
	v_mul_f32_e32 v15, 0x37800000, v14
	v_cndmask_b32_e64 v14, v14, v15, s[8:9]
	v_cmp_class_f32_e64 s[8:9], v4, v11
	v_cndmask_b32_e64 v4, v14, v4, s[8:9]
	s_cbranch_vccnz .LBB32_5
; %bb.4:                                ;   in Loop: Header=BB32_3 Depth=1
	v_mov_b32_e32 v15, s15
	v_add_co_u32_e32 v14, vcc, s14, v2
	v_addc_co_u32_e32 v15, vcc, v15, v1, vcc
	global_load_dword v14, v[14:15], off
	s_waitcnt vmcnt(0)
	v_add_f32_e32 v4, v4, v14
.LBB32_5:                               ;   in Loop: Header=BB32_3 Depth=1
	v_mul_f32_e32 v14, 0x3fb8aa3b, v5
	v_cmp_gt_f32_e32 vcc, s29, v14
	v_cndmask_b32_e32 v15, 0, v7, vcc
	v_fmac_f32_e32 v15, 0x3fb8aa3b, v5
	v_exp_f32_e32 v15, v15
	v_cndmask_b32_e32 v14, 1.0, v8, vcc
	v_fma_f32 v14, v15, v14, 1.0
	v_cmp_gt_f32_e32 vcc, s30, v14
	v_cndmask_b32_e32 v15, 1.0, v9, vcc
	v_mul_f32_e32 v14, v14, v15
	v_log_f32_e32 v14, v14
	v_cndmask_b32_e32 v15, 0, v10, vcc
	v_cmp_lt_f32_e32 vcc, s28, v5
	v_sub_f32_e32 v14, v14, v15
	v_mul_f32_e32 v14, 0x3f317218, v14
	v_cndmask_b32_e32 v5, v14, v5, vcc
	v_mul_f32_e32 v14, 0x4f800000, v5
	v_cmp_gt_f32_e32 vcc, s31, v5
	v_cndmask_b32_e32 v5, v5, v14, vcc
	v_sqrt_f32_e32 v14, v5
	v_add_u32_e32 v15, -1, v14
	v_add_u32_e32 v16, 1, v14
	v_fma_f32 v17, -v15, v14, v5
	v_fma_f32 v18, -v16, v14, v5
	v_cmp_ge_f32_e64 s[8:9], 0, v17
	v_cndmask_b32_e64 v14, v14, v15, s[8:9]
	v_cmp_lt_f32_e64 s[8:9], 0, v18
	v_cndmask_b32_e64 v14, v14, v16, s[8:9]
	v_mul_f32_e32 v15, 0x37800000, v14
	v_cndmask_b32_e32 v14, v14, v15, vcc
	v_cmp_class_f32_e64 s[8:9], v5, v11
	s_and_b64 vcc, exec, s[2:3]
	v_cndmask_b32_e64 v5, v14, v5, s[8:9]
	s_cbranch_vccnz .LBB32_2
; %bb.6:                                ;   in Loop: Header=BB32_3 Depth=1
	v_mov_b32_e32 v15, s15
	v_add_co_u32_e32 v14, vcc, s14, v2
	v_addc_co_u32_e32 v15, vcc, v15, v1, vcc
	global_load_dword v14, v[14:15], off offset:4
	s_waitcnt vmcnt(0)
	v_add_f32_e32 v5, v5, v14
	s_branch .LBB32_2
.LBB32_7:
	s_or_b64 exec, exec, s[12:13]
	v_lshl_add_u32 v2, s7, 1, v0
	v_cmp_gt_i32_e32 vcc, s20, v2
	s_and_saveexec_b64 s[10:11], vcc
	s_cbranch_execz .LBB32_12
; %bb.8:
	s_load_dword s8, s[4:5], 0x44
	s_cmp_lg_u64 s[14:15], 0
	s_cselect_b64 s[2:3], -1, 0
	s_lshl_b32 s9, s7, 3
	v_cndmask_b32_e64 v3, 0, 1, s[2:3]
	s_waitcnt lgkmcnt(0)
	s_and_b32 s22, s8, 0xffff
	s_add_i32 s8, s9, 0
	s_mov_b64 s[12:13], 0
	v_lshl_add_u32 v1, v0, 2, s8
	s_lshl_b32 s23, s22, 2
	v_mov_b32_e32 v6, s25
	s_mov_b32 s25, 0x41a00000
	s_mov_b32 s26, 0xc2fc0000
	v_mov_b32_e32 v7, 0x42800000
	v_mov_b32_e32 v8, 0x1f800000
	s_mov_b32 s27, 0x800000
	v_mov_b32_e32 v9, 0x4f800000
	v_mov_b32_e32 v10, 0x42000000
	s_mov_b32 s28, 0xf800000
	v_mov_b32_e32 v11, 0x260
	v_cmp_ne_u32_e64 s[2:3], 1, v3
	s_branch .LBB32_10
.LBB32_9:                               ;   in Loop: Header=BB32_10 Depth=1
	v_add_u32_e32 v2, s22, v2
	v_cmp_le_i32_e32 vcc, s20, v2
	s_or_b64 s[12:13], vcc, s[12:13]
	v_add_u32_e32 v1, s23, v1
	s_andn2_b64 exec, exec, s[12:13]
	s_cbranch_execz .LBB32_12
.LBB32_10:                              ; =>This Inner Loop Header: Depth=1
	v_ashrrev_i32_e32 v3, 31, v2
	v_lshlrev_b64 v[4:5], 2, v[2:3]
	v_add_co_u32_e32 v12, vcc, s24, v4
	v_addc_co_u32_e32 v13, vcc, v6, v5, vcc
	global_load_dword v3, v[12:13], off
	s_waitcnt vmcnt(0)
	v_mul_f32_e32 v12, 0x3fb8aa3b, v3
	v_cmp_gt_f32_e32 vcc, s26, v12
	v_cndmask_b32_e32 v12, 0, v7, vcc
	v_fmac_f32_e32 v12, 0x3fb8aa3b, v3
	v_exp_f32_e32 v12, v12
	v_cndmask_b32_e32 v13, 1.0, v8, vcc
	v_fma_f32 v12, v12, v13, 1.0
	v_cmp_gt_f32_e32 vcc, s27, v12
	v_cndmask_b32_e32 v13, 1.0, v9, vcc
	v_mul_f32_e32 v12, v12, v13
	v_log_f32_e32 v12, v12
	v_cndmask_b32_e32 v13, 0, v10, vcc
	v_cmp_lt_f32_e32 vcc, s25, v3
	v_sub_f32_e32 v12, v12, v13
	v_mul_f32_e32 v12, 0x3f317218, v12
	v_cndmask_b32_e32 v3, v12, v3, vcc
	v_mul_f32_e32 v12, 0x4f800000, v3
	v_cmp_gt_f32_e32 vcc, s28, v3
	v_cndmask_b32_e32 v3, v3, v12, vcc
	v_sqrt_f32_e32 v12, v3
	v_add_u32_e32 v13, -1, v12
	v_add_u32_e32 v14, 1, v12
	v_fma_f32 v15, -v13, v12, v3
	v_fma_f32 v16, -v14, v12, v3
	v_cmp_ge_f32_e64 s[8:9], 0, v15
	v_cndmask_b32_e64 v12, v12, v13, s[8:9]
	v_cmp_lt_f32_e64 s[8:9], 0, v16
	v_cndmask_b32_e64 v12, v12, v14, s[8:9]
	v_mul_f32_e32 v13, 0x37800000, v12
	v_cndmask_b32_e32 v12, v12, v13, vcc
	v_cmp_class_f32_e32 vcc, v3, v11
	v_cndmask_b32_e32 v3, v12, v3, vcc
	s_and_b64 vcc, exec, s[2:3]
	ds_write_b32 v1, v3
	s_cbranch_vccnz .LBB32_9
; %bb.11:                               ;   in Loop: Header=BB32_10 Depth=1
	v_mov_b32_e32 v12, s15
	v_add_co_u32_e32 v4, vcc, s14, v4
	v_addc_co_u32_e32 v5, vcc, v12, v5, vcc
	global_load_dword v4, v[4:5], off
	s_waitcnt vmcnt(0)
	v_add_f32_e32 v3, v3, v4
	ds_write_b32 v1, v3
	s_branch .LBB32_9
.LBB32_12:
	s_or_b64 exec, exec, s[10:11]
	s_cmp_lt_i32 s21, 1
	s_waitcnt lgkmcnt(0)
	s_barrier
	s_cbranch_scc1 .LBB32_21
; %bb.13:
	s_add_u32 s2, s4, 56
	s_addc_u32 s3, s5, 0
	v_mbcnt_lo_u32_b32 v5, -1, 0
	s_cmp_lg_u64 s[14:15], 0
	v_mbcnt_hi_u32_b32 v5, -1, v5
	v_bfrev_b32_e32 v6, 0.5
	s_cselect_b64 s[8:9], -1, 0
	v_lshlrev_b32_e32 v3, 1, v0
	s_mov_b32 s20, 0
	v_mov_b32_e32 v1, 0
	v_lshl_add_u32 v4, v0, 3, 0
	v_mov_b32_e32 v2, 0
	v_lshl_or_b32 v5, v5, 2, v6
	v_mov_b32_e32 v6, 0xff800000
	s_branch .LBB32_15
.LBB32_14:                              ;   in Loop: Header=BB32_15 Depth=1
	s_lshl_b32 s11, s10, 2
	s_add_i32 s11, s11, 0
	v_mov_b32_e32 v7, s11
	ds_write_b32 v7, v6
	v_mov_b32_e32 v7, s10
	v_cmp_eq_u32_e32 vcc, s20, v0
	s_add_i32 s20, s20, 1
	v_cndmask_b32_e32 v1, v1, v7, vcc
	s_cmp_eq_u32 s20, s21
	v_cndmask_b32_e32 v2, v2, v9, vcc
	s_cbranch_scc1 .LBB32_22
.LBB32_15:                              ; =>This Loop Header: Depth=1
                                        ;     Child Loop BB32_17 Depth 2
	v_mov_b32_e32 v7, s20
	v_mov_b32_e32 v8, 0xff800000
	s_and_saveexec_b64 s[10:11], s[0:1]
	s_cbranch_execz .LBB32_19
; %bb.16:                               ;   in Loop: Header=BB32_15 Depth=1
	s_load_dword s22, s[2:3], 0xc
	s_mov_b64 s[12:13], 0
	v_mov_b32_e32 v7, s20
	v_mov_b32_e32 v8, 0xff800000
	;; [unrolled: 1-line block ×3, first 2 shown]
	s_waitcnt lgkmcnt(0)
	s_and_b32 s22, s22, 0xffff
	s_lshl_b32 s23, s22, 1
	s_lshl_b32 s24, s22, 3
	v_mov_b32_e32 v10, v3
	v_mov_b32_e32 v11, v0
.LBB32_17:                              ;   Parent Loop BB32_15 Depth=1
                                        ; =>  This Inner Loop Header: Depth=2
	ds_read_b64 v[12:13], v9
	v_add_u32_e32 v11, s22, v11
	v_cmp_le_i32_e32 vcc, s7, v11
	s_or_b64 s[12:13], vcc, s[12:13]
	v_add_u32_e32 v14, 1, v10
	s_waitcnt lgkmcnt(0)
	v_cmp_gt_f32_e32 vcc, v12, v8
	v_cndmask_b32_e32 v8, v8, v12, vcc
	v_cndmask_b32_e32 v7, v7, v10, vcc
	v_cmp_gt_f32_e32 vcc, v13, v8
	v_add_u32_e32 v9, s24, v9
	v_cndmask_b32_e32 v8, v8, v13, vcc
	v_add_u32_e32 v10, s23, v10
	v_cndmask_b32_e32 v7, v7, v14, vcc
	s_andn2_b64 exec, exec, s[12:13]
	s_cbranch_execnz .LBB32_17
; %bb.18:                               ;   in Loop: Header=BB32_15 Depth=1
	s_or_b64 exec, exec, s[12:13]
.LBB32_19:                              ;   in Loop: Header=BB32_15 Depth=1
	s_or_b64 exec, exec, s[10:11]
	;;#ASMSTART
	v_max_f32 v9, v8, v8 quad_perm:[1,0,3,2] row_mask:0xf bank_mask:0xf bound_ctrl:1
	;;#ASMEND
	;;#ASMSTART
	v_max_f32 v10, v9, v9 quad_perm:[2,3,0,1] row_mask:0xf bank_mask:0xf bound_ctrl:1
	;;#ASMEND
	;;#ASMSTART
	v_max_f32 v9, v10, v10 row_half_mirror row_mask:0xf bank_mask:0xf bound_ctrl:1
	;;#ASMEND
	;;#ASMSTART
	v_max_f32 v10, v9, v9 row_mirror row_mask:0xf bank_mask:0xf bound_ctrl:1
	;;#ASMEND
	;;#ASMSTART
	v_max_f32 v9, v10, v10 row_ror:4 row_mask:0xf bank_mask:0xf bound_ctrl:1
	;;#ASMEND
	;;#ASMSTART
	v_max_f32 v10, v9, v9 row_ror:8 row_mask:0xf bank_mask:0xf bound_ctrl:1
	;;#ASMEND
	;;#ASMSTART
	v_max_f32 v9, v10, v10 row_bcast:15 row_mask:0xf bank_mask:0xf bound_ctrl:1
	;;#ASMEND
	;;#ASMSTART
	v_max_f32 v10, v9, v9 row_bcast:31 row_mask:0xf bank_mask:0xf bound_ctrl:1
	;;#ASMEND
	ds_bpermute_b32 v9, v5, v10
	s_waitcnt lgkmcnt(0)
	v_cmp_eq_f32_e32 vcc, v8, v9
	s_ff1_i32_b64 s10, vcc
	s_cmp_lg_u64 vcc, 0
	s_cselect_b32 s10, s10, 0
	s_and_b64 vcc, exec, s[8:9]
	v_readlane_b32 s10, v7, s10
	s_cbranch_vccz .LBB32_14
; %bb.20:                               ;   in Loop: Header=BB32_15 Depth=1
	s_ashr_i32 s11, s10, 31
	s_lshl_b64 s[12:13], s[10:11], 2
	s_add_u32 s12, s14, s12
	s_addc_u32 s13, s15, s13
	s_load_dword s11, s[12:13], 0x0
	s_waitcnt lgkmcnt(0)
	v_subrev_f32_e32 v9, s11, v9
	s_branch .LBB32_14
.LBB32_21:
	v_mov_b32_e32 v2, 0
	v_mov_b32_e32 v1, 0
.LBB32_22:
	v_cmp_gt_i32_e32 vcc, s21, v0
	s_and_saveexec_b64 s[0:1], vcc
	s_cbranch_execz .LBB32_25
; %bb.23:
	s_load_dword s2, s[4:5], 0x34
	s_load_dwordx2 s[0:1], s[4:5], 0x20
	s_ashr_i32 s3, s6, 31
	s_load_dword s4, s[4:5], 0x44
	v_mov_b32_e32 v4, s17
	s_waitcnt lgkmcnt(0)
	v_mul_f32_e32 v2, s2, v2
	s_mul_i32 s1, s6, s1
	s_mul_hi_u32 s2, s6, s0
	s_add_i32 s1, s2, s1
	s_mul_i32 s3, s3, s0
	s_add_i32 s5, s1, s3
	s_mul_i32 s2, s6, s0
	s_and_b32 s3, s4, 0xffff
	s_mov_b64 s[0:1], 0
	v_mov_b32_e32 v3, s5
	v_mov_b32_e32 v5, s19
.LBB32_24:                              ; =>This Inner Loop Header: Depth=1
	v_ashrrev_i32_e32 v7, 31, v0
	v_add_co_u32_e32 v6, vcc, s2, v0
	v_addc_co_u32_e32 v7, vcc, v3, v7, vcc
	v_add_u32_e32 v0, s3, v0
	v_cmp_le_i32_e32 vcc, s21, v0
	v_lshlrev_b64 v[6:7], 2, v[6:7]
	s_or_b64 s[0:1], vcc, s[0:1]
	v_add_co_u32_e32 v8, vcc, s16, v6
	v_addc_co_u32_e32 v9, vcc, v4, v7, vcc
	v_add_co_u32_e32 v6, vcc, s18, v6
	v_addc_co_u32_e32 v7, vcc, v5, v7, vcc
	global_store_dword v[8:9], v2, off
	global_store_dword v[6:7], v1, off
	s_andn2_b64 exec, exec, s[0:1]
	s_cbranch_execnz .LBB32_24
.LBB32_25:
	s_endpgm
	.section	.rodata,"a",@progbits
	.p2align	6, 0x0
	.amdhsa_kernel _ZN5aiter20topk_softplus_kernelIffDv2_fLb0ELi0EEEvPKT_PKT0_PfPimiiif
		.amdhsa_group_segment_fixed_size 0
		.amdhsa_private_segment_fixed_size 0
		.amdhsa_kernarg_size 312
		.amdhsa_user_sgpr_count 6
		.amdhsa_user_sgpr_private_segment_buffer 1
		.amdhsa_user_sgpr_dispatch_ptr 0
		.amdhsa_user_sgpr_queue_ptr 0
		.amdhsa_user_sgpr_kernarg_segment_ptr 1
		.amdhsa_user_sgpr_dispatch_id 0
		.amdhsa_user_sgpr_flat_scratch_init 0
		.amdhsa_user_sgpr_kernarg_preload_length 0
		.amdhsa_user_sgpr_kernarg_preload_offset 0
		.amdhsa_user_sgpr_private_segment_size 0
		.amdhsa_uses_dynamic_stack 0
		.amdhsa_system_sgpr_private_segment_wavefront_offset 0
		.amdhsa_system_sgpr_workgroup_id_x 1
		.amdhsa_system_sgpr_workgroup_id_y 0
		.amdhsa_system_sgpr_workgroup_id_z 0
		.amdhsa_system_sgpr_workgroup_info 0
		.amdhsa_system_vgpr_workitem_id 0
		.amdhsa_next_free_vgpr 19
		.amdhsa_next_free_sgpr 32
		.amdhsa_accum_offset 20
		.amdhsa_reserve_vcc 1
		.amdhsa_reserve_flat_scratch 0
		.amdhsa_float_round_mode_32 0
		.amdhsa_float_round_mode_16_64 0
		.amdhsa_float_denorm_mode_32 3
		.amdhsa_float_denorm_mode_16_64 3
		.amdhsa_dx10_clamp 1
		.amdhsa_ieee_mode 1
		.amdhsa_fp16_overflow 0
		.amdhsa_tg_split 0
		.amdhsa_exception_fp_ieee_invalid_op 0
		.amdhsa_exception_fp_denorm_src 0
		.amdhsa_exception_fp_ieee_div_zero 0
		.amdhsa_exception_fp_ieee_overflow 0
		.amdhsa_exception_fp_ieee_underflow 0
		.amdhsa_exception_fp_ieee_inexact 0
		.amdhsa_exception_int_div_zero 0
	.end_amdhsa_kernel
	.section	.text._ZN5aiter20topk_softplus_kernelIffDv2_fLb0ELi0EEEvPKT_PKT0_PfPimiiif,"axG",@progbits,_ZN5aiter20topk_softplus_kernelIffDv2_fLb0ELi0EEEvPKT_PKT0_PfPimiiif,comdat
.Lfunc_end32:
	.size	_ZN5aiter20topk_softplus_kernelIffDv2_fLb0ELi0EEEvPKT_PKT0_PfPimiiif, .Lfunc_end32-_ZN5aiter20topk_softplus_kernelIffDv2_fLb0ELi0EEEvPKT_PKT0_PfPimiiif
                                        ; -- End function
	.section	.AMDGPU.csdata,"",@progbits
; Kernel info:
; codeLenInByte = 1824
; NumSgprs: 36
; NumVgprs: 19
; NumAgprs: 0
; TotalNumVgprs: 19
; ScratchSize: 0
; MemoryBound: 0
; FloatMode: 240
; IeeeMode: 1
; LDSByteSize: 0 bytes/workgroup (compile time only)
; SGPRBlocks: 4
; VGPRBlocks: 2
; NumSGPRsForWavesPerEU: 36
; NumVGPRsForWavesPerEU: 19
; AccumOffset: 20
; Occupancy: 8
; WaveLimiterHint : 0
; COMPUTE_PGM_RSRC2:SCRATCH_EN: 0
; COMPUTE_PGM_RSRC2:USER_SGPR: 6
; COMPUTE_PGM_RSRC2:TRAP_HANDLER: 0
; COMPUTE_PGM_RSRC2:TGID_X_EN: 1
; COMPUTE_PGM_RSRC2:TGID_Y_EN: 0
; COMPUTE_PGM_RSRC2:TGID_Z_EN: 0
; COMPUTE_PGM_RSRC2:TIDIG_COMP_CNT: 0
; COMPUTE_PGM_RSRC3_GFX90A:ACCUM_OFFSET: 4
; COMPUTE_PGM_RSRC3_GFX90A:TG_SPLIT: 0
	.section	.text._ZN5aiter20topk_softplus_kernelIffDv1_fLb1ELi0EEEvPKT_PKT0_PfPimiiif,"axG",@progbits,_ZN5aiter20topk_softplus_kernelIffDv1_fLb1ELi0EEEvPKT_PKT0_PfPimiiif,comdat
	.protected	_ZN5aiter20topk_softplus_kernelIffDv1_fLb1ELi0EEEvPKT_PKT0_PfPimiiif ; -- Begin function _ZN5aiter20topk_softplus_kernelIffDv1_fLb1ELi0EEEvPKT_PKT0_PfPimiiif
	.globl	_ZN5aiter20topk_softplus_kernelIffDv1_fLb1ELi0EEEvPKT_PKT0_PfPimiiif
	.p2align	8
	.type	_ZN5aiter20topk_softplus_kernelIffDv1_fLb1ELi0EEEvPKT_PKT0_PfPimiiif,@function
_ZN5aiter20topk_softplus_kernelIffDv1_fLb1ELi0EEEvPKT_PKT0_PfPimiiif: ; @_ZN5aiter20topk_softplus_kernelIffDv1_fLb1ELi0EEEvPKT_PKT0_PfPimiiif
; %bb.0:
	s_load_dwordx2 s[20:21], s[4:5], 0x28
	s_load_dwordx8 s[12:19], s[4:5], 0x0
	v_lshl_add_u32 v1, v0, 2, 0
	s_waitcnt lgkmcnt(0)
	s_mul_i32 s2, s6, s20
	s_ashr_i32 s3, s2, 31
	s_lshl_b64 s[2:3], s[2:3], 2
	s_add_u32 s7, s12, s2
	v_cmp_gt_i32_e64 s[0:1], s20, v0
	s_addc_u32 s24, s13, s3
	s_and_saveexec_b64 s[12:13], s[0:1]
	s_cbranch_execz .LBB33_5
; %bb.1:
	s_load_dword s8, s[4:5], 0x44
	s_cmp_lg_u64 s[14:15], 0
	s_cselect_b64 s[2:3], -1, 0
	v_cndmask_b32_e64 v2, 0, 1, s[2:3]
	s_mov_b64 s[22:23], 0
	s_waitcnt lgkmcnt(0)
	s_and_b32 s25, s8, 0xffff
	v_lshl_add_u32 v6, v0, 2, 0
	s_lshl_b32 s26, s25, 2
	v_mov_b32_e32 v7, s24
	s_mov_b32 s27, 0x41a00000
	s_mov_b32 s28, 0xc2fc0000
	v_mov_b32_e32 v8, 0x42800000
	v_mov_b32_e32 v9, 0x1f800000
	s_mov_b32 s29, 0x800000
	v_mov_b32_e32 v10, 0x4f800000
	v_mov_b32_e32 v11, 0x42000000
	s_mov_b32 s30, 0xf800000
	v_mov_b32_e32 v12, 0x260
	v_cmp_ne_u32_e64 s[2:3], 1, v2
	v_mov_b32_e32 v2, v0
	s_branch .LBB33_3
.LBB33_2:                               ;   in Loop: Header=BB33_3 Depth=1
	v_add_u32_e32 v2, s25, v2
	v_cmp_le_i32_e32 vcc, s20, v2
	ds_write_b32 v6, v3
	s_or_b64 s[22:23], vcc, s[22:23]
	v_add_u32_e32 v6, s26, v6
	s_andn2_b64 exec, exec, s[22:23]
	s_cbranch_execz .LBB33_5
.LBB33_3:                               ; =>This Inner Loop Header: Depth=1
	v_ashrrev_i32_e32 v3, 31, v2
	v_lshlrev_b64 v[4:5], 2, v[2:3]
	v_add_co_u32_e32 v14, vcc, s7, v4
	v_addc_co_u32_e32 v15, vcc, v7, v5, vcc
	global_load_dword v3, v[14:15], off
	s_waitcnt vmcnt(0)
	v_mul_f32_e32 v13, 0x3fb8aa3b, v3
	v_cmp_gt_f32_e32 vcc, s28, v13
	v_cndmask_b32_e32 v13, 0, v8, vcc
	v_fmac_f32_e32 v13, 0x3fb8aa3b, v3
	v_exp_f32_e32 v13, v13
	v_cndmask_b32_e32 v14, 1.0, v9, vcc
	v_fma_f32 v13, v13, v14, 1.0
	v_cmp_gt_f32_e32 vcc, s29, v13
	v_cndmask_b32_e32 v14, 1.0, v10, vcc
	v_mul_f32_e32 v13, v13, v14
	v_log_f32_e32 v13, v13
	v_cndmask_b32_e32 v14, 0, v11, vcc
	v_cmp_lt_f32_e32 vcc, s27, v3
	v_sub_f32_e32 v13, v13, v14
	v_mul_f32_e32 v13, 0x3f317218, v13
	v_cndmask_b32_e32 v3, v13, v3, vcc
	v_mul_f32_e32 v13, 0x4f800000, v3
	v_cmp_gt_f32_e64 s[8:9], s30, v3
	v_cndmask_b32_e64 v3, v3, v13, s[8:9]
	v_sqrt_f32_e32 v13, v3
	s_and_b64 vcc, exec, s[2:3]
	v_add_u32_e32 v14, -1, v13
	v_add_u32_e32 v15, 1, v13
	v_fma_f32 v16, -v14, v13, v3
	v_fma_f32 v17, -v15, v13, v3
	v_cmp_ge_f32_e64 s[10:11], 0, v16
	v_cndmask_b32_e64 v13, v13, v14, s[10:11]
	v_cmp_lt_f32_e64 s[10:11], 0, v17
	v_cndmask_b32_e64 v13, v13, v15, s[10:11]
	v_mul_f32_e32 v14, 0x37800000, v13
	v_cndmask_b32_e64 v13, v13, v14, s[8:9]
	v_cmp_class_f32_e64 s[8:9], v3, v12
	v_cndmask_b32_e64 v3, v13, v3, s[8:9]
	s_cbranch_vccnz .LBB33_2
; %bb.4:                                ;   in Loop: Header=BB33_3 Depth=1
	v_mov_b32_e32 v13, s15
	v_add_co_u32_e32 v4, vcc, s14, v4
	v_addc_co_u32_e32 v5, vcc, v13, v5, vcc
	global_load_dword v4, v[4:5], off
	s_waitcnt vmcnt(0)
	v_add_f32_e32 v3, v3, v4
	s_branch .LBB33_2
.LBB33_5:
	s_or_b64 exec, exec, s[12:13]
	v_add_u32_e32 v2, s20, v0
	v_cmp_gt_i32_e32 vcc, s20, v2
	s_and_saveexec_b64 s[10:11], vcc
	s_cbranch_execz .LBB33_10
; %bb.6:
	s_load_dword s8, s[4:5], 0x44
	s_cmp_lg_u64 s[14:15], 0
	s_cselect_b64 s[2:3], -1, 0
	v_cndmask_b32_e64 v3, 0, 1, s[2:3]
	s_mov_b64 s[12:13], 0
	s_waitcnt lgkmcnt(0)
	s_and_b32 s22, s8, 0xffff
	v_lshl_add_u32 v6, v2, 2, 0
	s_lshl_b32 s23, s22, 2
	v_mov_b32_e32 v7, s24
	s_mov_b32 s24, 0x41a00000
	s_mov_b32 s25, 0xc2fc0000
	v_mov_b32_e32 v8, 0x42800000
	v_mov_b32_e32 v9, 0x1f800000
	s_mov_b32 s26, 0x800000
	v_mov_b32_e32 v10, 0x4f800000
	v_mov_b32_e32 v11, 0x42000000
	s_mov_b32 s27, 0xf800000
	v_mov_b32_e32 v12, 0x260
	v_cmp_ne_u32_e64 s[2:3], 1, v3
	s_branch .LBB33_8
.LBB33_7:                               ;   in Loop: Header=BB33_8 Depth=1
	v_add_u32_e32 v2, s22, v2
	v_cmp_le_i32_e32 vcc, s20, v2
	s_or_b64 s[12:13], vcc, s[12:13]
	v_add_u32_e32 v6, s23, v6
	s_andn2_b64 exec, exec, s[12:13]
	s_cbranch_execz .LBB33_10
.LBB33_8:                               ; =>This Inner Loop Header: Depth=1
	v_ashrrev_i32_e32 v3, 31, v2
	v_lshlrev_b64 v[4:5], 2, v[2:3]
	v_add_co_u32_e32 v14, vcc, s7, v4
	v_addc_co_u32_e32 v15, vcc, v7, v5, vcc
	global_load_dword v3, v[14:15], off
	s_waitcnt vmcnt(0)
	v_mul_f32_e32 v13, 0x3fb8aa3b, v3
	v_cmp_gt_f32_e32 vcc, s25, v13
	v_cndmask_b32_e32 v13, 0, v8, vcc
	v_fmac_f32_e32 v13, 0x3fb8aa3b, v3
	v_exp_f32_e32 v13, v13
	v_cndmask_b32_e32 v14, 1.0, v9, vcc
	v_fma_f32 v13, v13, v14, 1.0
	v_cmp_gt_f32_e32 vcc, s26, v13
	v_cndmask_b32_e32 v14, 1.0, v10, vcc
	v_mul_f32_e32 v13, v13, v14
	v_log_f32_e32 v13, v13
	v_cndmask_b32_e32 v14, 0, v11, vcc
	v_cmp_lt_f32_e32 vcc, s24, v3
	v_sub_f32_e32 v13, v13, v14
	v_mul_f32_e32 v13, 0x3f317218, v13
	v_cndmask_b32_e32 v3, v13, v3, vcc
	v_mul_f32_e32 v13, 0x4f800000, v3
	v_cmp_gt_f32_e32 vcc, s27, v3
	v_cndmask_b32_e32 v3, v3, v13, vcc
	v_sqrt_f32_e32 v13, v3
	v_add_u32_e32 v14, -1, v13
	v_add_u32_e32 v15, 1, v13
	v_fma_f32 v16, -v14, v13, v3
	v_fma_f32 v17, -v15, v13, v3
	v_cmp_ge_f32_e64 s[8:9], 0, v16
	v_cndmask_b32_e64 v13, v13, v14, s[8:9]
	v_cmp_lt_f32_e64 s[8:9], 0, v17
	v_cndmask_b32_e64 v13, v13, v15, s[8:9]
	v_mul_f32_e32 v14, 0x37800000, v13
	v_cndmask_b32_e32 v13, v13, v14, vcc
	v_cmp_class_f32_e32 vcc, v3, v12
	v_cndmask_b32_e32 v3, v13, v3, vcc
	s_and_b64 vcc, exec, s[2:3]
	ds_write_b32 v6, v3
	s_cbranch_vccnz .LBB33_7
; %bb.9:                                ;   in Loop: Header=BB33_8 Depth=1
	v_mov_b32_e32 v13, s15
	v_add_co_u32_e32 v4, vcc, s14, v4
	v_addc_co_u32_e32 v5, vcc, v13, v5, vcc
	global_load_dword v4, v[4:5], off
	s_waitcnt vmcnt(0)
	v_add_f32_e32 v3, v3, v4
	ds_write_b32 v6, v3
	s_branch .LBB33_7
.LBB33_10:
	s_or_b64 exec, exec, s[10:11]
	s_cmp_lt_i32 s21, 1
	v_mov_b32_e32 v3, 0
	s_waitcnt lgkmcnt(0)
	s_barrier
	s_cbranch_scc1 .LBB33_19
; %bb.11:
	s_add_u32 s2, s4, 56
	s_addc_u32 s3, s5, 0
	v_mbcnt_lo_u32_b32 v2, -1, 0
	s_cmp_lg_u64 s[14:15], 0
	v_mbcnt_hi_u32_b32 v2, -1, v2
	v_bfrev_b32_e32 v4, 0.5
	s_cselect_b64 s[8:9], -1, 0
	s_mov_b32 s7, 0
	v_mov_b32_e32 v3, 0
	v_lshl_or_b32 v5, v2, 2, v4
	v_mov_b32_e32 v6, 0xff800000
	v_mov_b32_e32 v2, 0
	;; [unrolled: 1-line block ×3, first 2 shown]
	s_branch .LBB33_13
.LBB33_12:                              ;   in Loop: Header=BB33_13 Depth=1
	s_lshl_b32 s11, s10, 2
	s_add_i32 s11, s11, 0
	v_mov_b32_e32 v7, s11
	ds_write_b32 v7, v6
	v_mov_b32_e32 v7, s10
	v_cmp_eq_u32_e32 vcc, s7, v0
	s_add_i32 s7, s7, 1
	v_cndmask_b32_e32 v2, v2, v7, vcc
	v_cndmask_b32_e32 v3, v3, v9, vcc
	s_cmp_eq_u32 s7, s21
	v_add_f32_e32 v4, v4, v9
	s_cbranch_scc1 .LBB33_20
.LBB33_13:                              ; =>This Loop Header: Depth=1
                                        ;     Child Loop BB33_15 Depth 2
	v_mov_b32_e32 v7, s7
	v_mov_b32_e32 v8, 0xff800000
	s_and_saveexec_b64 s[10:11], s[0:1]
	s_cbranch_execz .LBB33_17
; %bb.14:                               ;   in Loop: Header=BB33_13 Depth=1
	s_load_dword s22, s[2:3], 0xc
	s_mov_b64 s[12:13], 0
	v_mov_b32_e32 v7, s7
	v_mov_b32_e32 v8, 0xff800000
	;; [unrolled: 1-line block ×3, first 2 shown]
	s_waitcnt lgkmcnt(0)
	s_and_b32 s22, s22, 0xffff
	s_lshl_b32 s23, s22, 2
	v_mov_b32_e32 v10, v0
.LBB33_15:                              ;   Parent Loop BB33_13 Depth=1
                                        ; =>  This Inner Loop Header: Depth=2
	ds_read_b32 v11, v9
	v_add_u32_e32 v9, s23, v9
	s_waitcnt lgkmcnt(0)
	v_cmp_gt_f32_e32 vcc, v11, v8
	v_cndmask_b32_e32 v7, v7, v10, vcc
	v_add_u32_e32 v10, s22, v10
	v_cndmask_b32_e32 v8, v8, v11, vcc
	v_cmp_le_i32_e32 vcc, s20, v10
	s_or_b64 s[12:13], vcc, s[12:13]
	s_andn2_b64 exec, exec, s[12:13]
	s_cbranch_execnz .LBB33_15
; %bb.16:                               ;   in Loop: Header=BB33_13 Depth=1
	s_or_b64 exec, exec, s[12:13]
.LBB33_17:                              ;   in Loop: Header=BB33_13 Depth=1
	s_or_b64 exec, exec, s[10:11]
	;;#ASMSTART
	v_max_f32 v9, v8, v8 quad_perm:[1,0,3,2] row_mask:0xf bank_mask:0xf bound_ctrl:1
	;;#ASMEND
	;;#ASMSTART
	v_max_f32 v10, v9, v9 quad_perm:[2,3,0,1] row_mask:0xf bank_mask:0xf bound_ctrl:1
	;;#ASMEND
	;;#ASMSTART
	v_max_f32 v9, v10, v10 row_half_mirror row_mask:0xf bank_mask:0xf bound_ctrl:1
	;;#ASMEND
	;;#ASMSTART
	v_max_f32 v10, v9, v9 row_mirror row_mask:0xf bank_mask:0xf bound_ctrl:1
	;;#ASMEND
	;;#ASMSTART
	v_max_f32 v9, v10, v10 row_ror:4 row_mask:0xf bank_mask:0xf bound_ctrl:1
	;;#ASMEND
	;;#ASMSTART
	v_max_f32 v10, v9, v9 row_ror:8 row_mask:0xf bank_mask:0xf bound_ctrl:1
	;;#ASMEND
	;;#ASMSTART
	v_max_f32 v9, v10, v10 row_bcast:15 row_mask:0xf bank_mask:0xf bound_ctrl:1
	;;#ASMEND
	;;#ASMSTART
	v_max_f32 v10, v9, v9 row_bcast:31 row_mask:0xf bank_mask:0xf bound_ctrl:1
	;;#ASMEND
	ds_bpermute_b32 v9, v5, v10
	s_waitcnt lgkmcnt(0)
	v_cmp_eq_f32_e32 vcc, v8, v9
	s_ff1_i32_b64 s10, vcc
	s_cmp_lg_u64 vcc, 0
	s_cselect_b32 s10, s10, 0
	s_and_b64 vcc, exec, s[8:9]
	v_readlane_b32 s10, v7, s10
	s_cbranch_vccz .LBB33_12
; %bb.18:                               ;   in Loop: Header=BB33_13 Depth=1
	s_ashr_i32 s11, s10, 31
	s_lshl_b64 s[12:13], s[10:11], 2
	s_add_u32 s12, s14, s12
	s_addc_u32 s13, s15, s13
	s_load_dword s11, s[12:13], 0x0
	s_waitcnt lgkmcnt(0)
	v_subrev_f32_e32 v9, s11, v9
	s_branch .LBB33_12
.LBB33_19:
	v_mov_b32_e32 v2, 0
	v_mov_b32_e32 v4, 0
.LBB33_20:
	v_cmp_gt_i32_e32 vcc, s21, v0
	s_and_saveexec_b64 s[0:1], vcc
	s_cbranch_execz .LBB33_23
; %bb.21:
	s_load_dword s2, s[4:5], 0x34
	v_max_f32_e32 v1, v4, v4
	v_max_f32_e32 v1, 0x1e3ce508, v1
	s_load_dword s3, s[4:5], 0x44
	s_waitcnt lgkmcnt(0)
	v_div_scale_f32 v4, s[0:1], v1, v1, s2
	s_load_dwordx2 s[0:1], s[4:5], 0x20
	v_rcp_f32_e32 v5, v4
	v_div_scale_f32 v6, vcc, s2, v1, s2
	s_and_b32 s3, s3, 0xffff
	v_fma_f32 v7, -v4, v5, 1.0
	v_fmac_f32_e32 v5, v7, v5
	v_mul_f32_e32 v7, v6, v5
	v_fma_f32 v8, -v4, v7, v6
	v_fmac_f32_e32 v7, v8, v5
	v_fma_f32 v4, -v4, v7, v6
	v_div_fmas_f32 v4, v4, v5, v7
	v_div_fixup_f32 v1, v4, v1, s2
	s_ashr_i32 s2, s6, 31
	s_waitcnt lgkmcnt(0)
	s_mul_i32 s1, s6, s1
	s_mul_hi_u32 s4, s6, s0
	s_add_i32 s1, s4, s1
	s_mul_i32 s2, s2, s0
	s_add_i32 s4, s1, s2
	v_mul_f32_e32 v1, v3, v1
	s_mul_i32 s2, s6, s0
	s_mov_b64 s[0:1], 0
	v_mov_b32_e32 v3, s4
	v_mov_b32_e32 v4, s17
	;; [unrolled: 1-line block ×3, first 2 shown]
.LBB33_22:                              ; =>This Inner Loop Header: Depth=1
	v_ashrrev_i32_e32 v7, 31, v0
	v_add_co_u32_e32 v6, vcc, s2, v0
	v_addc_co_u32_e32 v7, vcc, v3, v7, vcc
	v_add_u32_e32 v0, s3, v0
	v_cmp_le_i32_e32 vcc, s21, v0
	v_lshlrev_b64 v[6:7], 2, v[6:7]
	s_or_b64 s[0:1], vcc, s[0:1]
	v_add_co_u32_e32 v8, vcc, s16, v6
	v_addc_co_u32_e32 v9, vcc, v4, v7, vcc
	v_add_co_u32_e32 v6, vcc, s18, v6
	v_addc_co_u32_e32 v7, vcc, v5, v7, vcc
	global_store_dword v[8:9], v1, off
	global_store_dword v[6:7], v2, off
	s_andn2_b64 exec, exec, s[0:1]
	s_cbranch_execnz .LBB33_22
.LBB33_23:
	s_endpgm
	.section	.rodata,"a",@progbits
	.p2align	6, 0x0
	.amdhsa_kernel _ZN5aiter20topk_softplus_kernelIffDv1_fLb1ELi0EEEvPKT_PKT0_PfPimiiif
		.amdhsa_group_segment_fixed_size 0
		.amdhsa_private_segment_fixed_size 0
		.amdhsa_kernarg_size 312
		.amdhsa_user_sgpr_count 6
		.amdhsa_user_sgpr_private_segment_buffer 1
		.amdhsa_user_sgpr_dispatch_ptr 0
		.amdhsa_user_sgpr_queue_ptr 0
		.amdhsa_user_sgpr_kernarg_segment_ptr 1
		.amdhsa_user_sgpr_dispatch_id 0
		.amdhsa_user_sgpr_flat_scratch_init 0
		.amdhsa_user_sgpr_kernarg_preload_length 0
		.amdhsa_user_sgpr_kernarg_preload_offset 0
		.amdhsa_user_sgpr_private_segment_size 0
		.amdhsa_uses_dynamic_stack 0
		.amdhsa_system_sgpr_private_segment_wavefront_offset 0
		.amdhsa_system_sgpr_workgroup_id_x 1
		.amdhsa_system_sgpr_workgroup_id_y 0
		.amdhsa_system_sgpr_workgroup_id_z 0
		.amdhsa_system_sgpr_workgroup_info 0
		.amdhsa_system_vgpr_workitem_id 0
		.amdhsa_next_free_vgpr 18
		.amdhsa_next_free_sgpr 31
		.amdhsa_accum_offset 20
		.amdhsa_reserve_vcc 1
		.amdhsa_reserve_flat_scratch 0
		.amdhsa_float_round_mode_32 0
		.amdhsa_float_round_mode_16_64 0
		.amdhsa_float_denorm_mode_32 3
		.amdhsa_float_denorm_mode_16_64 3
		.amdhsa_dx10_clamp 1
		.amdhsa_ieee_mode 1
		.amdhsa_fp16_overflow 0
		.amdhsa_tg_split 0
		.amdhsa_exception_fp_ieee_invalid_op 0
		.amdhsa_exception_fp_denorm_src 0
		.amdhsa_exception_fp_ieee_div_zero 0
		.amdhsa_exception_fp_ieee_overflow 0
		.amdhsa_exception_fp_ieee_underflow 0
		.amdhsa_exception_fp_ieee_inexact 0
		.amdhsa_exception_int_div_zero 0
	.end_amdhsa_kernel
	.section	.text._ZN5aiter20topk_softplus_kernelIffDv1_fLb1ELi0EEEvPKT_PKT0_PfPimiiif,"axG",@progbits,_ZN5aiter20topk_softplus_kernelIffDv1_fLb1ELi0EEEvPKT_PKT0_PfPimiiif,comdat
.Lfunc_end33:
	.size	_ZN5aiter20topk_softplus_kernelIffDv1_fLb1ELi0EEEvPKT_PKT0_PfPimiiif, .Lfunc_end33-_ZN5aiter20topk_softplus_kernelIffDv1_fLb1ELi0EEEvPKT_PKT0_PfPimiiif
                                        ; -- End function
	.section	.AMDGPU.csdata,"",@progbits
; Kernel info:
; codeLenInByte = 1640
; NumSgprs: 35
; NumVgprs: 18
; NumAgprs: 0
; TotalNumVgprs: 18
; ScratchSize: 0
; MemoryBound: 0
; FloatMode: 240
; IeeeMode: 1
; LDSByteSize: 0 bytes/workgroup (compile time only)
; SGPRBlocks: 4
; VGPRBlocks: 2
; NumSGPRsForWavesPerEU: 35
; NumVGPRsForWavesPerEU: 18
; AccumOffset: 20
; Occupancy: 8
; WaveLimiterHint : 0
; COMPUTE_PGM_RSRC2:SCRATCH_EN: 0
; COMPUTE_PGM_RSRC2:USER_SGPR: 6
; COMPUTE_PGM_RSRC2:TRAP_HANDLER: 0
; COMPUTE_PGM_RSRC2:TGID_X_EN: 1
; COMPUTE_PGM_RSRC2:TGID_Y_EN: 0
; COMPUTE_PGM_RSRC2:TGID_Z_EN: 0
; COMPUTE_PGM_RSRC2:TIDIG_COMP_CNT: 0
; COMPUTE_PGM_RSRC3_GFX90A:ACCUM_OFFSET: 4
; COMPUTE_PGM_RSRC3_GFX90A:TG_SPLIT: 0
	.section	.text._ZN5aiter20topk_softplus_kernelIffDv1_fLb0ELi0EEEvPKT_PKT0_PfPimiiif,"axG",@progbits,_ZN5aiter20topk_softplus_kernelIffDv1_fLb0ELi0EEEvPKT_PKT0_PfPimiiif,comdat
	.protected	_ZN5aiter20topk_softplus_kernelIffDv1_fLb0ELi0EEEvPKT_PKT0_PfPimiiif ; -- Begin function _ZN5aiter20topk_softplus_kernelIffDv1_fLb0ELi0EEEvPKT_PKT0_PfPimiiif
	.globl	_ZN5aiter20topk_softplus_kernelIffDv1_fLb0ELi0EEEvPKT_PKT0_PfPimiiif
	.p2align	8
	.type	_ZN5aiter20topk_softplus_kernelIffDv1_fLb0ELi0EEEvPKT_PKT0_PfPimiiif,@function
_ZN5aiter20topk_softplus_kernelIffDv1_fLb0ELi0EEEvPKT_PKT0_PfPimiiif: ; @_ZN5aiter20topk_softplus_kernelIffDv1_fLb0ELi0EEEvPKT_PKT0_PfPimiiif
; %bb.0:
	s_load_dwordx2 s[20:21], s[4:5], 0x28
	s_load_dwordx8 s[12:19], s[4:5], 0x0
	v_lshl_add_u32 v1, v0, 2, 0
	s_waitcnt lgkmcnt(0)
	s_mul_i32 s2, s6, s20
	s_ashr_i32 s3, s2, 31
	s_lshl_b64 s[2:3], s[2:3], 2
	s_add_u32 s7, s12, s2
	v_cmp_gt_i32_e64 s[0:1], s20, v0
	s_addc_u32 s24, s13, s3
	s_and_saveexec_b64 s[12:13], s[0:1]
	s_cbranch_execz .LBB34_5
; %bb.1:
	s_load_dword s8, s[4:5], 0x44
	s_cmp_lg_u64 s[14:15], 0
	s_cselect_b64 s[2:3], -1, 0
	v_cndmask_b32_e64 v2, 0, 1, s[2:3]
	s_mov_b64 s[22:23], 0
	s_waitcnt lgkmcnt(0)
	s_and_b32 s25, s8, 0xffff
	v_lshl_add_u32 v6, v0, 2, 0
	s_lshl_b32 s26, s25, 2
	v_mov_b32_e32 v7, s24
	s_mov_b32 s27, 0x41a00000
	s_mov_b32 s28, 0xc2fc0000
	v_mov_b32_e32 v8, 0x42800000
	v_mov_b32_e32 v9, 0x1f800000
	s_mov_b32 s29, 0x800000
	v_mov_b32_e32 v10, 0x4f800000
	v_mov_b32_e32 v11, 0x42000000
	s_mov_b32 s30, 0xf800000
	v_mov_b32_e32 v12, 0x260
	v_cmp_ne_u32_e64 s[2:3], 1, v2
	v_mov_b32_e32 v2, v0
	s_branch .LBB34_3
.LBB34_2:                               ;   in Loop: Header=BB34_3 Depth=1
	v_add_u32_e32 v2, s25, v2
	v_cmp_le_i32_e32 vcc, s20, v2
	ds_write_b32 v6, v3
	s_or_b64 s[22:23], vcc, s[22:23]
	v_add_u32_e32 v6, s26, v6
	s_andn2_b64 exec, exec, s[22:23]
	s_cbranch_execz .LBB34_5
.LBB34_3:                               ; =>This Inner Loop Header: Depth=1
	v_ashrrev_i32_e32 v3, 31, v2
	v_lshlrev_b64 v[4:5], 2, v[2:3]
	v_add_co_u32_e32 v14, vcc, s7, v4
	v_addc_co_u32_e32 v15, vcc, v7, v5, vcc
	global_load_dword v3, v[14:15], off
	s_waitcnt vmcnt(0)
	v_mul_f32_e32 v13, 0x3fb8aa3b, v3
	v_cmp_gt_f32_e32 vcc, s28, v13
	v_cndmask_b32_e32 v13, 0, v8, vcc
	v_fmac_f32_e32 v13, 0x3fb8aa3b, v3
	v_exp_f32_e32 v13, v13
	v_cndmask_b32_e32 v14, 1.0, v9, vcc
	v_fma_f32 v13, v13, v14, 1.0
	v_cmp_gt_f32_e32 vcc, s29, v13
	v_cndmask_b32_e32 v14, 1.0, v10, vcc
	v_mul_f32_e32 v13, v13, v14
	v_log_f32_e32 v13, v13
	v_cndmask_b32_e32 v14, 0, v11, vcc
	v_cmp_lt_f32_e32 vcc, s27, v3
	v_sub_f32_e32 v13, v13, v14
	v_mul_f32_e32 v13, 0x3f317218, v13
	v_cndmask_b32_e32 v3, v13, v3, vcc
	v_mul_f32_e32 v13, 0x4f800000, v3
	v_cmp_gt_f32_e64 s[8:9], s30, v3
	v_cndmask_b32_e64 v3, v3, v13, s[8:9]
	v_sqrt_f32_e32 v13, v3
	s_and_b64 vcc, exec, s[2:3]
	v_add_u32_e32 v14, -1, v13
	v_add_u32_e32 v15, 1, v13
	v_fma_f32 v16, -v14, v13, v3
	v_fma_f32 v17, -v15, v13, v3
	v_cmp_ge_f32_e64 s[10:11], 0, v16
	v_cndmask_b32_e64 v13, v13, v14, s[10:11]
	v_cmp_lt_f32_e64 s[10:11], 0, v17
	v_cndmask_b32_e64 v13, v13, v15, s[10:11]
	v_mul_f32_e32 v14, 0x37800000, v13
	v_cndmask_b32_e64 v13, v13, v14, s[8:9]
	v_cmp_class_f32_e64 s[8:9], v3, v12
	v_cndmask_b32_e64 v3, v13, v3, s[8:9]
	s_cbranch_vccnz .LBB34_2
; %bb.4:                                ;   in Loop: Header=BB34_3 Depth=1
	v_mov_b32_e32 v13, s15
	v_add_co_u32_e32 v4, vcc, s14, v4
	v_addc_co_u32_e32 v5, vcc, v13, v5, vcc
	global_load_dword v4, v[4:5], off
	s_waitcnt vmcnt(0)
	v_add_f32_e32 v3, v3, v4
	s_branch .LBB34_2
.LBB34_5:
	s_or_b64 exec, exec, s[12:13]
	v_add_u32_e32 v2, s20, v0
	v_cmp_gt_i32_e32 vcc, s20, v2
	s_and_saveexec_b64 s[10:11], vcc
	s_cbranch_execz .LBB34_10
; %bb.6:
	s_load_dword s8, s[4:5], 0x44
	s_cmp_lg_u64 s[14:15], 0
	s_cselect_b64 s[2:3], -1, 0
	v_cndmask_b32_e64 v3, 0, 1, s[2:3]
	s_mov_b64 s[12:13], 0
	s_waitcnt lgkmcnt(0)
	s_and_b32 s22, s8, 0xffff
	v_lshl_add_u32 v6, v2, 2, 0
	s_lshl_b32 s23, s22, 2
	v_mov_b32_e32 v7, s24
	s_mov_b32 s24, 0x41a00000
	s_mov_b32 s25, 0xc2fc0000
	v_mov_b32_e32 v8, 0x42800000
	v_mov_b32_e32 v9, 0x1f800000
	s_mov_b32 s26, 0x800000
	v_mov_b32_e32 v10, 0x4f800000
	v_mov_b32_e32 v11, 0x42000000
	s_mov_b32 s27, 0xf800000
	v_mov_b32_e32 v12, 0x260
	v_cmp_ne_u32_e64 s[2:3], 1, v3
	s_branch .LBB34_8
.LBB34_7:                               ;   in Loop: Header=BB34_8 Depth=1
	v_add_u32_e32 v2, s22, v2
	v_cmp_le_i32_e32 vcc, s20, v2
	s_or_b64 s[12:13], vcc, s[12:13]
	v_add_u32_e32 v6, s23, v6
	s_andn2_b64 exec, exec, s[12:13]
	s_cbranch_execz .LBB34_10
.LBB34_8:                               ; =>This Inner Loop Header: Depth=1
	v_ashrrev_i32_e32 v3, 31, v2
	v_lshlrev_b64 v[4:5], 2, v[2:3]
	v_add_co_u32_e32 v14, vcc, s7, v4
	v_addc_co_u32_e32 v15, vcc, v7, v5, vcc
	global_load_dword v3, v[14:15], off
	s_waitcnt vmcnt(0)
	v_mul_f32_e32 v13, 0x3fb8aa3b, v3
	v_cmp_gt_f32_e32 vcc, s25, v13
	v_cndmask_b32_e32 v13, 0, v8, vcc
	v_fmac_f32_e32 v13, 0x3fb8aa3b, v3
	v_exp_f32_e32 v13, v13
	v_cndmask_b32_e32 v14, 1.0, v9, vcc
	v_fma_f32 v13, v13, v14, 1.0
	v_cmp_gt_f32_e32 vcc, s26, v13
	v_cndmask_b32_e32 v14, 1.0, v10, vcc
	v_mul_f32_e32 v13, v13, v14
	v_log_f32_e32 v13, v13
	v_cndmask_b32_e32 v14, 0, v11, vcc
	v_cmp_lt_f32_e32 vcc, s24, v3
	v_sub_f32_e32 v13, v13, v14
	v_mul_f32_e32 v13, 0x3f317218, v13
	v_cndmask_b32_e32 v3, v13, v3, vcc
	v_mul_f32_e32 v13, 0x4f800000, v3
	v_cmp_gt_f32_e32 vcc, s27, v3
	v_cndmask_b32_e32 v3, v3, v13, vcc
	v_sqrt_f32_e32 v13, v3
	v_add_u32_e32 v14, -1, v13
	v_add_u32_e32 v15, 1, v13
	v_fma_f32 v16, -v14, v13, v3
	v_fma_f32 v17, -v15, v13, v3
	v_cmp_ge_f32_e64 s[8:9], 0, v16
	v_cndmask_b32_e64 v13, v13, v14, s[8:9]
	v_cmp_lt_f32_e64 s[8:9], 0, v17
	v_cndmask_b32_e64 v13, v13, v15, s[8:9]
	v_mul_f32_e32 v14, 0x37800000, v13
	v_cndmask_b32_e32 v13, v13, v14, vcc
	v_cmp_class_f32_e32 vcc, v3, v12
	v_cndmask_b32_e32 v3, v13, v3, vcc
	s_and_b64 vcc, exec, s[2:3]
	ds_write_b32 v6, v3
	s_cbranch_vccnz .LBB34_7
; %bb.9:                                ;   in Loop: Header=BB34_8 Depth=1
	v_mov_b32_e32 v13, s15
	v_add_co_u32_e32 v4, vcc, s14, v4
	v_addc_co_u32_e32 v5, vcc, v13, v5, vcc
	global_load_dword v4, v[4:5], off
	s_waitcnt vmcnt(0)
	v_add_f32_e32 v3, v3, v4
	ds_write_b32 v6, v3
	s_branch .LBB34_7
.LBB34_10:
	s_or_b64 exec, exec, s[10:11]
	s_cmp_lt_i32 s21, 1
	s_waitcnt lgkmcnt(0)
	s_barrier
	s_cbranch_scc1 .LBB34_19
; %bb.11:
	s_add_u32 s2, s4, 56
	s_addc_u32 s3, s5, 0
	v_mbcnt_lo_u32_b32 v4, -1, 0
	s_cmp_lg_u64 s[14:15], 0
	v_mbcnt_hi_u32_b32 v4, -1, v4
	v_bfrev_b32_e32 v5, 0.5
	s_cselect_b64 s[8:9], -1, 0
	s_mov_b32 s7, 0
	v_mov_b32_e32 v2, 0
	v_mov_b32_e32 v3, 0
	v_lshl_or_b32 v4, v4, 2, v5
	v_mov_b32_e32 v5, 0xff800000
	s_branch .LBB34_13
.LBB34_12:                              ;   in Loop: Header=BB34_13 Depth=1
	s_lshl_b32 s11, s10, 2
	s_add_i32 s11, s11, 0
	v_mov_b32_e32 v6, s11
	ds_write_b32 v6, v5
	v_mov_b32_e32 v6, s10
	v_cmp_eq_u32_e32 vcc, s7, v0
	s_add_i32 s7, s7, 1
	v_cndmask_b32_e32 v2, v2, v6, vcc
	s_cmp_eq_u32 s7, s21
	v_cndmask_b32_e32 v3, v3, v8, vcc
	s_cbranch_scc1 .LBB34_20
.LBB34_13:                              ; =>This Loop Header: Depth=1
                                        ;     Child Loop BB34_15 Depth 2
	v_mov_b32_e32 v6, s7
	v_mov_b32_e32 v7, 0xff800000
	s_and_saveexec_b64 s[10:11], s[0:1]
	s_cbranch_execz .LBB34_17
; %bb.14:                               ;   in Loop: Header=BB34_13 Depth=1
	s_load_dword s22, s[2:3], 0xc
	s_mov_b64 s[12:13], 0
	v_mov_b32_e32 v6, s7
	v_mov_b32_e32 v7, 0xff800000
	;; [unrolled: 1-line block ×3, first 2 shown]
	s_waitcnt lgkmcnt(0)
	s_and_b32 s22, s22, 0xffff
	s_lshl_b32 s23, s22, 2
	v_mov_b32_e32 v9, v0
.LBB34_15:                              ;   Parent Loop BB34_13 Depth=1
                                        ; =>  This Inner Loop Header: Depth=2
	ds_read_b32 v10, v8
	v_add_u32_e32 v8, s23, v8
	s_waitcnt lgkmcnt(0)
	v_cmp_gt_f32_e32 vcc, v10, v7
	v_cndmask_b32_e32 v6, v6, v9, vcc
	v_add_u32_e32 v9, s22, v9
	v_cndmask_b32_e32 v7, v7, v10, vcc
	v_cmp_le_i32_e32 vcc, s20, v9
	s_or_b64 s[12:13], vcc, s[12:13]
	s_andn2_b64 exec, exec, s[12:13]
	s_cbranch_execnz .LBB34_15
; %bb.16:                               ;   in Loop: Header=BB34_13 Depth=1
	s_or_b64 exec, exec, s[12:13]
.LBB34_17:                              ;   in Loop: Header=BB34_13 Depth=1
	s_or_b64 exec, exec, s[10:11]
	;;#ASMSTART
	v_max_f32 v8, v7, v7 quad_perm:[1,0,3,2] row_mask:0xf bank_mask:0xf bound_ctrl:1
	;;#ASMEND
	;;#ASMSTART
	v_max_f32 v9, v8, v8 quad_perm:[2,3,0,1] row_mask:0xf bank_mask:0xf bound_ctrl:1
	;;#ASMEND
	;;#ASMSTART
	v_max_f32 v8, v9, v9 row_half_mirror row_mask:0xf bank_mask:0xf bound_ctrl:1
	;;#ASMEND
	;;#ASMSTART
	v_max_f32 v9, v8, v8 row_mirror row_mask:0xf bank_mask:0xf bound_ctrl:1
	;;#ASMEND
	;;#ASMSTART
	v_max_f32 v8, v9, v9 row_ror:4 row_mask:0xf bank_mask:0xf bound_ctrl:1
	;;#ASMEND
	;;#ASMSTART
	v_max_f32 v9, v8, v8 row_ror:8 row_mask:0xf bank_mask:0xf bound_ctrl:1
	;;#ASMEND
	;;#ASMSTART
	v_max_f32 v8, v9, v9 row_bcast:15 row_mask:0xf bank_mask:0xf bound_ctrl:1
	;;#ASMEND
	;;#ASMSTART
	v_max_f32 v9, v8, v8 row_bcast:31 row_mask:0xf bank_mask:0xf bound_ctrl:1
	;;#ASMEND
	ds_bpermute_b32 v8, v4, v9
	s_waitcnt lgkmcnt(0)
	v_cmp_eq_f32_e32 vcc, v7, v8
	s_ff1_i32_b64 s10, vcc
	s_cmp_lg_u64 vcc, 0
	s_cselect_b32 s10, s10, 0
	s_and_b64 vcc, exec, s[8:9]
	v_readlane_b32 s10, v6, s10
	s_cbranch_vccz .LBB34_12
; %bb.18:                               ;   in Loop: Header=BB34_13 Depth=1
	s_ashr_i32 s11, s10, 31
	s_lshl_b64 s[12:13], s[10:11], 2
	s_add_u32 s12, s14, s12
	s_addc_u32 s13, s15, s13
	s_load_dword s11, s[12:13], 0x0
	s_waitcnt lgkmcnt(0)
	v_subrev_f32_e32 v8, s11, v8
	s_branch .LBB34_12
.LBB34_19:
	v_mov_b32_e32 v3, 0
	v_mov_b32_e32 v2, 0
.LBB34_20:
	v_cmp_gt_i32_e32 vcc, s21, v0
	s_and_saveexec_b64 s[0:1], vcc
	s_cbranch_execz .LBB34_23
; %bb.21:
	s_load_dword s2, s[4:5], 0x34
	s_load_dwordx2 s[0:1], s[4:5], 0x20
	s_ashr_i32 s3, s6, 31
	s_load_dword s4, s[4:5], 0x44
	v_mov_b32_e32 v4, s17
	s_waitcnt lgkmcnt(0)
	v_mul_f32_e32 v1, s2, v3
	s_mul_i32 s1, s6, s1
	s_mul_hi_u32 s2, s6, s0
	s_add_i32 s1, s2, s1
	s_mul_i32 s3, s3, s0
	s_add_i32 s5, s1, s3
	s_mul_i32 s2, s6, s0
	s_and_b32 s3, s4, 0xffff
	s_mov_b64 s[0:1], 0
	v_mov_b32_e32 v3, s5
	v_mov_b32_e32 v5, s19
.LBB34_22:                              ; =>This Inner Loop Header: Depth=1
	v_ashrrev_i32_e32 v7, 31, v0
	v_add_co_u32_e32 v6, vcc, s2, v0
	v_addc_co_u32_e32 v7, vcc, v3, v7, vcc
	v_add_u32_e32 v0, s3, v0
	v_cmp_le_i32_e32 vcc, s21, v0
	v_lshlrev_b64 v[6:7], 2, v[6:7]
	s_or_b64 s[0:1], vcc, s[0:1]
	v_add_co_u32_e32 v8, vcc, s16, v6
	v_addc_co_u32_e32 v9, vcc, v4, v7, vcc
	v_add_co_u32_e32 v6, vcc, s18, v6
	v_addc_co_u32_e32 v7, vcc, v5, v7, vcc
	global_store_dword v[8:9], v1, off
	global_store_dword v[6:7], v2, off
	s_andn2_b64 exec, exec, s[0:1]
	s_cbranch_execnz .LBB34_22
.LBB34_23:
	s_endpgm
	.section	.rodata,"a",@progbits
	.p2align	6, 0x0
	.amdhsa_kernel _ZN5aiter20topk_softplus_kernelIffDv1_fLb0ELi0EEEvPKT_PKT0_PfPimiiif
		.amdhsa_group_segment_fixed_size 0
		.amdhsa_private_segment_fixed_size 0
		.amdhsa_kernarg_size 312
		.amdhsa_user_sgpr_count 6
		.amdhsa_user_sgpr_private_segment_buffer 1
		.amdhsa_user_sgpr_dispatch_ptr 0
		.amdhsa_user_sgpr_queue_ptr 0
		.amdhsa_user_sgpr_kernarg_segment_ptr 1
		.amdhsa_user_sgpr_dispatch_id 0
		.amdhsa_user_sgpr_flat_scratch_init 0
		.amdhsa_user_sgpr_kernarg_preload_length 0
		.amdhsa_user_sgpr_kernarg_preload_offset 0
		.amdhsa_user_sgpr_private_segment_size 0
		.amdhsa_uses_dynamic_stack 0
		.amdhsa_system_sgpr_private_segment_wavefront_offset 0
		.amdhsa_system_sgpr_workgroup_id_x 1
		.amdhsa_system_sgpr_workgroup_id_y 0
		.amdhsa_system_sgpr_workgroup_id_z 0
		.amdhsa_system_sgpr_workgroup_info 0
		.amdhsa_system_vgpr_workitem_id 0
		.amdhsa_next_free_vgpr 18
		.amdhsa_next_free_sgpr 31
		.amdhsa_accum_offset 20
		.amdhsa_reserve_vcc 1
		.amdhsa_reserve_flat_scratch 0
		.amdhsa_float_round_mode_32 0
		.amdhsa_float_round_mode_16_64 0
		.amdhsa_float_denorm_mode_32 3
		.amdhsa_float_denorm_mode_16_64 3
		.amdhsa_dx10_clamp 1
		.amdhsa_ieee_mode 1
		.amdhsa_fp16_overflow 0
		.amdhsa_tg_split 0
		.amdhsa_exception_fp_ieee_invalid_op 0
		.amdhsa_exception_fp_denorm_src 0
		.amdhsa_exception_fp_ieee_div_zero 0
		.amdhsa_exception_fp_ieee_overflow 0
		.amdhsa_exception_fp_ieee_underflow 0
		.amdhsa_exception_fp_ieee_inexact 0
		.amdhsa_exception_int_div_zero 0
	.end_amdhsa_kernel
	.section	.text._ZN5aiter20topk_softplus_kernelIffDv1_fLb0ELi0EEEvPKT_PKT0_PfPimiiif,"axG",@progbits,_ZN5aiter20topk_softplus_kernelIffDv1_fLb0ELi0EEEvPKT_PKT0_PfPimiiif,comdat
.Lfunc_end34:
	.size	_ZN5aiter20topk_softplus_kernelIffDv1_fLb0ELi0EEEvPKT_PKT0_PfPimiiif, .Lfunc_end34-_ZN5aiter20topk_softplus_kernelIffDv1_fLb0ELi0EEEvPKT_PKT0_PfPimiiif
                                        ; -- End function
	.section	.AMDGPU.csdata,"",@progbits
; Kernel info:
; codeLenInByte = 1540
; NumSgprs: 35
; NumVgprs: 18
; NumAgprs: 0
; TotalNumVgprs: 18
; ScratchSize: 0
; MemoryBound: 0
; FloatMode: 240
; IeeeMode: 1
; LDSByteSize: 0 bytes/workgroup (compile time only)
; SGPRBlocks: 4
; VGPRBlocks: 2
; NumSGPRsForWavesPerEU: 35
; NumVGPRsForWavesPerEU: 18
; AccumOffset: 20
; Occupancy: 8
; WaveLimiterHint : 0
; COMPUTE_PGM_RSRC2:SCRATCH_EN: 0
; COMPUTE_PGM_RSRC2:USER_SGPR: 6
; COMPUTE_PGM_RSRC2:TRAP_HANDLER: 0
; COMPUTE_PGM_RSRC2:TGID_X_EN: 1
; COMPUTE_PGM_RSRC2:TGID_Y_EN: 0
; COMPUTE_PGM_RSRC2:TGID_Z_EN: 0
; COMPUTE_PGM_RSRC2:TIDIG_COMP_CNT: 0
; COMPUTE_PGM_RSRC3_GFX90A:ACCUM_OFFSET: 4
; COMPUTE_PGM_RSRC3_GFX90A:TG_SPLIT: 0
	.section	.text._ZN5aiter24topk_softplus_kernel_optIf6__halfLi64ELb1ELi1EEEvPKT_PKT0_PfPimiif,"axG",@progbits,_ZN5aiter24topk_softplus_kernel_optIf6__halfLi64ELb1ELi1EEEvPKT_PKT0_PfPimiif,comdat
	.protected	_ZN5aiter24topk_softplus_kernel_optIf6__halfLi64ELb1ELi1EEEvPKT_PKT0_PfPimiif ; -- Begin function _ZN5aiter24topk_softplus_kernel_optIf6__halfLi64ELb1ELi1EEEvPKT_PKT0_PfPimiif
	.globl	_ZN5aiter24topk_softplus_kernel_optIf6__halfLi64ELb1ELi1EEEvPKT_PKT0_PfPimiif
	.p2align	8
	.type	_ZN5aiter24topk_softplus_kernel_optIf6__halfLi64ELb1ELi1EEEvPKT_PKT0_PfPimiif,@function
_ZN5aiter24topk_softplus_kernel_optIf6__halfLi64ELb1ELi1EEEvPKT_PKT0_PfPimiif: ; @_ZN5aiter24topk_softplus_kernel_optIf6__halfLi64ELb1ELi1EEEvPKT_PKT0_PfPimiif
; %bb.0:
	s_load_dwordx4 s[0:3], s[4:5], 0x0
	s_lshl_b32 s8, s6, 6
	s_ashr_i32 s9, s8, 31
	s_lshl_b64 s[8:9], s[8:9], 2
	v_lshlrev_b32_e32 v1, 2, v0
	s_waitcnt lgkmcnt(0)
	s_add_u32 s0, s0, s8
	s_addc_u32 s1, s1, s9
	global_load_dword v2, v1, s[0:1]
	s_mov_b32 s0, 0xc2fc0000
	v_mov_b32_e32 v3, 0x42800000
	s_cmp_eq_u64 s[2:3], 0
	s_waitcnt vmcnt(0)
	v_mul_f32_e32 v4, 0xbfb8aa3b, v2
	v_cmp_gt_f32_e32 vcc, s0, v4
	v_cndmask_b32_e32 v3, 0, v3, vcc
	v_fmac_f32_e32 v3, 0xbfb8aa3b, v2
	v_exp_f32_e32 v2, v3
	v_mov_b32_e32 v3, 0x1f800000
	v_cndmask_b32_e32 v3, 1.0, v3, vcc
	v_fma_f32 v2, v2, v3, 1.0
	v_rcp_f32_e32 v4, v2
	v_mov_b32_e32 v2, 0
	v_mov_b32_e32 v5, v4
	s_cbranch_scc1 .LBB35_2
; %bb.1:
	v_lshlrev_b32_e32 v3, 1, v0
	global_load_ushort v3, v3, s[2:3]
	s_waitcnt vmcnt(0)
	v_cvt_f32_f16_e32 v3, v3
	v_add_f32_e32 v5, v4, v3
.LBB35_2:
	s_load_dword s2, s[4:5], 0x28
	s_load_dwordx4 s[8:11], s[4:5], 0x10
	s_mov_b32 s3, 0
	v_mov_b32_e32 v6, 0
	v_mov_b32_e32 v3, 0
	s_waitcnt lgkmcnt(0)
	s_cmp_lt_i32 s2, 1
	s_cbranch_scc1 .LBB35_5
; %bb.3:
	v_mbcnt_lo_u32_b32 v2, -1, 0
	v_mbcnt_hi_u32_b32 v2, -1, v2
	v_bfrev_b32_e32 v3, 0.5
	v_mov_b32_e32 v7, 0
	v_mov_b32_e32 v8, 0xff800000
	v_lshl_or_b32 v9, v2, 2, v3
	v_mov_b32_e32 v6, 0
	v_mov_b32_e32 v2, 0
	;; [unrolled: 1-line block ×3, first 2 shown]
.LBB35_4:                               ; =>This Inner Loop Header: Depth=1
	v_cmp_eq_u32_e32 vcc, 0, v7
	v_cndmask_b32_e32 v10, v8, v5, vcc
	;;#ASMSTART
	v_max_f32 v12, v10, v10 quad_perm:[1,0,3,2] row_mask:0xf bank_mask:0xf bound_ctrl:1
	;;#ASMEND
	;;#ASMSTART
	v_max_f32 v13, v12, v12 quad_perm:[2,3,0,1] row_mask:0xf bank_mask:0xf bound_ctrl:1
	;;#ASMEND
	;;#ASMSTART
	v_max_f32 v12, v13, v13 row_half_mirror row_mask:0xf bank_mask:0xf bound_ctrl:1
	;;#ASMEND
	;;#ASMSTART
	v_max_f32 v13, v12, v12 row_mirror row_mask:0xf bank_mask:0xf bound_ctrl:1
	;;#ASMEND
	;;#ASMSTART
	v_max_f32 v12, v13, v13 row_ror:4 row_mask:0xf bank_mask:0xf bound_ctrl:1
	;;#ASMEND
	;;#ASMSTART
	v_max_f32 v13, v12, v12 row_ror:8 row_mask:0xf bank_mask:0xf bound_ctrl:1
	;;#ASMEND
	;;#ASMSTART
	v_max_f32 v12, v13, v13 row_bcast:15 row_mask:0xf bank_mask:0xf bound_ctrl:1
	;;#ASMEND
	;;#ASMSTART
	v_max_f32 v13, v12, v12 row_bcast:31 row_mask:0xf bank_mask:0xf bound_ctrl:1
	;;#ASMEND
	ds_bpermute_b32 v12, v9, v13
	v_cndmask_b32_e32 v11, 0, v0, vcc
	s_waitcnt lgkmcnt(0)
	v_cmp_eq_f32_e64 s[0:1], v10, v12
	s_ff1_i32_b64 s7, s[0:1]
	s_cmp_lg_u64 s[0:1], 0
	s_cselect_b32 s0, s7, 0
	s_nop 0
	v_readlane_b32 s7, v11, s0
	v_cmp_eq_u32_e64 s[0:1], s7, v0
	s_and_b64 vcc, vcc, s[0:1]
	s_and_b32 s12, s7, 63
	v_cndmask_b32_e32 v11, 0, v4, vcc
	v_addc_co_u32_e32 v7, vcc, 0, v7, vcc
	v_readlane_b32 s0, v11, s12
	v_mov_b32_e32 v10, s7
	v_mov_b32_e32 v11, s0
	v_cmp_eq_u32_e32 vcc, s3, v0
	s_add_i32 s3, s3, 1
	v_add_f32_e32 v6, s0, v6
	v_cndmask_b32_e32 v3, v3, v11, vcc
	s_cmp_eq_u32 s2, s3
	v_cndmask_b32_e32 v2, v2, v10, vcc
	s_cbranch_scc0 .LBB35_4
.LBB35_5:
	v_cmp_gt_i32_e32 vcc, s2, v0
	s_and_saveexec_b64 s[0:1], vcc
	s_cbranch_execz .LBB35_7
; %bb.6:
	s_load_dword s2, s[4:5], 0x30
	v_max_f32_e32 v0, v6, v6
	v_max_f32_e32 v0, 0x1e3ce508, v0
	s_waitcnt lgkmcnt(0)
	v_div_scale_f32 v4, s[0:1], v0, v0, s2
	v_rcp_f32_e32 v5, v4
	v_div_scale_f32 v6, vcc, s2, v0, s2
	s_load_dwordx2 s[0:1], s[4:5], 0x20
	v_fma_f32 v7, -v4, v5, 1.0
	v_fmac_f32_e32 v5, v7, v5
	v_mul_f32_e32 v7, v6, v5
	v_fma_f32 v8, -v4, v7, v6
	v_fmac_f32_e32 v7, v8, v5
	v_fma_f32 v4, -v4, v7, v6
	v_div_fmas_f32 v4, v4, v5, v7
	v_div_fixup_f32 v0, v4, v0, s2
	s_ashr_i32 s2, s6, 31
	s_waitcnt lgkmcnt(0)
	s_mul_i32 s1, s6, s1
	s_mul_hi_u32 s3, s6, s0
	s_add_i32 s1, s3, s1
	s_mul_i32 s2, s2, s0
	s_add_i32 s1, s1, s2
	s_mul_i32 s0, s6, s0
	s_lshl_b64 s[0:1], s[0:1], 2
	s_add_u32 s2, s8, s0
	s_addc_u32 s3, s9, s1
	s_add_u32 s0, s10, s0
	v_mul_f32_e32 v0, v3, v0
	s_addc_u32 s1, s11, s1
	global_store_dword v1, v0, s[2:3]
	global_store_dword v1, v2, s[0:1]
.LBB35_7:
	s_endpgm
	.section	.rodata,"a",@progbits
	.p2align	6, 0x0
	.amdhsa_kernel _ZN5aiter24topk_softplus_kernel_optIf6__halfLi64ELb1ELi1EEEvPKT_PKT0_PfPimiif
		.amdhsa_group_segment_fixed_size 0
		.amdhsa_private_segment_fixed_size 0
		.amdhsa_kernarg_size 52
		.amdhsa_user_sgpr_count 6
		.amdhsa_user_sgpr_private_segment_buffer 1
		.amdhsa_user_sgpr_dispatch_ptr 0
		.amdhsa_user_sgpr_queue_ptr 0
		.amdhsa_user_sgpr_kernarg_segment_ptr 1
		.amdhsa_user_sgpr_dispatch_id 0
		.amdhsa_user_sgpr_flat_scratch_init 0
		.amdhsa_user_sgpr_kernarg_preload_length 0
		.amdhsa_user_sgpr_kernarg_preload_offset 0
		.amdhsa_user_sgpr_private_segment_size 0
		.amdhsa_uses_dynamic_stack 0
		.amdhsa_system_sgpr_private_segment_wavefront_offset 0
		.amdhsa_system_sgpr_workgroup_id_x 1
		.amdhsa_system_sgpr_workgroup_id_y 0
		.amdhsa_system_sgpr_workgroup_id_z 0
		.amdhsa_system_sgpr_workgroup_info 0
		.amdhsa_system_vgpr_workitem_id 0
		.amdhsa_next_free_vgpr 14
		.amdhsa_next_free_sgpr 13
		.amdhsa_accum_offset 16
		.amdhsa_reserve_vcc 1
		.amdhsa_reserve_flat_scratch 0
		.amdhsa_float_round_mode_32 0
		.amdhsa_float_round_mode_16_64 0
		.amdhsa_float_denorm_mode_32 3
		.amdhsa_float_denorm_mode_16_64 3
		.amdhsa_dx10_clamp 1
		.amdhsa_ieee_mode 1
		.amdhsa_fp16_overflow 0
		.amdhsa_tg_split 0
		.amdhsa_exception_fp_ieee_invalid_op 0
		.amdhsa_exception_fp_denorm_src 0
		.amdhsa_exception_fp_ieee_div_zero 0
		.amdhsa_exception_fp_ieee_overflow 0
		.amdhsa_exception_fp_ieee_underflow 0
		.amdhsa_exception_fp_ieee_inexact 0
		.amdhsa_exception_int_div_zero 0
	.end_amdhsa_kernel
	.section	.text._ZN5aiter24topk_softplus_kernel_optIf6__halfLi64ELb1ELi1EEEvPKT_PKT0_PfPimiif,"axG",@progbits,_ZN5aiter24topk_softplus_kernel_optIf6__halfLi64ELb1ELi1EEEvPKT_PKT0_PfPimiif,comdat
.Lfunc_end35:
	.size	_ZN5aiter24topk_softplus_kernel_optIf6__halfLi64ELb1ELi1EEEvPKT_PKT0_PfPimiif, .Lfunc_end35-_ZN5aiter24topk_softplus_kernel_optIf6__halfLi64ELb1ELi1EEEvPKT_PKT0_PfPimiif
                                        ; -- End function
	.section	.AMDGPU.csdata,"",@progbits
; Kernel info:
; codeLenInByte = 628
; NumSgprs: 17
; NumVgprs: 14
; NumAgprs: 0
; TotalNumVgprs: 14
; ScratchSize: 0
; MemoryBound: 0
; FloatMode: 240
; IeeeMode: 1
; LDSByteSize: 0 bytes/workgroup (compile time only)
; SGPRBlocks: 2
; VGPRBlocks: 1
; NumSGPRsForWavesPerEU: 17
; NumVGPRsForWavesPerEU: 14
; AccumOffset: 16
; Occupancy: 8
; WaveLimiterHint : 0
; COMPUTE_PGM_RSRC2:SCRATCH_EN: 0
; COMPUTE_PGM_RSRC2:USER_SGPR: 6
; COMPUTE_PGM_RSRC2:TRAP_HANDLER: 0
; COMPUTE_PGM_RSRC2:TGID_X_EN: 1
; COMPUTE_PGM_RSRC2:TGID_Y_EN: 0
; COMPUTE_PGM_RSRC2:TGID_Z_EN: 0
; COMPUTE_PGM_RSRC2:TIDIG_COMP_CNT: 0
; COMPUTE_PGM_RSRC3_GFX90A:ACCUM_OFFSET: 3
; COMPUTE_PGM_RSRC3_GFX90A:TG_SPLIT: 0
	.section	.text._ZN5aiter24topk_softplus_kernel_optIf6__halfLi64ELb0ELi1EEEvPKT_PKT0_PfPimiif,"axG",@progbits,_ZN5aiter24topk_softplus_kernel_optIf6__halfLi64ELb0ELi1EEEvPKT_PKT0_PfPimiif,comdat
	.protected	_ZN5aiter24topk_softplus_kernel_optIf6__halfLi64ELb0ELi1EEEvPKT_PKT0_PfPimiif ; -- Begin function _ZN5aiter24topk_softplus_kernel_optIf6__halfLi64ELb0ELi1EEEvPKT_PKT0_PfPimiif
	.globl	_ZN5aiter24topk_softplus_kernel_optIf6__halfLi64ELb0ELi1EEEvPKT_PKT0_PfPimiif
	.p2align	8
	.type	_ZN5aiter24topk_softplus_kernel_optIf6__halfLi64ELb0ELi1EEEvPKT_PKT0_PfPimiif,@function
_ZN5aiter24topk_softplus_kernel_optIf6__halfLi64ELb0ELi1EEEvPKT_PKT0_PfPimiif: ; @_ZN5aiter24topk_softplus_kernel_optIf6__halfLi64ELb0ELi1EEEvPKT_PKT0_PfPimiif
; %bb.0:
	s_load_dwordx4 s[0:3], s[4:5], 0x0
	s_lshl_b32 s8, s6, 6
	s_ashr_i32 s9, s8, 31
	s_lshl_b64 s[8:9], s[8:9], 2
	v_lshlrev_b32_e32 v1, 2, v0
	s_waitcnt lgkmcnt(0)
	s_add_u32 s0, s0, s8
	s_addc_u32 s1, s1, s9
	global_load_dword v2, v1, s[0:1]
	s_mov_b32 s0, 0xc2fc0000
	v_mov_b32_e32 v3, 0x42800000
	s_cmp_eq_u64 s[2:3], 0
	s_waitcnt vmcnt(0)
	v_mul_f32_e32 v4, 0xbfb8aa3b, v2
	v_cmp_gt_f32_e32 vcc, s0, v4
	v_cndmask_b32_e32 v3, 0, v3, vcc
	v_fmac_f32_e32 v3, 0xbfb8aa3b, v2
	v_exp_f32_e32 v2, v3
	v_mov_b32_e32 v3, 0x1f800000
	v_cndmask_b32_e32 v3, 1.0, v3, vcc
	v_fma_f32 v2, v2, v3, 1.0
	v_rcp_f32_e32 v4, v2
	v_mov_b32_e32 v2, 0
	v_mov_b32_e32 v5, v4
	s_cbranch_scc1 .LBB36_2
; %bb.1:
	v_lshlrev_b32_e32 v3, 1, v0
	global_load_ushort v3, v3, s[2:3]
	s_waitcnt vmcnt(0)
	v_cvt_f32_f16_e32 v3, v3
	v_add_f32_e32 v5, v4, v3
.LBB36_2:
	s_load_dword s2, s[4:5], 0x28
	s_load_dwordx4 s[8:11], s[4:5], 0x10
	s_waitcnt lgkmcnt(0)
	s_cmp_lt_i32 s2, 1
	s_cbranch_scc1 .LBB36_8
; %bb.3:
	v_mbcnt_lo_u32_b32 v2, -1, 0
	v_mbcnt_hi_u32_b32 v2, -1, v2
	v_bfrev_b32_e32 v8, 0.5
	s_mov_b32 s3, 0
	v_mov_b32_e32 v6, 0
	v_mov_b32_e32 v3, 0
	;; [unrolled: 1-line block ×3, first 2 shown]
	v_lshl_or_b32 v8, v2, 2, v8
	v_mov_b32_e32 v2, 0
.LBB36_4:                               ; =>This Inner Loop Header: Depth=1
	v_cmp_eq_u32_e32 vcc, 0, v6
	v_cndmask_b32_e32 v9, v7, v5, vcc
	;;#ASMSTART
	v_max_f32 v11, v9, v9 quad_perm:[1,0,3,2] row_mask:0xf bank_mask:0xf bound_ctrl:1
	;;#ASMEND
	;;#ASMSTART
	v_max_f32 v12, v11, v11 quad_perm:[2,3,0,1] row_mask:0xf bank_mask:0xf bound_ctrl:1
	;;#ASMEND
	;;#ASMSTART
	v_max_f32 v11, v12, v12 row_half_mirror row_mask:0xf bank_mask:0xf bound_ctrl:1
	;;#ASMEND
	;;#ASMSTART
	v_max_f32 v12, v11, v11 row_mirror row_mask:0xf bank_mask:0xf bound_ctrl:1
	;;#ASMEND
	;;#ASMSTART
	v_max_f32 v11, v12, v12 row_ror:4 row_mask:0xf bank_mask:0xf bound_ctrl:1
	;;#ASMEND
	;;#ASMSTART
	v_max_f32 v12, v11, v11 row_ror:8 row_mask:0xf bank_mask:0xf bound_ctrl:1
	;;#ASMEND
	;;#ASMSTART
	v_max_f32 v11, v12, v12 row_bcast:15 row_mask:0xf bank_mask:0xf bound_ctrl:1
	;;#ASMEND
	;;#ASMSTART
	v_max_f32 v12, v11, v11 row_bcast:31 row_mask:0xf bank_mask:0xf bound_ctrl:1
	;;#ASMEND
	ds_bpermute_b32 v11, v8, v12
	v_cndmask_b32_e32 v10, 0, v0, vcc
	s_waitcnt lgkmcnt(0)
	v_cmp_eq_f32_e64 s[0:1], v9, v11
	s_ff1_i32_b64 s7, s[0:1]
	s_cmp_lg_u64 s[0:1], 0
	s_cselect_b32 s0, s7, 0
	s_nop 0
	v_readlane_b32 s7, v10, s0
	v_cmp_eq_u32_e64 s[0:1], s7, v0
	s_and_b64 vcc, vcc, s[0:1]
	s_and_b32 s12, s7, 63
	v_cndmask_b32_e32 v10, 0, v4, vcc
	v_addc_co_u32_e32 v6, vcc, 0, v6, vcc
	v_readlane_b32 s0, v10, s12
	v_mov_b32_e32 v9, s7
	v_mov_b32_e32 v10, s0
	v_cmp_eq_u32_e32 vcc, s3, v0
	s_add_i32 s3, s3, 1
	v_cndmask_b32_e32 v3, v3, v10, vcc
	s_cmp_eq_u32 s2, s3
	v_cndmask_b32_e32 v2, v2, v9, vcc
	s_cbranch_scc0 .LBB36_4
; %bb.5:
	v_cmp_gt_i32_e32 vcc, s2, v0
	s_and_saveexec_b64 s[0:1], vcc
	s_cbranch_execz .LBB36_7
.LBB36_6:
	s_load_dword s2, s[4:5], 0x30
	s_load_dwordx2 s[0:1], s[4:5], 0x20
	s_ashr_i32 s3, s6, 31
	s_waitcnt lgkmcnt(0)
	v_mul_f32_e32 v0, s2, v3
	s_mul_i32 s1, s6, s1
	s_mul_hi_u32 s2, s6, s0
	s_add_i32 s1, s2, s1
	s_mul_i32 s3, s3, s0
	s_add_i32 s1, s1, s3
	s_mul_i32 s0, s6, s0
	s_lshl_b64 s[0:1], s[0:1], 2
	s_add_u32 s2, s8, s0
	s_addc_u32 s3, s9, s1
	s_add_u32 s0, s10, s0
	s_addc_u32 s1, s11, s1
	global_store_dword v1, v0, s[2:3]
	global_store_dword v1, v2, s[0:1]
.LBB36_7:
	s_endpgm
.LBB36_8:
	v_mov_b32_e32 v3, 0
	v_cmp_gt_i32_e32 vcc, s2, v0
	s_and_saveexec_b64 s[0:1], vcc
	s_cbranch_execnz .LBB36_6
	s_branch .LBB36_7
	.section	.rodata,"a",@progbits
	.p2align	6, 0x0
	.amdhsa_kernel _ZN5aiter24topk_softplus_kernel_optIf6__halfLi64ELb0ELi1EEEvPKT_PKT0_PfPimiif
		.amdhsa_group_segment_fixed_size 0
		.amdhsa_private_segment_fixed_size 0
		.amdhsa_kernarg_size 52
		.amdhsa_user_sgpr_count 6
		.amdhsa_user_sgpr_private_segment_buffer 1
		.amdhsa_user_sgpr_dispatch_ptr 0
		.amdhsa_user_sgpr_queue_ptr 0
		.amdhsa_user_sgpr_kernarg_segment_ptr 1
		.amdhsa_user_sgpr_dispatch_id 0
		.amdhsa_user_sgpr_flat_scratch_init 0
		.amdhsa_user_sgpr_kernarg_preload_length 0
		.amdhsa_user_sgpr_kernarg_preload_offset 0
		.amdhsa_user_sgpr_private_segment_size 0
		.amdhsa_uses_dynamic_stack 0
		.amdhsa_system_sgpr_private_segment_wavefront_offset 0
		.amdhsa_system_sgpr_workgroup_id_x 1
		.amdhsa_system_sgpr_workgroup_id_y 0
		.amdhsa_system_sgpr_workgroup_id_z 0
		.amdhsa_system_sgpr_workgroup_info 0
		.amdhsa_system_vgpr_workitem_id 0
		.amdhsa_next_free_vgpr 13
		.amdhsa_next_free_sgpr 13
		.amdhsa_accum_offset 16
		.amdhsa_reserve_vcc 1
		.amdhsa_reserve_flat_scratch 0
		.amdhsa_float_round_mode_32 0
		.amdhsa_float_round_mode_16_64 0
		.amdhsa_float_denorm_mode_32 3
		.amdhsa_float_denorm_mode_16_64 3
		.amdhsa_dx10_clamp 1
		.amdhsa_ieee_mode 1
		.amdhsa_fp16_overflow 0
		.amdhsa_tg_split 0
		.amdhsa_exception_fp_ieee_invalid_op 0
		.amdhsa_exception_fp_denorm_src 0
		.amdhsa_exception_fp_ieee_div_zero 0
		.amdhsa_exception_fp_ieee_overflow 0
		.amdhsa_exception_fp_ieee_underflow 0
		.amdhsa_exception_fp_ieee_inexact 0
		.amdhsa_exception_int_div_zero 0
	.end_amdhsa_kernel
	.section	.text._ZN5aiter24topk_softplus_kernel_optIf6__halfLi64ELb0ELi1EEEvPKT_PKT0_PfPimiif,"axG",@progbits,_ZN5aiter24topk_softplus_kernel_optIf6__halfLi64ELb0ELi1EEEvPKT_PKT0_PfPimiif,comdat
.Lfunc_end36:
	.size	_ZN5aiter24topk_softplus_kernel_optIf6__halfLi64ELb0ELi1EEEvPKT_PKT0_PfPimiif, .Lfunc_end36-_ZN5aiter24topk_softplus_kernel_optIf6__halfLi64ELb0ELi1EEEvPKT_PKT0_PfPimiif
                                        ; -- End function
	.section	.AMDGPU.csdata,"",@progbits
; Kernel info:
; codeLenInByte = 544
; NumSgprs: 17
; NumVgprs: 13
; NumAgprs: 0
; TotalNumVgprs: 13
; ScratchSize: 0
; MemoryBound: 0
; FloatMode: 240
; IeeeMode: 1
; LDSByteSize: 0 bytes/workgroup (compile time only)
; SGPRBlocks: 2
; VGPRBlocks: 1
; NumSGPRsForWavesPerEU: 17
; NumVGPRsForWavesPerEU: 13
; AccumOffset: 16
; Occupancy: 8
; WaveLimiterHint : 0
; COMPUTE_PGM_RSRC2:SCRATCH_EN: 0
; COMPUTE_PGM_RSRC2:USER_SGPR: 6
; COMPUTE_PGM_RSRC2:TRAP_HANDLER: 0
; COMPUTE_PGM_RSRC2:TGID_X_EN: 1
; COMPUTE_PGM_RSRC2:TGID_Y_EN: 0
; COMPUTE_PGM_RSRC2:TGID_Z_EN: 0
; COMPUTE_PGM_RSRC2:TIDIG_COMP_CNT: 0
; COMPUTE_PGM_RSRC3_GFX90A:ACCUM_OFFSET: 3
; COMPUTE_PGM_RSRC3_GFX90A:TG_SPLIT: 0
	.section	.text._ZN5aiter24topk_softplus_kernel_optIf6__halfLi128ELb1ELi1EEEvPKT_PKT0_PfPimiif,"axG",@progbits,_ZN5aiter24topk_softplus_kernel_optIf6__halfLi128ELb1ELi1EEEvPKT_PKT0_PfPimiif,comdat
	.protected	_ZN5aiter24topk_softplus_kernel_optIf6__halfLi128ELb1ELi1EEEvPKT_PKT0_PfPimiif ; -- Begin function _ZN5aiter24topk_softplus_kernel_optIf6__halfLi128ELb1ELi1EEEvPKT_PKT0_PfPimiif
	.globl	_ZN5aiter24topk_softplus_kernel_optIf6__halfLi128ELb1ELi1EEEvPKT_PKT0_PfPimiif
	.p2align	8
	.type	_ZN5aiter24topk_softplus_kernel_optIf6__halfLi128ELb1ELi1EEEvPKT_PKT0_PfPimiif,@function
_ZN5aiter24topk_softplus_kernel_optIf6__halfLi128ELb1ELi1EEEvPKT_PKT0_PfPimiif: ; @_ZN5aiter24topk_softplus_kernel_optIf6__halfLi128ELb1ELi1EEEvPKT_PKT0_PfPimiif
; %bb.0:
	s_load_dwordx4 s[0:3], s[4:5], 0x0
	s_lshl_b32 s8, s6, 7
	s_ashr_i32 s9, s8, 31
	s_lshl_b64 s[8:9], s[8:9], 2
	v_lshlrev_b32_e32 v7, 2, v0
	s_waitcnt lgkmcnt(0)
	s_add_u32 s8, s0, s8
	s_addc_u32 s9, s1, s9
	global_load_dword v2, v7, s[8:9]
	s_mov_b32 s7, 0xc2fc0000
	v_mov_b32_e32 v5, 0x42800000
	v_mov_b32_e32 v8, 0x1f800000
	s_cmp_lg_u64 s[2:3], 0
	s_cselect_b64 s[0:1], -1, 0
	v_lshlrev_b32_e32 v1, 1, v0
	s_waitcnt vmcnt(0)
	v_mul_f32_e32 v3, 0xbfb8aa3b, v2
	v_cmp_gt_f32_e32 vcc, s7, v3
	v_cndmask_b32_e32 v3, 0, v5, vcc
	v_fmac_f32_e32 v3, 0xbfb8aa3b, v2
	v_exp_f32_e32 v2, v3
	v_cndmask_b32_e32 v4, 1.0, v8, vcc
	v_mov_b32_e32 v3, s9
	v_fma_f32 v2, v2, v4, 1.0
	v_rcp_f32_e32 v6, v2
	v_add_co_u32_e32 v2, vcc, s8, v7
	v_addc_co_u32_e32 v3, vcc, 0, v3, vcc
	s_and_b64 vcc, exec, s[0:1]
	v_mov_b32_e32 v4, v6
	s_cbranch_vccz .LBB37_2
; %bb.1:
	global_load_ushort v4, v1, s[2:3]
	s_waitcnt vmcnt(0)
	v_cvt_f32_f16_e32 v4, v4
	v_add_f32_e32 v4, v6, v4
.LBB37_2:
	global_load_dword v2, v[2:3], off offset:256
	s_waitcnt vmcnt(0)
	v_mul_f32_e32 v3, 0xbfb8aa3b, v2
	v_cmp_gt_f32_e32 vcc, s7, v3
	v_cndmask_b32_e32 v5, 0, v5, vcc
	v_fmac_f32_e32 v5, 0xbfb8aa3b, v2
	v_exp_f32_e32 v2, v5
	v_cndmask_b32_e32 v3, 1.0, v8, vcc
	s_andn2_b64 vcc, exec, s[0:1]
	v_fma_f32 v2, v2, v3, 1.0
	v_rcp_f32_e32 v11, v2
	v_mov_b32_e32 v5, v11
	s_cbranch_vccnz .LBB37_4
; %bb.3:
	global_load_ushort v1, v1, s[2:3] offset:128
	s_waitcnt vmcnt(0)
	v_cvt_f32_f16_e32 v1, v1
	v_add_f32_e32 v5, v11, v1
.LBB37_4:
	s_load_dword s2, s[4:5], 0x28
	s_load_dwordx4 s[8:11], s[4:5], 0x10
	v_mov_b32_e32 v10, 0
	v_mov_b32_e32 v8, 0
	;; [unrolled: 1-line block ×3, first 2 shown]
	s_waitcnt lgkmcnt(0)
	s_cmp_gt_i32 s2, 0
	s_cbranch_scc0 .LBB37_7
; %bb.5:
	v_mbcnt_lo_u32_b32 v8, -1, 0
	v_add_u32_e32 v2, 64, v0
	v_cmp_lt_f32_e32 vcc, v4, v5
	v_mbcnt_hi_u32_b32 v8, -1, v8
	v_bfrev_b32_e32 v9, 0.5
	v_cndmask_b32_e32 v1, v2, v0, vcc
	v_cndmask_b32_e32 v2, v0, v2, vcc
	;; [unrolled: 1-line block ×6, first 2 shown]
	v_mov_b32_e32 v10, 0
	v_mov_b32_e32 v11, 0
	;; [unrolled: 1-line block ×3, first 2 shown]
	v_lshl_or_b32 v13, v8, 2, v9
	v_mov_b32_e32 v14, v0
	s_mov_b32 s3, s2
	v_mov_b32_e32 v8, 0
	v_mov_b32_e32 v9, 0
.LBB37_6:                               ; =>This Inner Loop Header: Depth=1
	v_cmp_eq_u32_e32 vcc, 1, v11
	v_cndmask_b32_e32 v15, v4, v3, vcc
	v_cmp_gt_u32_e64 s[0:1], 2, v11
	v_cndmask_b32_e64 v15, v12, v15, s[0:1]
	;;#ASMSTART
	v_max_f32 v19, v15, v15 quad_perm:[1,0,3,2] row_mask:0xf bank_mask:0xf bound_ctrl:1
	;;#ASMEND
	;;#ASMSTART
	v_max_f32 v20, v19, v19 quad_perm:[2,3,0,1] row_mask:0xf bank_mask:0xf bound_ctrl:1
	;;#ASMEND
	;;#ASMSTART
	v_max_f32 v19, v20, v20 row_half_mirror row_mask:0xf bank_mask:0xf bound_ctrl:1
	;;#ASMEND
	;;#ASMSTART
	v_max_f32 v20, v19, v19 row_mirror row_mask:0xf bank_mask:0xf bound_ctrl:1
	;;#ASMEND
	;;#ASMSTART
	v_max_f32 v19, v20, v20 row_ror:4 row_mask:0xf bank_mask:0xf bound_ctrl:1
	;;#ASMEND
	;;#ASMSTART
	v_max_f32 v20, v19, v19 row_ror:8 row_mask:0xf bank_mask:0xf bound_ctrl:1
	;;#ASMEND
	;;#ASMSTART
	v_max_f32 v19, v20, v20 row_bcast:15 row_mask:0xf bank_mask:0xf bound_ctrl:1
	;;#ASMEND
	;;#ASMSTART
	v_max_f32 v20, v19, v19 row_bcast:31 row_mask:0xf bank_mask:0xf bound_ctrl:1
	;;#ASMEND
	ds_bpermute_b32 v19, v13, v20
	v_cndmask_b32_e32 v16, v2, v1, vcc
	v_cndmask_b32_e32 v17, v6, v5, vcc
	v_cndmask_b32_e64 v18, 0, v16, s[0:1]
	s_waitcnt lgkmcnt(0)
	v_cmp_eq_f32_e32 vcc, v15, v19
	s_ff1_i32_b64 s7, vcc
	s_cmp_lg_u64 vcc, 0
	s_cselect_b32 s7, s7, 0
	v_readlane_b32 s7, v18, s7
	v_cmp_eq_u32_e32 vcc, s7, v16
	s_and_b64 vcc, s[0:1], vcc
	s_and_b32 s12, s7, 63
	v_cndmask_b32_e32 v16, 0, v17, vcc
	v_addc_co_u32_e32 v11, vcc, 0, v11, vcc
	v_readlane_b32 s0, v16, s12
	s_add_i32 s3, s3, -1
	v_mov_b32_e32 v15, s7
	v_mov_b32_e32 v16, s0
	v_cmp_eq_u32_e32 vcc, 0, v14
	s_cmp_eq_u32 s3, 0
	v_add_f32_e32 v10, s0, v10
	v_add_u32_e32 v14, -1, v14
	v_cndmask_b32_e32 v9, v9, v16, vcc
	v_cndmask_b32_e32 v8, v8, v15, vcc
	s_cbranch_scc0 .LBB37_6
.LBB37_7:
	v_cmp_gt_i32_e32 vcc, s2, v0
	s_and_saveexec_b64 s[0:1], vcc
	s_cbranch_execz .LBB37_9
; %bb.8:
	s_load_dword s2, s[4:5], 0x30
	v_max_f32_e32 v0, v10, v10
	v_max_f32_e32 v0, 0x1e3ce508, v0
	s_waitcnt lgkmcnt(0)
	v_div_scale_f32 v1, s[0:1], v0, v0, s2
	v_rcp_f32_e32 v2, v1
	v_div_scale_f32 v3, vcc, s2, v0, s2
	s_load_dwordx2 s[0:1], s[4:5], 0x20
	v_fma_f32 v4, -v1, v2, 1.0
	v_fmac_f32_e32 v2, v4, v2
	v_mul_f32_e32 v4, v3, v2
	v_fma_f32 v5, -v1, v4, v3
	v_fmac_f32_e32 v4, v5, v2
	v_fma_f32 v1, -v1, v4, v3
	v_div_fmas_f32 v1, v1, v2, v4
	v_div_fixup_f32 v0, v1, v0, s2
	s_ashr_i32 s2, s6, 31
	s_waitcnt lgkmcnt(0)
	s_mul_i32 s1, s6, s1
	s_mul_hi_u32 s3, s6, s0
	s_add_i32 s1, s3, s1
	s_mul_i32 s2, s2, s0
	s_add_i32 s1, s1, s2
	s_mul_i32 s0, s6, s0
	s_lshl_b64 s[0:1], s[0:1], 2
	s_add_u32 s2, s8, s0
	s_addc_u32 s3, s9, s1
	s_add_u32 s0, s10, s0
	v_mul_f32_e32 v0, v9, v0
	s_addc_u32 s1, s11, s1
	global_store_dword v7, v0, s[2:3]
	global_store_dword v7, v8, s[0:1]
.LBB37_9:
	s_endpgm
	.section	.rodata,"a",@progbits
	.p2align	6, 0x0
	.amdhsa_kernel _ZN5aiter24topk_softplus_kernel_optIf6__halfLi128ELb1ELi1EEEvPKT_PKT0_PfPimiif
		.amdhsa_group_segment_fixed_size 0
		.amdhsa_private_segment_fixed_size 0
		.amdhsa_kernarg_size 52
		.amdhsa_user_sgpr_count 6
		.amdhsa_user_sgpr_private_segment_buffer 1
		.amdhsa_user_sgpr_dispatch_ptr 0
		.amdhsa_user_sgpr_queue_ptr 0
		.amdhsa_user_sgpr_kernarg_segment_ptr 1
		.amdhsa_user_sgpr_dispatch_id 0
		.amdhsa_user_sgpr_flat_scratch_init 0
		.amdhsa_user_sgpr_kernarg_preload_length 0
		.amdhsa_user_sgpr_kernarg_preload_offset 0
		.amdhsa_user_sgpr_private_segment_size 0
		.amdhsa_uses_dynamic_stack 0
		.amdhsa_system_sgpr_private_segment_wavefront_offset 0
		.amdhsa_system_sgpr_workgroup_id_x 1
		.amdhsa_system_sgpr_workgroup_id_y 0
		.amdhsa_system_sgpr_workgroup_id_z 0
		.amdhsa_system_sgpr_workgroup_info 0
		.amdhsa_system_vgpr_workitem_id 0
		.amdhsa_next_free_vgpr 21
		.amdhsa_next_free_sgpr 13
		.amdhsa_accum_offset 24
		.amdhsa_reserve_vcc 1
		.amdhsa_reserve_flat_scratch 0
		.amdhsa_float_round_mode_32 0
		.amdhsa_float_round_mode_16_64 0
		.amdhsa_float_denorm_mode_32 3
		.amdhsa_float_denorm_mode_16_64 3
		.amdhsa_dx10_clamp 1
		.amdhsa_ieee_mode 1
		.amdhsa_fp16_overflow 0
		.amdhsa_tg_split 0
		.amdhsa_exception_fp_ieee_invalid_op 0
		.amdhsa_exception_fp_denorm_src 0
		.amdhsa_exception_fp_ieee_div_zero 0
		.amdhsa_exception_fp_ieee_overflow 0
		.amdhsa_exception_fp_ieee_underflow 0
		.amdhsa_exception_fp_ieee_inexact 0
		.amdhsa_exception_int_div_zero 0
	.end_amdhsa_kernel
	.section	.text._ZN5aiter24topk_softplus_kernel_optIf6__halfLi128ELb1ELi1EEEvPKT_PKT0_PfPimiif,"axG",@progbits,_ZN5aiter24topk_softplus_kernel_optIf6__halfLi128ELb1ELi1EEEvPKT_PKT0_PfPimiif,comdat
.Lfunc_end37:
	.size	_ZN5aiter24topk_softplus_kernel_optIf6__halfLi128ELb1ELi1EEEvPKT_PKT0_PfPimiif, .Lfunc_end37-_ZN5aiter24topk_softplus_kernel_optIf6__halfLi128ELb1ELi1EEEvPKT_PKT0_PfPimiif
                                        ; -- End function
	.section	.AMDGPU.csdata,"",@progbits
; Kernel info:
; codeLenInByte = 792
; NumSgprs: 17
; NumVgprs: 21
; NumAgprs: 0
; TotalNumVgprs: 21
; ScratchSize: 0
; MemoryBound: 0
; FloatMode: 240
; IeeeMode: 1
; LDSByteSize: 0 bytes/workgroup (compile time only)
; SGPRBlocks: 2
; VGPRBlocks: 2
; NumSGPRsForWavesPerEU: 17
; NumVGPRsForWavesPerEU: 21
; AccumOffset: 24
; Occupancy: 8
; WaveLimiterHint : 0
; COMPUTE_PGM_RSRC2:SCRATCH_EN: 0
; COMPUTE_PGM_RSRC2:USER_SGPR: 6
; COMPUTE_PGM_RSRC2:TRAP_HANDLER: 0
; COMPUTE_PGM_RSRC2:TGID_X_EN: 1
; COMPUTE_PGM_RSRC2:TGID_Y_EN: 0
; COMPUTE_PGM_RSRC2:TGID_Z_EN: 0
; COMPUTE_PGM_RSRC2:TIDIG_COMP_CNT: 0
; COMPUTE_PGM_RSRC3_GFX90A:ACCUM_OFFSET: 5
; COMPUTE_PGM_RSRC3_GFX90A:TG_SPLIT: 0
	.section	.text._ZN5aiter24topk_softplus_kernel_optIf6__halfLi128ELb0ELi1EEEvPKT_PKT0_PfPimiif,"axG",@progbits,_ZN5aiter24topk_softplus_kernel_optIf6__halfLi128ELb0ELi1EEEvPKT_PKT0_PfPimiif,comdat
	.protected	_ZN5aiter24topk_softplus_kernel_optIf6__halfLi128ELb0ELi1EEEvPKT_PKT0_PfPimiif ; -- Begin function _ZN5aiter24topk_softplus_kernel_optIf6__halfLi128ELb0ELi1EEEvPKT_PKT0_PfPimiif
	.globl	_ZN5aiter24topk_softplus_kernel_optIf6__halfLi128ELb0ELi1EEEvPKT_PKT0_PfPimiif
	.p2align	8
	.type	_ZN5aiter24topk_softplus_kernel_optIf6__halfLi128ELb0ELi1EEEvPKT_PKT0_PfPimiif,@function
_ZN5aiter24topk_softplus_kernel_optIf6__halfLi128ELb0ELi1EEEvPKT_PKT0_PfPimiif: ; @_ZN5aiter24topk_softplus_kernel_optIf6__halfLi128ELb0ELi1EEEvPKT_PKT0_PfPimiif
; %bb.0:
	s_load_dwordx4 s[0:3], s[4:5], 0x0
	s_lshl_b32 s8, s6, 7
	s_ashr_i32 s9, s8, 31
	s_lshl_b64 s[8:9], s[8:9], 2
	v_lshlrev_b32_e32 v7, 2, v0
	s_waitcnt lgkmcnt(0)
	s_add_u32 s8, s0, s8
	s_addc_u32 s9, s1, s9
	global_load_dword v2, v7, s[8:9]
	s_mov_b32 s7, 0xc2fc0000
	v_mov_b32_e32 v5, 0x42800000
	v_mov_b32_e32 v8, 0x1f800000
	s_cmp_lg_u64 s[2:3], 0
	s_cselect_b64 s[0:1], -1, 0
	v_lshlrev_b32_e32 v1, 1, v0
	s_waitcnt vmcnt(0)
	v_mul_f32_e32 v3, 0xbfb8aa3b, v2
	v_cmp_gt_f32_e32 vcc, s7, v3
	v_cndmask_b32_e32 v3, 0, v5, vcc
	v_fmac_f32_e32 v3, 0xbfb8aa3b, v2
	v_exp_f32_e32 v2, v3
	v_cndmask_b32_e32 v4, 1.0, v8, vcc
	v_mov_b32_e32 v3, s9
	v_fma_f32 v2, v2, v4, 1.0
	v_rcp_f32_e32 v6, v2
	v_add_co_u32_e32 v2, vcc, s8, v7
	v_addc_co_u32_e32 v3, vcc, 0, v3, vcc
	s_and_b64 vcc, exec, s[0:1]
	v_mov_b32_e32 v4, v6
	s_cbranch_vccz .LBB38_2
; %bb.1:
	global_load_ushort v4, v1, s[2:3]
	s_waitcnt vmcnt(0)
	v_cvt_f32_f16_e32 v4, v4
	v_add_f32_e32 v4, v6, v4
.LBB38_2:
	global_load_dword v2, v[2:3], off offset:256
	s_waitcnt vmcnt(0)
	v_mul_f32_e32 v3, 0xbfb8aa3b, v2
	v_cmp_gt_f32_e32 vcc, s7, v3
	v_cndmask_b32_e32 v5, 0, v5, vcc
	v_fmac_f32_e32 v5, 0xbfb8aa3b, v2
	v_exp_f32_e32 v2, v5
	v_cndmask_b32_e32 v3, 1.0, v8, vcc
	s_andn2_b64 vcc, exec, s[0:1]
	v_fma_f32 v2, v2, v3, 1.0
	v_rcp_f32_e32 v9, v2
	v_mov_b32_e32 v5, v9
	s_cbranch_vccnz .LBB38_4
; %bb.3:
	global_load_ushort v1, v1, s[2:3] offset:128
	s_waitcnt vmcnt(0)
	v_cvt_f32_f16_e32 v1, v1
	v_add_f32_e32 v5, v9, v1
.LBB38_4:
	s_load_dword s2, s[4:5], 0x28
	s_load_dwordx4 s[8:11], s[4:5], 0x10
	v_mov_b32_e32 v8, 0
	s_waitcnt lgkmcnt(0)
	s_cmp_gt_i32 s2, 0
	s_cbranch_scc0 .LBB38_10
; %bb.5:
	v_mbcnt_lo_u32_b32 v8, -1, 0
	v_add_u32_e32 v2, 64, v0
	v_cmp_lt_f32_e32 vcc, v4, v5
	v_mbcnt_hi_u32_b32 v8, -1, v8
	v_bfrev_b32_e32 v12, 0.5
	v_cndmask_b32_e32 v1, v2, v0, vcc
	v_cndmask_b32_e32 v2, v0, v2, vcc
	;; [unrolled: 1-line block ×6, first 2 shown]
	v_mov_b32_e32 v10, 0
	v_mov_b32_e32 v9, 0
	;; [unrolled: 1-line block ×3, first 2 shown]
	v_lshl_or_b32 v12, v8, 2, v12
	v_mov_b32_e32 v13, v0
	s_mov_b32 s3, s2
	v_mov_b32_e32 v8, 0
.LBB38_6:                               ; =>This Inner Loop Header: Depth=1
	v_cmp_eq_u32_e32 vcc, 1, v10
	v_cndmask_b32_e32 v14, v4, v3, vcc
	v_cmp_gt_u32_e64 s[0:1], 2, v10
	v_cndmask_b32_e64 v14, v11, v14, s[0:1]
	;;#ASMSTART
	v_max_f32 v18, v14, v14 quad_perm:[1,0,3,2] row_mask:0xf bank_mask:0xf bound_ctrl:1
	;;#ASMEND
	;;#ASMSTART
	v_max_f32 v19, v18, v18 quad_perm:[2,3,0,1] row_mask:0xf bank_mask:0xf bound_ctrl:1
	;;#ASMEND
	;;#ASMSTART
	v_max_f32 v18, v19, v19 row_half_mirror row_mask:0xf bank_mask:0xf bound_ctrl:1
	;;#ASMEND
	;;#ASMSTART
	v_max_f32 v19, v18, v18 row_mirror row_mask:0xf bank_mask:0xf bound_ctrl:1
	;;#ASMEND
	;;#ASMSTART
	v_max_f32 v18, v19, v19 row_ror:4 row_mask:0xf bank_mask:0xf bound_ctrl:1
	;;#ASMEND
	;;#ASMSTART
	v_max_f32 v19, v18, v18 row_ror:8 row_mask:0xf bank_mask:0xf bound_ctrl:1
	;;#ASMEND
	;;#ASMSTART
	v_max_f32 v18, v19, v19 row_bcast:15 row_mask:0xf bank_mask:0xf bound_ctrl:1
	;;#ASMEND
	;;#ASMSTART
	v_max_f32 v19, v18, v18 row_bcast:31 row_mask:0xf bank_mask:0xf bound_ctrl:1
	;;#ASMEND
	ds_bpermute_b32 v18, v12, v19
	v_cndmask_b32_e32 v15, v2, v1, vcc
	v_cndmask_b32_e32 v16, v6, v5, vcc
	v_cndmask_b32_e64 v17, 0, v15, s[0:1]
	s_waitcnt lgkmcnt(0)
	v_cmp_eq_f32_e32 vcc, v14, v18
	s_ff1_i32_b64 s7, vcc
	s_cmp_lg_u64 vcc, 0
	s_cselect_b32 s7, s7, 0
	v_readlane_b32 s7, v17, s7
	v_cmp_eq_u32_e32 vcc, s7, v15
	s_and_b64 vcc, s[0:1], vcc
	s_and_b32 s12, s7, 63
	v_cndmask_b32_e32 v15, 0, v16, vcc
	v_addc_co_u32_e32 v10, vcc, 0, v10, vcc
	v_readlane_b32 s0, v15, s12
	s_add_i32 s3, s3, -1
	v_mov_b32_e32 v14, s7
	v_mov_b32_e32 v15, s0
	v_cmp_eq_u32_e32 vcc, 0, v13
	s_cmp_eq_u32 s3, 0
	v_add_u32_e32 v13, -1, v13
	v_cndmask_b32_e32 v9, v9, v15, vcc
	v_cndmask_b32_e32 v8, v8, v14, vcc
	s_cbranch_scc0 .LBB38_6
; %bb.7:
	v_cmp_gt_i32_e32 vcc, s2, v0
	s_and_saveexec_b64 s[0:1], vcc
	s_cbranch_execz .LBB38_9
.LBB38_8:
	s_load_dword s2, s[4:5], 0x30
	s_load_dwordx2 s[0:1], s[4:5], 0x20
	s_ashr_i32 s3, s6, 31
	s_waitcnt lgkmcnt(0)
	v_mul_f32_e32 v0, s2, v9
	s_mul_i32 s1, s6, s1
	s_mul_hi_u32 s2, s6, s0
	s_add_i32 s1, s2, s1
	s_mul_i32 s3, s3, s0
	s_add_i32 s1, s1, s3
	s_mul_i32 s0, s6, s0
	s_lshl_b64 s[0:1], s[0:1], 2
	s_add_u32 s2, s8, s0
	s_addc_u32 s3, s9, s1
	s_add_u32 s0, s10, s0
	s_addc_u32 s1, s11, s1
	global_store_dword v7, v0, s[2:3]
	global_store_dword v7, v8, s[0:1]
.LBB38_9:
	s_endpgm
.LBB38_10:
	v_mov_b32_e32 v9, 0
	v_cmp_gt_i32_e32 vcc, s2, v0
	s_and_saveexec_b64 s[0:1], vcc
	s_cbranch_execnz .LBB38_8
	s_branch .LBB38_9
	.section	.rodata,"a",@progbits
	.p2align	6, 0x0
	.amdhsa_kernel _ZN5aiter24topk_softplus_kernel_optIf6__halfLi128ELb0ELi1EEEvPKT_PKT0_PfPimiif
		.amdhsa_group_segment_fixed_size 0
		.amdhsa_private_segment_fixed_size 0
		.amdhsa_kernarg_size 52
		.amdhsa_user_sgpr_count 6
		.amdhsa_user_sgpr_private_segment_buffer 1
		.amdhsa_user_sgpr_dispatch_ptr 0
		.amdhsa_user_sgpr_queue_ptr 0
		.amdhsa_user_sgpr_kernarg_segment_ptr 1
		.amdhsa_user_sgpr_dispatch_id 0
		.amdhsa_user_sgpr_flat_scratch_init 0
		.amdhsa_user_sgpr_kernarg_preload_length 0
		.amdhsa_user_sgpr_kernarg_preload_offset 0
		.amdhsa_user_sgpr_private_segment_size 0
		.amdhsa_uses_dynamic_stack 0
		.amdhsa_system_sgpr_private_segment_wavefront_offset 0
		.amdhsa_system_sgpr_workgroup_id_x 1
		.amdhsa_system_sgpr_workgroup_id_y 0
		.amdhsa_system_sgpr_workgroup_id_z 0
		.amdhsa_system_sgpr_workgroup_info 0
		.amdhsa_system_vgpr_workitem_id 0
		.amdhsa_next_free_vgpr 20
		.amdhsa_next_free_sgpr 13
		.amdhsa_accum_offset 20
		.amdhsa_reserve_vcc 1
		.amdhsa_reserve_flat_scratch 0
		.amdhsa_float_round_mode_32 0
		.amdhsa_float_round_mode_16_64 0
		.amdhsa_float_denorm_mode_32 3
		.amdhsa_float_denorm_mode_16_64 3
		.amdhsa_dx10_clamp 1
		.amdhsa_ieee_mode 1
		.amdhsa_fp16_overflow 0
		.amdhsa_tg_split 0
		.amdhsa_exception_fp_ieee_invalid_op 0
		.amdhsa_exception_fp_denorm_src 0
		.amdhsa_exception_fp_ieee_div_zero 0
		.amdhsa_exception_fp_ieee_overflow 0
		.amdhsa_exception_fp_ieee_underflow 0
		.amdhsa_exception_fp_ieee_inexact 0
		.amdhsa_exception_int_div_zero 0
	.end_amdhsa_kernel
	.section	.text._ZN5aiter24topk_softplus_kernel_optIf6__halfLi128ELb0ELi1EEEvPKT_PKT0_PfPimiif,"axG",@progbits,_ZN5aiter24topk_softplus_kernel_optIf6__halfLi128ELb0ELi1EEEvPKT_PKT0_PfPimiif,comdat
.Lfunc_end38:
	.size	_ZN5aiter24topk_softplus_kernel_optIf6__halfLi128ELb0ELi1EEEvPKT_PKT0_PfPimiif, .Lfunc_end38-_ZN5aiter24topk_softplus_kernel_optIf6__halfLi128ELb0ELi1EEEvPKT_PKT0_PfPimiif
                                        ; -- End function
	.section	.AMDGPU.csdata,"",@progbits
; Kernel info:
; codeLenInByte = 708
; NumSgprs: 17
; NumVgprs: 20
; NumAgprs: 0
; TotalNumVgprs: 20
; ScratchSize: 0
; MemoryBound: 0
; FloatMode: 240
; IeeeMode: 1
; LDSByteSize: 0 bytes/workgroup (compile time only)
; SGPRBlocks: 2
; VGPRBlocks: 2
; NumSGPRsForWavesPerEU: 17
; NumVGPRsForWavesPerEU: 20
; AccumOffset: 20
; Occupancy: 8
; WaveLimiterHint : 0
; COMPUTE_PGM_RSRC2:SCRATCH_EN: 0
; COMPUTE_PGM_RSRC2:USER_SGPR: 6
; COMPUTE_PGM_RSRC2:TRAP_HANDLER: 0
; COMPUTE_PGM_RSRC2:TGID_X_EN: 1
; COMPUTE_PGM_RSRC2:TGID_Y_EN: 0
; COMPUTE_PGM_RSRC2:TGID_Z_EN: 0
; COMPUTE_PGM_RSRC2:TIDIG_COMP_CNT: 0
; COMPUTE_PGM_RSRC3_GFX90A:ACCUM_OFFSET: 4
; COMPUTE_PGM_RSRC3_GFX90A:TG_SPLIT: 0
	.section	.text._ZN5aiter24topk_softplus_kernel_optIf6__halfLi256ELb1ELi1EEEvPKT_PKT0_PfPimiif,"axG",@progbits,_ZN5aiter24topk_softplus_kernel_optIf6__halfLi256ELb1ELi1EEEvPKT_PKT0_PfPimiif,comdat
	.protected	_ZN5aiter24topk_softplus_kernel_optIf6__halfLi256ELb1ELi1EEEvPKT_PKT0_PfPimiif ; -- Begin function _ZN5aiter24topk_softplus_kernel_optIf6__halfLi256ELb1ELi1EEEvPKT_PKT0_PfPimiif
	.globl	_ZN5aiter24topk_softplus_kernel_optIf6__halfLi256ELb1ELi1EEEvPKT_PKT0_PfPimiif
	.p2align	8
	.type	_ZN5aiter24topk_softplus_kernel_optIf6__halfLi256ELb1ELi1EEEvPKT_PKT0_PfPimiif,@function
_ZN5aiter24topk_softplus_kernel_optIf6__halfLi256ELb1ELi1EEEvPKT_PKT0_PfPimiif: ; @_ZN5aiter24topk_softplus_kernel_optIf6__halfLi256ELb1ELi1EEEvPKT_PKT0_PfPimiif
; %bb.0:
	s_load_dwordx4 s[0:3], s[4:5], 0x0
	s_lshl_b32 s8, s6, 8
	s_ashr_i32 s9, s8, 31
	s_lshl_b64 s[8:9], s[8:9], 2
	v_lshlrev_b32_e32 v13, 2, v0
	s_waitcnt lgkmcnt(0)
	s_add_u32 s10, s0, s8
	s_addc_u32 s11, s1, s9
	global_load_dword v2, v13, s[10:11]
	s_mov_b32 s0, 0xc2fc0000
	v_mov_b32_e32 v3, 0x42800000
	v_mov_b32_e32 v6, 0x1f800000
	s_cmp_lg_u64 s[2:3], 0
	v_mov_b32_e32 v5, s11
	s_cselect_b64 s[8:9], -1, 0
	v_lshlrev_b32_e32 v1, 1, v0
	s_waitcnt vmcnt(0)
	v_mul_f32_e32 v4, 0xbfb8aa3b, v2
	v_cmp_gt_f32_e32 vcc, s0, v4
	v_cndmask_b32_e32 v4, 0, v3, vcc
	v_fmac_f32_e32 v4, 0xbfb8aa3b, v2
	v_exp_f32_e32 v2, v4
	v_cndmask_b32_e32 v4, 1.0, v6, vcc
	v_fma_f32 v2, v2, v4, 1.0
	v_rcp_f32_e32 v2, v2
	v_add_co_u32_e32 v4, vcc, s10, v13
	v_addc_co_u32_e32 v5, vcc, 0, v5, vcc
	s_and_b64 vcc, exec, s[8:9]
	v_mov_b32_e32 v10, v2
	s_cbranch_vccz .LBB39_2
; %bb.1:
	global_load_ushort v7, v1, s[2:3]
	s_waitcnt vmcnt(0)
	v_cvt_f32_f16_e32 v7, v7
	v_add_f32_e32 v10, v2, v7
.LBB39_2:
	global_load_dword v7, v[4:5], off offset:256
	s_waitcnt vmcnt(0)
	v_mul_f32_e32 v8, 0xbfb8aa3b, v7
	v_cmp_gt_f32_e32 vcc, s0, v8
	v_cndmask_b32_e32 v3, 0, v3, vcc
	v_fmac_f32_e32 v3, 0xbfb8aa3b, v7
	v_exp_f32_e32 v3, v3
	v_cndmask_b32_e32 v6, 1.0, v6, vcc
	s_andn2_b64 vcc, exec, s[8:9]
	v_fma_f32 v3, v3, v6, 1.0
	v_rcp_f32_e32 v9, v3
	v_cndmask_b32_e64 v3, 0, 1, s[8:9]
	v_cmp_ne_u32_e64 s[0:1], 1, v3
	v_mov_b32_e32 v12, v9
	s_cbranch_vccnz .LBB39_4
; %bb.3:
	global_load_ushort v3, v1, s[2:3] offset:128
	s_waitcnt vmcnt(0)
	v_cvt_f32_f16_e32 v3, v3
	v_add_f32_e32 v12, v9, v3
.LBB39_4:
	global_load_dword v6, v[4:5], off offset:512
	s_mov_b32 s7, 0xc2fc0000
	v_mov_b32_e32 v3, 0x1f800000
	s_waitcnt vmcnt(0)
	v_mul_f32_e32 v7, 0xbfb8aa3b, v6
	v_cmp_gt_f32_e32 vcc, s7, v7
	v_mov_b32_e32 v7, 0x42800000
	v_cndmask_b32_e32 v11, 0, v7, vcc
	v_fmac_f32_e32 v11, 0xbfb8aa3b, v6
	v_exp_f32_e32 v6, v11
	v_cndmask_b32_e32 v8, 1.0, v3, vcc
	s_and_b64 vcc, exec, s[0:1]
	v_fma_f32 v6, v6, v8, 1.0
	v_rcp_f32_e32 v8, v6
	v_mov_b32_e32 v6, v8
	s_cbranch_vccnz .LBB39_6
; %bb.5:
	global_load_ushort v6, v1, s[2:3] offset:256
	s_waitcnt vmcnt(0)
	v_cvt_f32_f16_e32 v6, v6
	v_add_f32_e32 v6, v8, v6
.LBB39_6:
	global_load_dword v4, v[4:5], off offset:768
	s_waitcnt vmcnt(0)
	v_mul_f32_e32 v5, 0xbfb8aa3b, v4
	v_cmp_gt_f32_e32 vcc, s7, v5
	v_cndmask_b32_e32 v5, 0, v7, vcc
	v_fmac_f32_e32 v5, 0xbfb8aa3b, v4
	v_exp_f32_e32 v4, v5
	v_cndmask_b32_e32 v3, 1.0, v3, vcc
	s_and_b64 vcc, exec, s[0:1]
	v_fma_f32 v3, v4, v3, 1.0
	v_rcp_f32_e32 v3, v3
	v_mov_b32_e32 v5, v3
	s_cbranch_vccnz .LBB39_8
; %bb.7:
	global_load_ushort v1, v1, s[2:3] offset:384
	s_waitcnt vmcnt(0)
	v_cvt_f32_f16_e32 v1, v1
	v_add_f32_e32 v5, v3, v1
.LBB39_8:
	v_add_u32_e32 v4, 64, v0
	v_cmp_lt_f32_e32 vcc, v10, v12
	v_add_u32_e32 v16, 0x80, v0
	v_add_u32_e32 v7, 0xc0, v0
	v_cndmask_b32_e32 v11, v9, v2, vcc
	v_cndmask_b32_e32 v2, v2, v9, vcc
	;; [unrolled: 1-line block ×6, first 2 shown]
	v_cmp_lt_f32_e32 vcc, v6, v5
	v_mov_b32_e32 v12, v6
	s_and_saveexec_b64 s[0:1], vcc
	s_xor_b64 s[0:1], exec, s[0:1]
; %bb.9:
	v_mov_b32_e32 v12, v16
	v_mov_b32_e32 v14, v6
	;; [unrolled: 1-line block ×4, first 2 shown]
	v_swap_b32 v8, v3
	v_swap_b32 v16, v7
	v_mov_b32_e32 v12, v5
	v_mov_b32_e32 v5, v14
; %bb.10:
	s_or_b64 exec, exec, s[0:1]
	v_cmp_lt_f32_e32 vcc, v15, v6
	v_cndmask_b32_e32 v14, v8, v2, vcc
	v_cndmask_b32_e32 v2, v2, v8, vcc
	;; [unrolled: 1-line block ×6, first 2 shown]
	v_cmp_lt_f32_e32 vcc, v9, v5
	v_mov_b32_e32 v15, v9
	s_and_saveexec_b64 s[0:1], vcc
; %bb.11:
	v_mov_b32_e32 v15, v1
	v_mov_b32_e32 v16, v9
	;; [unrolled: 1-line block ×4, first 2 shown]
	v_swap_b32 v11, v3
	v_swap_b32 v1, v7
	v_mov_b32_e32 v15, v5
	v_mov_b32_e32 v5, v16
; %bb.12:
	s_or_b64 exec, exec, s[0:1]
	s_load_dword s2, s[4:5], 0x28
	s_load_dwordx4 s[8:11], s[4:5], 0x10
	v_mov_b32_e32 v16, 0
	s_waitcnt lgkmcnt(0)
	s_cmp_lt_i32 s2, 1
	s_cbranch_scc1 .LBB39_18
; %bb.13:
	v_cmp_lt_f32_e32 vcc, v9, v12
	v_cndmask_b32_e32 v8, v10, v1, vcc
	v_cndmask_b32_e32 v1, v1, v10, vcc
	;; [unrolled: 1-line block ×6, first 2 shown]
	v_mbcnt_lo_u32_b32 v14, -1, 0
	v_mbcnt_hi_u32_b32 v14, -1, v14
	v_bfrev_b32_e32 v15, 0.5
	v_mov_b32_e32 v16, 0
	v_mov_b32_e32 v17, 0
	v_mov_b32_e32 v18, 0xff800000
	v_lshl_or_b32 v19, v14, 2, v15
	v_mov_b32_e32 v20, v0
	s_mov_b32 s3, s2
	v_mov_b32_e32 v14, 0
	v_mov_b32_e32 v15, 0
.LBB39_14:                              ; =>This Inner Loop Header: Depth=1
	v_cmp_eq_u32_e32 vcc, 1, v17
	v_cndmask_b32_e32 v21, v6, v9, vcc
	v_cmp_eq_u32_e64 s[0:1], 2, v17
	v_cndmask_b32_e64 v21, v21, v10, s[0:1]
	v_cndmask_b32_e32 v22, v4, v1, vcc
	v_cndmask_b32_e32 v23, v2, v11, vcc
	v_cmp_eq_u32_e32 vcc, 3, v17
	v_cndmask_b32_e32 v21, v21, v5, vcc
	v_cndmask_b32_e64 v22, v22, v8, s[0:1]
	v_cndmask_b32_e64 v23, v23, v12, s[0:1]
	v_cmp_gt_u32_e64 s[0:1], 4, v17
	v_cndmask_b32_e64 v21, v18, v21, s[0:1]
	;;#ASMSTART
	v_max_f32 v25, v21, v21 quad_perm:[1,0,3,2] row_mask:0xf bank_mask:0xf bound_ctrl:1
	;;#ASMEND
	;;#ASMSTART
	v_max_f32 v26, v25, v25 quad_perm:[2,3,0,1] row_mask:0xf bank_mask:0xf bound_ctrl:1
	;;#ASMEND
	;;#ASMSTART
	v_max_f32 v25, v26, v26 row_half_mirror row_mask:0xf bank_mask:0xf bound_ctrl:1
	;;#ASMEND
	;;#ASMSTART
	v_max_f32 v26, v25, v25 row_mirror row_mask:0xf bank_mask:0xf bound_ctrl:1
	;;#ASMEND
	;;#ASMSTART
	v_max_f32 v25, v26, v26 row_ror:4 row_mask:0xf bank_mask:0xf bound_ctrl:1
	;;#ASMEND
	;;#ASMSTART
	v_max_f32 v26, v25, v25 row_ror:8 row_mask:0xf bank_mask:0xf bound_ctrl:1
	;;#ASMEND
	;;#ASMSTART
	v_max_f32 v25, v26, v26 row_bcast:15 row_mask:0xf bank_mask:0xf bound_ctrl:1
	;;#ASMEND
	;;#ASMSTART
	v_max_f32 v26, v25, v25 row_bcast:31 row_mask:0xf bank_mask:0xf bound_ctrl:1
	;;#ASMEND
	ds_bpermute_b32 v25, v19, v26
	v_cndmask_b32_e32 v22, v22, v7, vcc
	v_cndmask_b32_e32 v23, v23, v3, vcc
	v_cndmask_b32_e64 v24, 0, v22, s[0:1]
	s_waitcnt lgkmcnt(0)
	v_cmp_eq_f32_e32 vcc, v21, v25
	s_ff1_i32_b64 s7, vcc
	s_cmp_lg_u64 vcc, 0
	s_cselect_b32 s7, s7, 0
	v_readlane_b32 s7, v24, s7
	v_cmp_eq_u32_e32 vcc, s7, v22
	s_and_b64 vcc, s[0:1], vcc
	s_and_b32 s12, s7, 63
	v_cndmask_b32_e32 v22, 0, v23, vcc
	v_addc_co_u32_e32 v17, vcc, 0, v17, vcc
	v_readlane_b32 s0, v22, s12
	s_add_i32 s3, s3, -1
	v_mov_b32_e32 v21, s7
	v_mov_b32_e32 v22, s0
	v_cmp_eq_u32_e32 vcc, 0, v20
	s_cmp_eq_u32 s3, 0
	v_add_f32_e32 v16, s0, v16
	v_add_u32_e32 v20, -1, v20
	v_cndmask_b32_e32 v15, v15, v22, vcc
	v_cndmask_b32_e32 v14, v14, v21, vcc
	s_cbranch_scc0 .LBB39_14
; %bb.15:
	v_cmp_gt_i32_e32 vcc, s2, v0
	s_and_saveexec_b64 s[0:1], vcc
	s_cbranch_execz .LBB39_17
.LBB39_16:
	s_load_dword s2, s[4:5], 0x30
	v_max_f32_e32 v0, v16, v16
	v_max_f32_e32 v0, 0x1e3ce508, v0
	s_waitcnt lgkmcnt(0)
	v_div_scale_f32 v1, s[0:1], v0, v0, s2
	v_rcp_f32_e32 v2, v1
	v_div_scale_f32 v3, vcc, s2, v0, s2
	s_load_dwordx2 s[0:1], s[4:5], 0x20
	v_fma_f32 v4, -v1, v2, 1.0
	v_fmac_f32_e32 v2, v4, v2
	v_mul_f32_e32 v4, v3, v2
	v_fma_f32 v5, -v1, v4, v3
	v_fmac_f32_e32 v4, v5, v2
	v_fma_f32 v1, -v1, v4, v3
	v_div_fmas_f32 v1, v1, v2, v4
	v_div_fixup_f32 v0, v1, v0, s2
	s_ashr_i32 s2, s6, 31
	s_waitcnt lgkmcnt(0)
	s_mul_i32 s1, s6, s1
	s_mul_hi_u32 s3, s6, s0
	s_add_i32 s1, s3, s1
	s_mul_i32 s2, s2, s0
	s_add_i32 s1, s1, s2
	s_mul_i32 s0, s6, s0
	s_lshl_b64 s[0:1], s[0:1], 2
	s_add_u32 s2, s8, s0
	s_addc_u32 s3, s9, s1
	s_add_u32 s0, s10, s0
	v_mul_f32_e32 v0, v15, v0
	s_addc_u32 s1, s11, s1
	global_store_dword v13, v0, s[2:3]
	global_store_dword v13, v14, s[0:1]
.LBB39_17:
	s_endpgm
.LBB39_18:
	v_mov_b32_e32 v14, 0
	v_mov_b32_e32 v15, 0
	v_cmp_gt_i32_e32 vcc, s2, v0
	s_and_saveexec_b64 s[0:1], vcc
	s_cbranch_execnz .LBB39_16
	s_branch .LBB39_17
	.section	.rodata,"a",@progbits
	.p2align	6, 0x0
	.amdhsa_kernel _ZN5aiter24topk_softplus_kernel_optIf6__halfLi256ELb1ELi1EEEvPKT_PKT0_PfPimiif
		.amdhsa_group_segment_fixed_size 0
		.amdhsa_private_segment_fixed_size 0
		.amdhsa_kernarg_size 52
		.amdhsa_user_sgpr_count 6
		.amdhsa_user_sgpr_private_segment_buffer 1
		.amdhsa_user_sgpr_dispatch_ptr 0
		.amdhsa_user_sgpr_queue_ptr 0
		.amdhsa_user_sgpr_kernarg_segment_ptr 1
		.amdhsa_user_sgpr_dispatch_id 0
		.amdhsa_user_sgpr_flat_scratch_init 0
		.amdhsa_user_sgpr_kernarg_preload_length 0
		.amdhsa_user_sgpr_kernarg_preload_offset 0
		.amdhsa_user_sgpr_private_segment_size 0
		.amdhsa_uses_dynamic_stack 0
		.amdhsa_system_sgpr_private_segment_wavefront_offset 0
		.amdhsa_system_sgpr_workgroup_id_x 1
		.amdhsa_system_sgpr_workgroup_id_y 0
		.amdhsa_system_sgpr_workgroup_id_z 0
		.amdhsa_system_sgpr_workgroup_info 0
		.amdhsa_system_vgpr_workitem_id 0
		.amdhsa_next_free_vgpr 27
		.amdhsa_next_free_sgpr 13
		.amdhsa_accum_offset 28
		.amdhsa_reserve_vcc 1
		.amdhsa_reserve_flat_scratch 0
		.amdhsa_float_round_mode_32 0
		.amdhsa_float_round_mode_16_64 0
		.amdhsa_float_denorm_mode_32 3
		.amdhsa_float_denorm_mode_16_64 3
		.amdhsa_dx10_clamp 1
		.amdhsa_ieee_mode 1
		.amdhsa_fp16_overflow 0
		.amdhsa_tg_split 0
		.amdhsa_exception_fp_ieee_invalid_op 0
		.amdhsa_exception_fp_denorm_src 0
		.amdhsa_exception_fp_ieee_div_zero 0
		.amdhsa_exception_fp_ieee_overflow 0
		.amdhsa_exception_fp_ieee_underflow 0
		.amdhsa_exception_fp_ieee_inexact 0
		.amdhsa_exception_int_div_zero 0
	.end_amdhsa_kernel
	.section	.text._ZN5aiter24topk_softplus_kernel_optIf6__halfLi256ELb1ELi1EEEvPKT_PKT0_PfPimiif,"axG",@progbits,_ZN5aiter24topk_softplus_kernel_optIf6__halfLi256ELb1ELi1EEEvPKT_PKT0_PfPimiif,comdat
.Lfunc_end39:
	.size	_ZN5aiter24topk_softplus_kernel_optIf6__halfLi256ELb1ELi1EEEvPKT_PKT0_PfPimiif, .Lfunc_end39-_ZN5aiter24topk_softplus_kernel_optIf6__halfLi256ELb1ELi1EEEvPKT_PKT0_PfPimiif
                                        ; -- End function
	.section	.AMDGPU.csdata,"",@progbits
; Kernel info:
; codeLenInByte = 1244
; NumSgprs: 17
; NumVgprs: 27
; NumAgprs: 0
; TotalNumVgprs: 27
; ScratchSize: 0
; MemoryBound: 0
; FloatMode: 240
; IeeeMode: 1
; LDSByteSize: 0 bytes/workgroup (compile time only)
; SGPRBlocks: 2
; VGPRBlocks: 3
; NumSGPRsForWavesPerEU: 17
; NumVGPRsForWavesPerEU: 27
; AccumOffset: 28
; Occupancy: 8
; WaveLimiterHint : 0
; COMPUTE_PGM_RSRC2:SCRATCH_EN: 0
; COMPUTE_PGM_RSRC2:USER_SGPR: 6
; COMPUTE_PGM_RSRC2:TRAP_HANDLER: 0
; COMPUTE_PGM_RSRC2:TGID_X_EN: 1
; COMPUTE_PGM_RSRC2:TGID_Y_EN: 0
; COMPUTE_PGM_RSRC2:TGID_Z_EN: 0
; COMPUTE_PGM_RSRC2:TIDIG_COMP_CNT: 0
; COMPUTE_PGM_RSRC3_GFX90A:ACCUM_OFFSET: 6
; COMPUTE_PGM_RSRC3_GFX90A:TG_SPLIT: 0
	.section	.text._ZN5aiter24topk_softplus_kernel_optIf6__halfLi256ELb0ELi1EEEvPKT_PKT0_PfPimiif,"axG",@progbits,_ZN5aiter24topk_softplus_kernel_optIf6__halfLi256ELb0ELi1EEEvPKT_PKT0_PfPimiif,comdat
	.protected	_ZN5aiter24topk_softplus_kernel_optIf6__halfLi256ELb0ELi1EEEvPKT_PKT0_PfPimiif ; -- Begin function _ZN5aiter24topk_softplus_kernel_optIf6__halfLi256ELb0ELi1EEEvPKT_PKT0_PfPimiif
	.globl	_ZN5aiter24topk_softplus_kernel_optIf6__halfLi256ELb0ELi1EEEvPKT_PKT0_PfPimiif
	.p2align	8
	.type	_ZN5aiter24topk_softplus_kernel_optIf6__halfLi256ELb0ELi1EEEvPKT_PKT0_PfPimiif,@function
_ZN5aiter24topk_softplus_kernel_optIf6__halfLi256ELb0ELi1EEEvPKT_PKT0_PfPimiif: ; @_ZN5aiter24topk_softplus_kernel_optIf6__halfLi256ELb0ELi1EEEvPKT_PKT0_PfPimiif
; %bb.0:
	s_load_dwordx4 s[0:3], s[4:5], 0x0
	s_lshl_b32 s8, s6, 8
	s_ashr_i32 s9, s8, 31
	s_lshl_b64 s[8:9], s[8:9], 2
	v_lshlrev_b32_e32 v13, 2, v0
	s_waitcnt lgkmcnt(0)
	s_add_u32 s10, s0, s8
	s_addc_u32 s11, s1, s9
	global_load_dword v2, v13, s[10:11]
	s_mov_b32 s0, 0xc2fc0000
	v_mov_b32_e32 v3, 0x42800000
	v_mov_b32_e32 v6, 0x1f800000
	s_cmp_lg_u64 s[2:3], 0
	v_mov_b32_e32 v5, s11
	s_cselect_b64 s[8:9], -1, 0
	v_lshlrev_b32_e32 v1, 1, v0
	s_waitcnt vmcnt(0)
	v_mul_f32_e32 v4, 0xbfb8aa3b, v2
	v_cmp_gt_f32_e32 vcc, s0, v4
	v_cndmask_b32_e32 v4, 0, v3, vcc
	v_fmac_f32_e32 v4, 0xbfb8aa3b, v2
	v_exp_f32_e32 v2, v4
	v_cndmask_b32_e32 v4, 1.0, v6, vcc
	v_fma_f32 v2, v2, v4, 1.0
	v_rcp_f32_e32 v2, v2
	v_add_co_u32_e32 v4, vcc, s10, v13
	v_addc_co_u32_e32 v5, vcc, 0, v5, vcc
	s_and_b64 vcc, exec, s[8:9]
	v_mov_b32_e32 v10, v2
	s_cbranch_vccz .LBB40_2
; %bb.1:
	global_load_ushort v7, v1, s[2:3]
	s_waitcnt vmcnt(0)
	v_cvt_f32_f16_e32 v7, v7
	v_add_f32_e32 v10, v2, v7
.LBB40_2:
	global_load_dword v7, v[4:5], off offset:256
	s_waitcnt vmcnt(0)
	v_mul_f32_e32 v8, 0xbfb8aa3b, v7
	v_cmp_gt_f32_e32 vcc, s0, v8
	v_cndmask_b32_e32 v3, 0, v3, vcc
	v_fmac_f32_e32 v3, 0xbfb8aa3b, v7
	v_exp_f32_e32 v3, v3
	v_cndmask_b32_e32 v6, 1.0, v6, vcc
	s_andn2_b64 vcc, exec, s[8:9]
	v_fma_f32 v3, v3, v6, 1.0
	v_rcp_f32_e32 v9, v3
	v_cndmask_b32_e64 v3, 0, 1, s[8:9]
	v_cmp_ne_u32_e64 s[0:1], 1, v3
	v_mov_b32_e32 v12, v9
	s_cbranch_vccnz .LBB40_4
; %bb.3:
	global_load_ushort v3, v1, s[2:3] offset:128
	s_waitcnt vmcnt(0)
	v_cvt_f32_f16_e32 v3, v3
	v_add_f32_e32 v12, v9, v3
.LBB40_4:
	global_load_dword v6, v[4:5], off offset:512
	s_mov_b32 s7, 0xc2fc0000
	v_mov_b32_e32 v3, 0x1f800000
	s_waitcnt vmcnt(0)
	v_mul_f32_e32 v7, 0xbfb8aa3b, v6
	v_cmp_gt_f32_e32 vcc, s7, v7
	v_mov_b32_e32 v7, 0x42800000
	v_cndmask_b32_e32 v11, 0, v7, vcc
	v_fmac_f32_e32 v11, 0xbfb8aa3b, v6
	v_exp_f32_e32 v6, v11
	v_cndmask_b32_e32 v8, 1.0, v3, vcc
	s_and_b64 vcc, exec, s[0:1]
	v_fma_f32 v6, v6, v8, 1.0
	v_rcp_f32_e32 v8, v6
	v_mov_b32_e32 v6, v8
	s_cbranch_vccnz .LBB40_6
; %bb.5:
	global_load_ushort v6, v1, s[2:3] offset:256
	s_waitcnt vmcnt(0)
	v_cvt_f32_f16_e32 v6, v6
	v_add_f32_e32 v6, v8, v6
.LBB40_6:
	global_load_dword v4, v[4:5], off offset:768
	s_waitcnt vmcnt(0)
	v_mul_f32_e32 v5, 0xbfb8aa3b, v4
	v_cmp_gt_f32_e32 vcc, s7, v5
	v_cndmask_b32_e32 v5, 0, v7, vcc
	v_fmac_f32_e32 v5, 0xbfb8aa3b, v4
	v_exp_f32_e32 v4, v5
	v_cndmask_b32_e32 v3, 1.0, v3, vcc
	s_and_b64 vcc, exec, s[0:1]
	v_fma_f32 v3, v4, v3, 1.0
	v_rcp_f32_e32 v3, v3
	v_mov_b32_e32 v5, v3
	s_cbranch_vccnz .LBB40_8
; %bb.7:
	global_load_ushort v1, v1, s[2:3] offset:384
	s_waitcnt vmcnt(0)
	v_cvt_f32_f16_e32 v1, v1
	v_add_f32_e32 v5, v3, v1
.LBB40_8:
	v_add_u32_e32 v4, 64, v0
	v_cmp_lt_f32_e32 vcc, v10, v12
	v_add_u32_e32 v16, 0x80, v0
	v_add_u32_e32 v7, 0xc0, v0
	v_cndmask_b32_e32 v11, v9, v2, vcc
	v_cndmask_b32_e32 v2, v2, v9, vcc
	;; [unrolled: 1-line block ×6, first 2 shown]
	v_cmp_lt_f32_e32 vcc, v6, v5
	v_mov_b32_e32 v12, v6
	s_and_saveexec_b64 s[0:1], vcc
	s_xor_b64 s[0:1], exec, s[0:1]
; %bb.9:
	v_mov_b32_e32 v12, v16
	v_mov_b32_e32 v14, v6
	;; [unrolled: 1-line block ×4, first 2 shown]
	v_swap_b32 v8, v3
	v_swap_b32 v16, v7
	v_mov_b32_e32 v12, v5
	v_mov_b32_e32 v5, v14
; %bb.10:
	s_or_b64 exec, exec, s[0:1]
	v_cmp_lt_f32_e32 vcc, v15, v6
	v_cndmask_b32_e32 v14, v8, v2, vcc
	v_cndmask_b32_e32 v2, v2, v8, vcc
	v_cndmask_b32_e32 v10, v16, v4, vcc
	v_cndmask_b32_e32 v4, v4, v16, vcc
	v_cndmask_b32_e32 v12, v12, v15, vcc
	v_cndmask_b32_e32 v6, v15, v6, vcc
	v_cmp_lt_f32_e32 vcc, v9, v5
	v_mov_b32_e32 v15, v9
	s_and_saveexec_b64 s[0:1], vcc
; %bb.11:
	v_mov_b32_e32 v15, v1
	v_mov_b32_e32 v16, v9
	;; [unrolled: 1-line block ×4, first 2 shown]
	v_swap_b32 v11, v3
	v_swap_b32 v1, v7
	v_mov_b32_e32 v15, v5
	v_mov_b32_e32 v5, v16
; %bb.12:
	s_or_b64 exec, exec, s[0:1]
	s_load_dword s2, s[4:5], 0x28
	s_load_dwordx4 s[8:11], s[4:5], 0x10
	s_waitcnt lgkmcnt(0)
	s_cmp_lt_i32 s2, 1
	s_cbranch_scc1 .LBB40_18
; %bb.13:
	v_cmp_lt_f32_e32 vcc, v9, v12
	v_cndmask_b32_e32 v8, v10, v1, vcc
	v_cndmask_b32_e32 v1, v1, v10, vcc
	;; [unrolled: 1-line block ×6, first 2 shown]
	v_mbcnt_lo_u32_b32 v14, -1, 0
	v_mbcnt_hi_u32_b32 v14, -1, v14
	v_bfrev_b32_e32 v18, 0.5
	v_mov_b32_e32 v16, 0
	v_mov_b32_e32 v15, 0
	;; [unrolled: 1-line block ×3, first 2 shown]
	v_lshl_or_b32 v18, v14, 2, v18
	v_mov_b32_e32 v19, v0
	s_mov_b32 s3, s2
	v_mov_b32_e32 v14, 0
.LBB40_14:                              ; =>This Inner Loop Header: Depth=1
	v_cmp_eq_u32_e32 vcc, 1, v16
	v_cndmask_b32_e32 v20, v6, v9, vcc
	v_cmp_eq_u32_e64 s[0:1], 2, v16
	v_cndmask_b32_e64 v20, v20, v10, s[0:1]
	v_cndmask_b32_e32 v21, v4, v1, vcc
	v_cndmask_b32_e32 v22, v2, v11, vcc
	v_cmp_eq_u32_e32 vcc, 3, v16
	v_cndmask_b32_e32 v20, v20, v5, vcc
	v_cndmask_b32_e64 v21, v21, v8, s[0:1]
	v_cndmask_b32_e64 v22, v22, v12, s[0:1]
	v_cmp_gt_u32_e64 s[0:1], 4, v16
	v_cndmask_b32_e64 v20, v17, v20, s[0:1]
	;;#ASMSTART
	v_max_f32 v24, v20, v20 quad_perm:[1,0,3,2] row_mask:0xf bank_mask:0xf bound_ctrl:1
	;;#ASMEND
	;;#ASMSTART
	v_max_f32 v25, v24, v24 quad_perm:[2,3,0,1] row_mask:0xf bank_mask:0xf bound_ctrl:1
	;;#ASMEND
	;;#ASMSTART
	v_max_f32 v24, v25, v25 row_half_mirror row_mask:0xf bank_mask:0xf bound_ctrl:1
	;;#ASMEND
	;;#ASMSTART
	v_max_f32 v25, v24, v24 row_mirror row_mask:0xf bank_mask:0xf bound_ctrl:1
	;;#ASMEND
	;;#ASMSTART
	v_max_f32 v24, v25, v25 row_ror:4 row_mask:0xf bank_mask:0xf bound_ctrl:1
	;;#ASMEND
	;;#ASMSTART
	v_max_f32 v25, v24, v24 row_ror:8 row_mask:0xf bank_mask:0xf bound_ctrl:1
	;;#ASMEND
	;;#ASMSTART
	v_max_f32 v24, v25, v25 row_bcast:15 row_mask:0xf bank_mask:0xf bound_ctrl:1
	;;#ASMEND
	;;#ASMSTART
	v_max_f32 v25, v24, v24 row_bcast:31 row_mask:0xf bank_mask:0xf bound_ctrl:1
	;;#ASMEND
	ds_bpermute_b32 v24, v18, v25
	v_cndmask_b32_e32 v21, v21, v7, vcc
	v_cndmask_b32_e32 v22, v22, v3, vcc
	v_cndmask_b32_e64 v23, 0, v21, s[0:1]
	s_waitcnt lgkmcnt(0)
	v_cmp_eq_f32_e32 vcc, v20, v24
	s_ff1_i32_b64 s7, vcc
	s_cmp_lg_u64 vcc, 0
	s_cselect_b32 s7, s7, 0
	v_readlane_b32 s7, v23, s7
	v_cmp_eq_u32_e32 vcc, s7, v21
	s_and_b64 vcc, s[0:1], vcc
	s_and_b32 s12, s7, 63
	v_cndmask_b32_e32 v21, 0, v22, vcc
	v_addc_co_u32_e32 v16, vcc, 0, v16, vcc
	v_readlane_b32 s0, v21, s12
	s_add_i32 s3, s3, -1
	v_mov_b32_e32 v20, s7
	v_mov_b32_e32 v21, s0
	v_cmp_eq_u32_e32 vcc, 0, v19
	s_cmp_eq_u32 s3, 0
	v_add_u32_e32 v19, -1, v19
	v_cndmask_b32_e32 v15, v15, v21, vcc
	v_cndmask_b32_e32 v14, v14, v20, vcc
	s_cbranch_scc0 .LBB40_14
; %bb.15:
	v_cmp_gt_i32_e32 vcc, s2, v0
	s_and_saveexec_b64 s[0:1], vcc
	s_cbranch_execz .LBB40_17
.LBB40_16:
	s_load_dword s2, s[4:5], 0x30
	s_load_dwordx2 s[0:1], s[4:5], 0x20
	s_ashr_i32 s3, s6, 31
	s_waitcnt lgkmcnt(0)
	v_mul_f32_e32 v0, s2, v15
	s_mul_i32 s1, s6, s1
	s_mul_hi_u32 s2, s6, s0
	s_add_i32 s1, s2, s1
	s_mul_i32 s3, s3, s0
	s_add_i32 s1, s1, s3
	s_mul_i32 s0, s6, s0
	s_lshl_b64 s[0:1], s[0:1], 2
	s_add_u32 s2, s8, s0
	s_addc_u32 s3, s9, s1
	s_add_u32 s0, s10, s0
	s_addc_u32 s1, s11, s1
	global_store_dword v13, v0, s[2:3]
	global_store_dword v13, v14, s[0:1]
.LBB40_17:
	s_endpgm
.LBB40_18:
	v_mov_b32_e32 v14, 0
	v_mov_b32_e32 v15, 0
	v_cmp_gt_i32_e32 vcc, s2, v0
	s_and_saveexec_b64 s[0:1], vcc
	s_cbranch_execnz .LBB40_16
	s_branch .LBB40_17
	.section	.rodata,"a",@progbits
	.p2align	6, 0x0
	.amdhsa_kernel _ZN5aiter24topk_softplus_kernel_optIf6__halfLi256ELb0ELi1EEEvPKT_PKT0_PfPimiif
		.amdhsa_group_segment_fixed_size 0
		.amdhsa_private_segment_fixed_size 0
		.amdhsa_kernarg_size 52
		.amdhsa_user_sgpr_count 6
		.amdhsa_user_sgpr_private_segment_buffer 1
		.amdhsa_user_sgpr_dispatch_ptr 0
		.amdhsa_user_sgpr_queue_ptr 0
		.amdhsa_user_sgpr_kernarg_segment_ptr 1
		.amdhsa_user_sgpr_dispatch_id 0
		.amdhsa_user_sgpr_flat_scratch_init 0
		.amdhsa_user_sgpr_kernarg_preload_length 0
		.amdhsa_user_sgpr_kernarg_preload_offset 0
		.amdhsa_user_sgpr_private_segment_size 0
		.amdhsa_uses_dynamic_stack 0
		.amdhsa_system_sgpr_private_segment_wavefront_offset 0
		.amdhsa_system_sgpr_workgroup_id_x 1
		.amdhsa_system_sgpr_workgroup_id_y 0
		.amdhsa_system_sgpr_workgroup_id_z 0
		.amdhsa_system_sgpr_workgroup_info 0
		.amdhsa_system_vgpr_workitem_id 0
		.amdhsa_next_free_vgpr 26
		.amdhsa_next_free_sgpr 13
		.amdhsa_accum_offset 28
		.amdhsa_reserve_vcc 1
		.amdhsa_reserve_flat_scratch 0
		.amdhsa_float_round_mode_32 0
		.amdhsa_float_round_mode_16_64 0
		.amdhsa_float_denorm_mode_32 3
		.amdhsa_float_denorm_mode_16_64 3
		.amdhsa_dx10_clamp 1
		.amdhsa_ieee_mode 1
		.amdhsa_fp16_overflow 0
		.amdhsa_tg_split 0
		.amdhsa_exception_fp_ieee_invalid_op 0
		.amdhsa_exception_fp_denorm_src 0
		.amdhsa_exception_fp_ieee_div_zero 0
		.amdhsa_exception_fp_ieee_overflow 0
		.amdhsa_exception_fp_ieee_underflow 0
		.amdhsa_exception_fp_ieee_inexact 0
		.amdhsa_exception_int_div_zero 0
	.end_amdhsa_kernel
	.section	.text._ZN5aiter24topk_softplus_kernel_optIf6__halfLi256ELb0ELi1EEEvPKT_PKT0_PfPimiif,"axG",@progbits,_ZN5aiter24topk_softplus_kernel_optIf6__halfLi256ELb0ELi1EEEvPKT_PKT0_PfPimiif,comdat
.Lfunc_end40:
	.size	_ZN5aiter24topk_softplus_kernel_optIf6__halfLi256ELb0ELi1EEEvPKT_PKT0_PfPimiif, .Lfunc_end40-_ZN5aiter24topk_softplus_kernel_optIf6__halfLi256ELb0ELi1EEEvPKT_PKT0_PfPimiif
                                        ; -- End function
	.section	.AMDGPU.csdata,"",@progbits
; Kernel info:
; codeLenInByte = 1144
; NumSgprs: 17
; NumVgprs: 26
; NumAgprs: 0
; TotalNumVgprs: 26
; ScratchSize: 0
; MemoryBound: 0
; FloatMode: 240
; IeeeMode: 1
; LDSByteSize: 0 bytes/workgroup (compile time only)
; SGPRBlocks: 2
; VGPRBlocks: 3
; NumSGPRsForWavesPerEU: 17
; NumVGPRsForWavesPerEU: 26
; AccumOffset: 28
; Occupancy: 8
; WaveLimiterHint : 0
; COMPUTE_PGM_RSRC2:SCRATCH_EN: 0
; COMPUTE_PGM_RSRC2:USER_SGPR: 6
; COMPUTE_PGM_RSRC2:TRAP_HANDLER: 0
; COMPUTE_PGM_RSRC2:TGID_X_EN: 1
; COMPUTE_PGM_RSRC2:TGID_Y_EN: 0
; COMPUTE_PGM_RSRC2:TGID_Z_EN: 0
; COMPUTE_PGM_RSRC2:TIDIG_COMP_CNT: 0
; COMPUTE_PGM_RSRC3_GFX90A:ACCUM_OFFSET: 6
; COMPUTE_PGM_RSRC3_GFX90A:TG_SPLIT: 0
	.section	.text._ZN5aiter24topk_softplus_kernel_optIf6__halfLi384ELb1ELi1EEEvPKT_PKT0_PfPimiif,"axG",@progbits,_ZN5aiter24topk_softplus_kernel_optIf6__halfLi384ELb1ELi1EEEvPKT_PKT0_PfPimiif,comdat
	.protected	_ZN5aiter24topk_softplus_kernel_optIf6__halfLi384ELb1ELi1EEEvPKT_PKT0_PfPimiif ; -- Begin function _ZN5aiter24topk_softplus_kernel_optIf6__halfLi384ELb1ELi1EEEvPKT_PKT0_PfPimiif
	.globl	_ZN5aiter24topk_softplus_kernel_optIf6__halfLi384ELb1ELi1EEEvPKT_PKT0_PfPimiif
	.p2align	8
	.type	_ZN5aiter24topk_softplus_kernel_optIf6__halfLi384ELb1ELi1EEEvPKT_PKT0_PfPimiif,@function
_ZN5aiter24topk_softplus_kernel_optIf6__halfLi384ELb1ELi1EEEvPKT_PKT0_PfPimiif: ; @_ZN5aiter24topk_softplus_kernel_optIf6__halfLi384ELb1ELi1EEEvPKT_PKT0_PfPimiif
; %bb.0:
	s_load_dwordx4 s[0:3], s[4:5], 0x0
	s_mul_i32 s8, s6, 0x180
	s_ashr_i32 s9, s8, 31
	s_lshl_b64 s[8:9], s[8:9], 2
	v_lshlrev_b32_e32 v19, 2, v0
	s_waitcnt lgkmcnt(0)
	s_add_u32 s10, s0, s8
	s_addc_u32 s11, s1, s9
	global_load_dword v1, v19, s[10:11]
	s_mov_b32 s0, 0xc2fc0000
	v_mov_b32_e32 v6, 0x42800000
	v_mov_b32_e32 v7, 0x1f800000
	s_cmp_lg_u64 s[2:3], 0
	v_mov_b32_e32 v3, s11
	s_cselect_b64 s[8:9], -1, 0
	v_lshlrev_b32_e32 v4, 1, v0
	s_waitcnt vmcnt(0)
	v_mul_f32_e32 v2, 0xbfb8aa3b, v1
	v_cmp_gt_f32_e32 vcc, s0, v2
	v_cndmask_b32_e32 v2, 0, v6, vcc
	v_fmac_f32_e32 v2, 0xbfb8aa3b, v1
	v_exp_f32_e32 v1, v2
	v_cndmask_b32_e32 v2, 1.0, v7, vcc
	v_fma_f32 v1, v1, v2, 1.0
	v_rcp_f32_e32 v1, v1
	v_add_co_u32_e32 v2, vcc, s10, v19
	v_addc_co_u32_e32 v3, vcc, 0, v3, vcc
	s_and_b64 vcc, exec, s[8:9]
	v_mov_b32_e32 v5, v1
	s_cbranch_vccz .LBB41_2
; %bb.1:
	global_load_ushort v5, v4, s[2:3]
	s_waitcnt vmcnt(0)
	v_cvt_f32_f16_e32 v5, v5
	v_add_f32_e32 v5, v1, v5
.LBB41_2:
	global_load_dword v8, v[2:3], off offset:256
	s_waitcnt vmcnt(0)
	v_mul_f32_e32 v9, 0xbfb8aa3b, v8
	v_cmp_gt_f32_e32 vcc, s0, v9
	v_cndmask_b32_e32 v6, 0, v6, vcc
	v_fmac_f32_e32 v6, 0xbfb8aa3b, v8
	v_exp_f32_e32 v6, v6
	v_cndmask_b32_e32 v7, 1.0, v7, vcc
	s_andn2_b64 vcc, exec, s[8:9]
	v_fma_f32 v6, v6, v7, 1.0
	v_rcp_f32_e32 v6, v6
	v_cndmask_b32_e64 v7, 0, 1, s[8:9]
	v_cmp_ne_u32_e64 s[0:1], 1, v7
	v_mov_b32_e32 v7, v6
	s_cbranch_vccnz .LBB41_4
; %bb.3:
	global_load_ushort v7, v4, s[2:3] offset:128
	s_waitcnt vmcnt(0)
	v_cvt_f32_f16_e32 v7, v7
	v_add_f32_e32 v7, v6, v7
.LBB41_4:
	global_load_dword v8, v[2:3], off offset:512
	s_mov_b32 s7, 0xc2fc0000
	v_mov_b32_e32 v11, 0x42800000
	v_mov_b32_e32 v10, 0x1f800000
	s_waitcnt vmcnt(0)
	v_mul_f32_e32 v9, 0xbfb8aa3b, v8
	v_cmp_gt_f32_e32 vcc, s7, v9
	v_cndmask_b32_e32 v12, 0, v11, vcc
	v_fmac_f32_e32 v12, 0xbfb8aa3b, v8
	v_exp_f32_e32 v8, v12
	v_cndmask_b32_e32 v9, 1.0, v10, vcc
	s_and_b64 vcc, exec, s[0:1]
	v_fma_f32 v8, v8, v9, 1.0
	v_rcp_f32_e32 v8, v8
	v_mov_b32_e32 v9, v8
	s_cbranch_vccnz .LBB41_6
; %bb.5:
	global_load_ushort v9, v4, s[2:3] offset:256
	s_waitcnt vmcnt(0)
	v_cvt_f32_f16_e32 v9, v9
	v_add_f32_e32 v9, v8, v9
.LBB41_6:
	global_load_dword v12, v[2:3], off offset:768
	s_waitcnt vmcnt(0)
	v_mul_f32_e32 v13, 0xbfb8aa3b, v12
	v_cmp_gt_f32_e32 vcc, s7, v13
	v_cndmask_b32_e32 v11, 0, v11, vcc
	v_fmac_f32_e32 v11, 0xbfb8aa3b, v12
	v_exp_f32_e32 v11, v11
	v_cndmask_b32_e32 v10, 1.0, v10, vcc
	s_and_b64 vcc, exec, s[0:1]
	v_fma_f32 v10, v11, v10, 1.0
	v_rcp_f32_e32 v10, v10
	v_mov_b32_e32 v11, v10
	s_cbranch_vccnz .LBB41_8
; %bb.7:
	global_load_ushort v11, v4, s[2:3] offset:384
	s_waitcnt vmcnt(0)
	v_cvt_f32_f16_e32 v11, v11
	v_add_f32_e32 v11, v10, v11
.LBB41_8:
	global_load_dword v12, v[2:3], off offset:1024
	v_mov_b32_e32 v15, 0x42800000
	v_mov_b32_e32 v14, 0x1f800000
	s_waitcnt vmcnt(0)
	v_mul_f32_e32 v13, 0xbfb8aa3b, v12
	v_cmp_gt_f32_e32 vcc, s7, v13
	v_cndmask_b32_e32 v16, 0, v15, vcc
	v_fmac_f32_e32 v16, 0xbfb8aa3b, v12
	v_exp_f32_e32 v12, v16
	v_cndmask_b32_e32 v13, 1.0, v14, vcc
	s_and_b64 vcc, exec, s[0:1]
	v_fma_f32 v12, v12, v13, 1.0
	v_rcp_f32_e32 v12, v12
	v_mov_b32_e32 v13, v12
	s_cbranch_vccnz .LBB41_10
; %bb.9:
	global_load_ushort v13, v4, s[2:3] offset:512
	s_waitcnt vmcnt(0)
	v_cvt_f32_f16_e32 v13, v13
	v_add_f32_e32 v13, v12, v13
.LBB41_10:
	global_load_dword v2, v[2:3], off offset:1280
	s_waitcnt vmcnt(0)
	v_mul_f32_e32 v3, 0xbfb8aa3b, v2
	v_cmp_gt_f32_e32 vcc, s7, v3
	v_cndmask_b32_e32 v3, 1.0, v14, vcc
	v_cndmask_b32_e32 v14, 0, v15, vcc
	v_fmac_f32_e32 v14, 0xbfb8aa3b, v2
	v_exp_f32_e32 v2, v14
	s_and_b64 vcc, exec, s[0:1]
	v_fma_f32 v2, v2, v3, 1.0
	v_rcp_f32_e32 v2, v2
	v_mov_b32_e32 v3, v2
	s_cbranch_vccnz .LBB41_12
; %bb.11:
	global_load_ushort v3, v4, s[2:3] offset:640
	s_waitcnt vmcnt(0)
	v_cvt_f32_f16_e32 v3, v3
	v_add_f32_e32 v3, v2, v3
.LBB41_12:
	v_add_u32_e32 v4, 64, v0
	v_cmp_lt_f32_e32 vcc, v5, v7
	v_add_u32_e32 v14, 0x80, v0
	v_add_u32_e32 v15, 0xc0, v0
	v_cndmask_b32_e32 v18, v6, v1, vcc
	v_cndmask_b32_e32 v1, v1, v6, vcc
	;; [unrolled: 1-line block ×6, first 2 shown]
	v_cmp_lt_f32_e32 vcc, v9, v11
	v_add_u32_e32 v16, 0x100, v0
	v_add_u32_e32 v17, 0x140, v0
	v_cndmask_b32_e32 v7, v10, v8, vcc
	v_cndmask_b32_e32 v8, v8, v10, vcc
	v_cndmask_b32_e32 v10, v15, v14, vcc
	v_cndmask_b32_e32 v14, v14, v15, vcc
	v_cndmask_b32_e32 v15, v11, v9, vcc
	v_cndmask_b32_e32 v9, v9, v11, vcc
	v_cmp_lt_f32_e32 vcc, v13, v3
	v_cndmask_b32_e32 v11, v2, v12, vcc
	v_cndmask_b32_e32 v2, v12, v2, vcc
	v_cndmask_b32_e32 v12, v17, v16, vcc
	v_cndmask_b32_e32 v16, v16, v17, vcc
	v_cndmask_b32_e32 v17, v3, v13, vcc
	v_cndmask_b32_e32 v3, v13, v3, vcc
	v_cmp_lt_f32_e32 vcc, v5, v9
	;; [unrolled: 7-line block ×7, first 2 shown]
	v_cndmask_b32_e32 v12, v23, v24, vcc
	v_cmp_lt_f32_e64 s[0:1], v26, v21
	v_cndmask_b32_e32 v5, v18, v9, vcc
	v_cndmask_b32_e32 v8, v9, v18, vcc
	;; [unrolled: 1-line block ×3, first 2 shown]
	v_cndmask_b32_e64 v18, v3, v1, s[0:1]
	v_cndmask_b32_e64 v14, v13, v25, s[0:1]
	;; [unrolled: 1-line block ×3, first 2 shown]
	v_cmp_lt_f32_e64 s[2:3], v16, v12
	v_cndmask_b32_e32 v10, v22, v11, vcc
	v_cndmask_b32_e32 v9, v24, v23, vcc
	v_cndmask_b32_e64 v1, v1, v3, s[0:1]
	v_cndmask_b32_e64 v3, v25, v13, s[0:1]
	;; [unrolled: 1-line block ×3, first 2 shown]
	s_and_saveexec_b64 s[0:1], s[2:3]
	s_xor_b64 s[0:1], exec, s[0:1]
; %bb.13:
	v_mov_b32_e32 v13, v20
	v_mov_b32_e32 v21, v15
	;; [unrolled: 1-line block ×3, first 2 shown]
	v_swap_b32 v16, v12
	v_swap_b32 v20, v8
	;; [unrolled: 1-line block ×3, first 2 shown]
; %bb.14:
	s_or_b64 exec, exec, s[0:1]
	s_load_dword s7, s[4:5], 0x28
	s_load_dwordx4 s[16:19], s[4:5], 0x10
	v_mov_b32_e32 v22, 0
	s_waitcnt lgkmcnt(0)
	s_cmp_lt_i32 s7, 1
	s_cbranch_scc1 .LBB41_20
; %bb.15:
	v_cmp_lt_f32_e32 vcc, v17, v16
	v_cndmask_b32_e32 v13, v15, v14, vcc
	v_cndmask_b32_e32 v14, v14, v15, vcc
	;; [unrolled: 1-line block ×6, first 2 shown]
	v_mbcnt_lo_u32_b32 v20, -1, 0
	v_mbcnt_hi_u32_b32 v20, -1, v20
	v_bfrev_b32_e32 v21, 0.5
	v_mov_b32_e32 v22, 0
	v_mov_b32_e32 v23, 0
	;; [unrolled: 1-line block ×3, first 2 shown]
	v_lshl_or_b32 v25, v20, 2, v21
	v_mov_b32_e32 v26, v0
	s_mov_b32 s20, s7
	v_mov_b32_e32 v20, 0
	v_mov_b32_e32 v21, 0
.LBB41_16:                              ; =>This Inner Loop Header: Depth=1
	v_cmp_eq_u32_e32 vcc, 1, v23
	v_cndmask_b32_e32 v27, v6, v11, vcc
	v_cmp_eq_u32_e64 s[0:1], 2, v23
	v_cndmask_b32_e64 v27, v27, v16, s[0:1]
	v_cmp_eq_u32_e64 s[2:3], 3, v23
	v_cndmask_b32_e64 v27, v27, v15, s[2:3]
	;; [unrolled: 2-line block ×4, first 2 shown]
	v_cmp_gt_u32_e64 s[12:13], 6, v23
	v_cndmask_b32_e64 v27, v24, v27, s[12:13]
	;;#ASMSTART
	v_max_f32 v28, v27, v27 quad_perm:[1,0,3,2] row_mask:0xf bank_mask:0xf bound_ctrl:1
	;;#ASMEND
	;;#ASMSTART
	v_max_f32 v29, v28, v28 quad_perm:[2,3,0,1] row_mask:0xf bank_mask:0xf bound_ctrl:1
	;;#ASMEND
	;;#ASMSTART
	v_max_f32 v28, v29, v29 row_half_mirror row_mask:0xf bank_mask:0xf bound_ctrl:1
	;;#ASMEND
	;;#ASMSTART
	v_max_f32 v29, v28, v28 row_mirror row_mask:0xf bank_mask:0xf bound_ctrl:1
	;;#ASMEND
	;;#ASMSTART
	v_max_f32 v28, v29, v29 row_ror:4 row_mask:0xf bank_mask:0xf bound_ctrl:1
	;;#ASMEND
	;;#ASMSTART
	v_max_f32 v29, v28, v28 row_ror:8 row_mask:0xf bank_mask:0xf bound_ctrl:1
	;;#ASMEND
	;;#ASMSTART
	v_max_f32 v28, v29, v29 row_bcast:15 row_mask:0xf bank_mask:0xf bound_ctrl:1
	;;#ASMEND
	;;#ASMSTART
	v_max_f32 v29, v28, v28 row_bcast:31 row_mask:0xf bank_mask:0xf bound_ctrl:1
	;;#ASMEND
	ds_bpermute_b32 v28, v25, v29
	s_waitcnt lgkmcnt(0)
	v_cmp_eq_f32_e64 s[14:15], v27, v28
	v_cndmask_b32_e32 v27, v4, v3, vcc
	v_cndmask_b32_e64 v27, v27, v14, s[0:1]
	v_cndmask_b32_e64 v27, v27, v13, s[2:3]
	;; [unrolled: 1-line block ×4, first 2 shown]
	s_ff1_i32_b64 s21, s[14:15]
	s_cmp_lg_u64 s[14:15], 0
	s_cselect_b32 s14, s21, 0
	v_cndmask_b32_e64 v28, 0, v27, s[12:13]
	v_readlane_b32 s21, v28, s14
	v_cmp_eq_u32_e64 s[14:15], s21, v27
	v_cndmask_b32_e32 v27, v2, v1, vcc
	v_cndmask_b32_e64 v27, v27, v18, s[0:1]
	v_cndmask_b32_e64 v27, v27, v17, s[2:3]
	;; [unrolled: 1-line block ×4, first 2 shown]
	s_and_b64 vcc, s[12:13], s[14:15]
	s_and_b32 s0, s21, 63
	v_cndmask_b32_e32 v27, 0, v27, vcc
	v_readlane_b32 s2, v27, s0
	v_mov_b32_e32 v27, s2
	v_cmp_eq_u32_e64 s[0:1], 0, v26
	v_cndmask_b32_e64 v21, v21, v27, s[0:1]
	v_mov_b32_e32 v27, s21
	s_add_i32 s20, s20, -1
	v_cndmask_b32_e64 v20, v20, v27, s[0:1]
	v_addc_co_u32_e32 v23, vcc, 0, v23, vcc
	s_cmp_eq_u32 s20, 0
	v_add_f32_e32 v22, s2, v22
	v_add_u32_e32 v26, -1, v26
	s_cbranch_scc0 .LBB41_16
; %bb.17:
	v_cmp_gt_i32_e32 vcc, s7, v0
	s_and_saveexec_b64 s[0:1], vcc
	s_cbranch_execz .LBB41_19
.LBB41_18:
	s_load_dword s2, s[4:5], 0x30
	v_max_f32_e32 v0, v22, v22
	v_max_f32_e32 v0, 0x1e3ce508, v0
	s_waitcnt lgkmcnt(0)
	v_div_scale_f32 v1, s[0:1], v0, v0, s2
	v_rcp_f32_e32 v2, v1
	v_div_scale_f32 v3, vcc, s2, v0, s2
	s_load_dwordx2 s[0:1], s[4:5], 0x20
	v_fma_f32 v4, -v1, v2, 1.0
	v_fmac_f32_e32 v2, v4, v2
	v_mul_f32_e32 v4, v3, v2
	v_fma_f32 v5, -v1, v4, v3
	v_fmac_f32_e32 v4, v5, v2
	v_fma_f32 v1, -v1, v4, v3
	v_div_fmas_f32 v1, v1, v2, v4
	v_div_fixup_f32 v0, v1, v0, s2
	s_ashr_i32 s2, s6, 31
	s_waitcnt lgkmcnt(0)
	s_mul_i32 s1, s6, s1
	s_mul_hi_u32 s3, s6, s0
	s_add_i32 s1, s3, s1
	s_mul_i32 s2, s2, s0
	s_add_i32 s1, s1, s2
	s_mul_i32 s0, s6, s0
	s_lshl_b64 s[0:1], s[0:1], 2
	s_add_u32 s2, s16, s0
	s_addc_u32 s3, s17, s1
	s_add_u32 s0, s18, s0
	v_mul_f32_e32 v0, v21, v0
	s_addc_u32 s1, s19, s1
	global_store_dword v19, v0, s[2:3]
	global_store_dword v19, v20, s[0:1]
.LBB41_19:
	s_endpgm
.LBB41_20:
	v_mov_b32_e32 v20, 0
	v_mov_b32_e32 v21, 0
	v_cmp_gt_i32_e32 vcc, s7, v0
	s_and_saveexec_b64 s[0:1], vcc
	s_cbranch_execnz .LBB41_18
	s_branch .LBB41_19
	.section	.rodata,"a",@progbits
	.p2align	6, 0x0
	.amdhsa_kernel _ZN5aiter24topk_softplus_kernel_optIf6__halfLi384ELb1ELi1EEEvPKT_PKT0_PfPimiif
		.amdhsa_group_segment_fixed_size 0
		.amdhsa_private_segment_fixed_size 0
		.amdhsa_kernarg_size 52
		.amdhsa_user_sgpr_count 6
		.amdhsa_user_sgpr_private_segment_buffer 1
		.amdhsa_user_sgpr_dispatch_ptr 0
		.amdhsa_user_sgpr_queue_ptr 0
		.amdhsa_user_sgpr_kernarg_segment_ptr 1
		.amdhsa_user_sgpr_dispatch_id 0
		.amdhsa_user_sgpr_flat_scratch_init 0
		.amdhsa_user_sgpr_kernarg_preload_length 0
		.amdhsa_user_sgpr_kernarg_preload_offset 0
		.amdhsa_user_sgpr_private_segment_size 0
		.amdhsa_uses_dynamic_stack 0
		.amdhsa_system_sgpr_private_segment_wavefront_offset 0
		.amdhsa_system_sgpr_workgroup_id_x 1
		.amdhsa_system_sgpr_workgroup_id_y 0
		.amdhsa_system_sgpr_workgroup_id_z 0
		.amdhsa_system_sgpr_workgroup_info 0
		.amdhsa_system_vgpr_workitem_id 0
		.amdhsa_next_free_vgpr 30
		.amdhsa_next_free_sgpr 22
		.amdhsa_accum_offset 32
		.amdhsa_reserve_vcc 1
		.amdhsa_reserve_flat_scratch 0
		.amdhsa_float_round_mode_32 0
		.amdhsa_float_round_mode_16_64 0
		.amdhsa_float_denorm_mode_32 3
		.amdhsa_float_denorm_mode_16_64 3
		.amdhsa_dx10_clamp 1
		.amdhsa_ieee_mode 1
		.amdhsa_fp16_overflow 0
		.amdhsa_tg_split 0
		.amdhsa_exception_fp_ieee_invalid_op 0
		.amdhsa_exception_fp_denorm_src 0
		.amdhsa_exception_fp_ieee_div_zero 0
		.amdhsa_exception_fp_ieee_overflow 0
		.amdhsa_exception_fp_ieee_underflow 0
		.amdhsa_exception_fp_ieee_inexact 0
		.amdhsa_exception_int_div_zero 0
	.end_amdhsa_kernel
	.section	.text._ZN5aiter24topk_softplus_kernel_optIf6__halfLi384ELb1ELi1EEEvPKT_PKT0_PfPimiif,"axG",@progbits,_ZN5aiter24topk_softplus_kernel_optIf6__halfLi384ELb1ELi1EEEvPKT_PKT0_PfPimiif,comdat
.Lfunc_end41:
	.size	_ZN5aiter24topk_softplus_kernel_optIf6__halfLi384ELb1ELi1EEEvPKT_PKT0_PfPimiif, .Lfunc_end41-_ZN5aiter24topk_softplus_kernel_optIf6__halfLi384ELb1ELi1EEEvPKT_PKT0_PfPimiif
                                        ; -- End function
	.section	.AMDGPU.csdata,"",@progbits
; Kernel info:
; codeLenInByte = 1752
; NumSgprs: 26
; NumVgprs: 30
; NumAgprs: 0
; TotalNumVgprs: 30
; ScratchSize: 0
; MemoryBound: 0
; FloatMode: 240
; IeeeMode: 1
; LDSByteSize: 0 bytes/workgroup (compile time only)
; SGPRBlocks: 3
; VGPRBlocks: 3
; NumSGPRsForWavesPerEU: 26
; NumVGPRsForWavesPerEU: 30
; AccumOffset: 32
; Occupancy: 8
; WaveLimiterHint : 0
; COMPUTE_PGM_RSRC2:SCRATCH_EN: 0
; COMPUTE_PGM_RSRC2:USER_SGPR: 6
; COMPUTE_PGM_RSRC2:TRAP_HANDLER: 0
; COMPUTE_PGM_RSRC2:TGID_X_EN: 1
; COMPUTE_PGM_RSRC2:TGID_Y_EN: 0
; COMPUTE_PGM_RSRC2:TGID_Z_EN: 0
; COMPUTE_PGM_RSRC2:TIDIG_COMP_CNT: 0
; COMPUTE_PGM_RSRC3_GFX90A:ACCUM_OFFSET: 7
; COMPUTE_PGM_RSRC3_GFX90A:TG_SPLIT: 0
	.section	.text._ZN5aiter24topk_softplus_kernel_optIf6__halfLi384ELb0ELi1EEEvPKT_PKT0_PfPimiif,"axG",@progbits,_ZN5aiter24topk_softplus_kernel_optIf6__halfLi384ELb0ELi1EEEvPKT_PKT0_PfPimiif,comdat
	.protected	_ZN5aiter24topk_softplus_kernel_optIf6__halfLi384ELb0ELi1EEEvPKT_PKT0_PfPimiif ; -- Begin function _ZN5aiter24topk_softplus_kernel_optIf6__halfLi384ELb0ELi1EEEvPKT_PKT0_PfPimiif
	.globl	_ZN5aiter24topk_softplus_kernel_optIf6__halfLi384ELb0ELi1EEEvPKT_PKT0_PfPimiif
	.p2align	8
	.type	_ZN5aiter24topk_softplus_kernel_optIf6__halfLi384ELb0ELi1EEEvPKT_PKT0_PfPimiif,@function
_ZN5aiter24topk_softplus_kernel_optIf6__halfLi384ELb0ELi1EEEvPKT_PKT0_PfPimiif: ; @_ZN5aiter24topk_softplus_kernel_optIf6__halfLi384ELb0ELi1EEEvPKT_PKT0_PfPimiif
; %bb.0:
	s_load_dwordx4 s[0:3], s[4:5], 0x0
	s_mul_i32 s8, s6, 0x180
	s_ashr_i32 s9, s8, 31
	s_lshl_b64 s[8:9], s[8:9], 2
	v_lshlrev_b32_e32 v19, 2, v0
	s_waitcnt lgkmcnt(0)
	s_add_u32 s10, s0, s8
	s_addc_u32 s11, s1, s9
	global_load_dword v1, v19, s[10:11]
	s_mov_b32 s0, 0xc2fc0000
	v_mov_b32_e32 v6, 0x42800000
	v_mov_b32_e32 v7, 0x1f800000
	s_cmp_lg_u64 s[2:3], 0
	v_mov_b32_e32 v3, s11
	s_cselect_b64 s[8:9], -1, 0
	v_lshlrev_b32_e32 v4, 1, v0
	s_waitcnt vmcnt(0)
	v_mul_f32_e32 v2, 0xbfb8aa3b, v1
	v_cmp_gt_f32_e32 vcc, s0, v2
	v_cndmask_b32_e32 v2, 0, v6, vcc
	v_fmac_f32_e32 v2, 0xbfb8aa3b, v1
	v_exp_f32_e32 v1, v2
	v_cndmask_b32_e32 v2, 1.0, v7, vcc
	v_fma_f32 v1, v1, v2, 1.0
	v_rcp_f32_e32 v1, v1
	v_add_co_u32_e32 v2, vcc, s10, v19
	v_addc_co_u32_e32 v3, vcc, 0, v3, vcc
	s_and_b64 vcc, exec, s[8:9]
	v_mov_b32_e32 v5, v1
	s_cbranch_vccz .LBB42_2
; %bb.1:
	global_load_ushort v5, v4, s[2:3]
	s_waitcnt vmcnt(0)
	v_cvt_f32_f16_e32 v5, v5
	v_add_f32_e32 v5, v1, v5
.LBB42_2:
	global_load_dword v8, v[2:3], off offset:256
	s_waitcnt vmcnt(0)
	v_mul_f32_e32 v9, 0xbfb8aa3b, v8
	v_cmp_gt_f32_e32 vcc, s0, v9
	v_cndmask_b32_e32 v6, 0, v6, vcc
	v_fmac_f32_e32 v6, 0xbfb8aa3b, v8
	v_exp_f32_e32 v6, v6
	v_cndmask_b32_e32 v7, 1.0, v7, vcc
	s_andn2_b64 vcc, exec, s[8:9]
	v_fma_f32 v6, v6, v7, 1.0
	v_rcp_f32_e32 v6, v6
	v_cndmask_b32_e64 v7, 0, 1, s[8:9]
	v_cmp_ne_u32_e64 s[0:1], 1, v7
	v_mov_b32_e32 v7, v6
	s_cbranch_vccnz .LBB42_4
; %bb.3:
	global_load_ushort v7, v4, s[2:3] offset:128
	s_waitcnt vmcnt(0)
	v_cvt_f32_f16_e32 v7, v7
	v_add_f32_e32 v7, v6, v7
.LBB42_4:
	global_load_dword v8, v[2:3], off offset:512
	s_mov_b32 s7, 0xc2fc0000
	v_mov_b32_e32 v11, 0x42800000
	v_mov_b32_e32 v10, 0x1f800000
	s_waitcnt vmcnt(0)
	v_mul_f32_e32 v9, 0xbfb8aa3b, v8
	v_cmp_gt_f32_e32 vcc, s7, v9
	v_cndmask_b32_e32 v12, 0, v11, vcc
	v_fmac_f32_e32 v12, 0xbfb8aa3b, v8
	v_exp_f32_e32 v8, v12
	v_cndmask_b32_e32 v9, 1.0, v10, vcc
	s_and_b64 vcc, exec, s[0:1]
	v_fma_f32 v8, v8, v9, 1.0
	v_rcp_f32_e32 v8, v8
	v_mov_b32_e32 v9, v8
	s_cbranch_vccnz .LBB42_6
; %bb.5:
	global_load_ushort v9, v4, s[2:3] offset:256
	s_waitcnt vmcnt(0)
	v_cvt_f32_f16_e32 v9, v9
	v_add_f32_e32 v9, v8, v9
.LBB42_6:
	global_load_dword v12, v[2:3], off offset:768
	s_waitcnt vmcnt(0)
	v_mul_f32_e32 v13, 0xbfb8aa3b, v12
	v_cmp_gt_f32_e32 vcc, s7, v13
	v_cndmask_b32_e32 v11, 0, v11, vcc
	v_fmac_f32_e32 v11, 0xbfb8aa3b, v12
	v_exp_f32_e32 v11, v11
	v_cndmask_b32_e32 v10, 1.0, v10, vcc
	s_and_b64 vcc, exec, s[0:1]
	v_fma_f32 v10, v11, v10, 1.0
	v_rcp_f32_e32 v10, v10
	v_mov_b32_e32 v11, v10
	s_cbranch_vccnz .LBB42_8
; %bb.7:
	global_load_ushort v11, v4, s[2:3] offset:384
	s_waitcnt vmcnt(0)
	v_cvt_f32_f16_e32 v11, v11
	v_add_f32_e32 v11, v10, v11
.LBB42_8:
	global_load_dword v12, v[2:3], off offset:1024
	v_mov_b32_e32 v15, 0x42800000
	v_mov_b32_e32 v14, 0x1f800000
	s_waitcnt vmcnt(0)
	v_mul_f32_e32 v13, 0xbfb8aa3b, v12
	v_cmp_gt_f32_e32 vcc, s7, v13
	v_cndmask_b32_e32 v16, 0, v15, vcc
	v_fmac_f32_e32 v16, 0xbfb8aa3b, v12
	v_exp_f32_e32 v12, v16
	v_cndmask_b32_e32 v13, 1.0, v14, vcc
	s_and_b64 vcc, exec, s[0:1]
	v_fma_f32 v12, v12, v13, 1.0
	v_rcp_f32_e32 v12, v12
	v_mov_b32_e32 v13, v12
	s_cbranch_vccnz .LBB42_10
; %bb.9:
	global_load_ushort v13, v4, s[2:3] offset:512
	s_waitcnt vmcnt(0)
	v_cvt_f32_f16_e32 v13, v13
	v_add_f32_e32 v13, v12, v13
.LBB42_10:
	global_load_dword v2, v[2:3], off offset:1280
	s_waitcnt vmcnt(0)
	v_mul_f32_e32 v3, 0xbfb8aa3b, v2
	v_cmp_gt_f32_e32 vcc, s7, v3
	v_cndmask_b32_e32 v3, 1.0, v14, vcc
	v_cndmask_b32_e32 v14, 0, v15, vcc
	v_fmac_f32_e32 v14, 0xbfb8aa3b, v2
	v_exp_f32_e32 v2, v14
	s_and_b64 vcc, exec, s[0:1]
	v_fma_f32 v2, v2, v3, 1.0
	v_rcp_f32_e32 v2, v2
	v_mov_b32_e32 v3, v2
	s_cbranch_vccnz .LBB42_12
; %bb.11:
	global_load_ushort v3, v4, s[2:3] offset:640
	s_waitcnt vmcnt(0)
	v_cvt_f32_f16_e32 v3, v3
	v_add_f32_e32 v3, v2, v3
.LBB42_12:
	v_add_u32_e32 v4, 64, v0
	v_cmp_lt_f32_e32 vcc, v5, v7
	v_add_u32_e32 v14, 0x80, v0
	v_add_u32_e32 v15, 0xc0, v0
	v_cndmask_b32_e32 v18, v6, v1, vcc
	v_cndmask_b32_e32 v1, v1, v6, vcc
	;; [unrolled: 1-line block ×6, first 2 shown]
	v_cmp_lt_f32_e32 vcc, v9, v11
	v_add_u32_e32 v16, 0x100, v0
	v_add_u32_e32 v17, 0x140, v0
	v_cndmask_b32_e32 v7, v10, v8, vcc
	v_cndmask_b32_e32 v8, v8, v10, vcc
	v_cndmask_b32_e32 v10, v15, v14, vcc
	v_cndmask_b32_e32 v14, v14, v15, vcc
	v_cndmask_b32_e32 v15, v11, v9, vcc
	v_cndmask_b32_e32 v9, v9, v11, vcc
	v_cmp_lt_f32_e32 vcc, v13, v3
	v_cndmask_b32_e32 v11, v2, v12, vcc
	v_cndmask_b32_e32 v2, v12, v2, vcc
	v_cndmask_b32_e32 v12, v17, v16, vcc
	v_cndmask_b32_e32 v16, v16, v17, vcc
	v_cndmask_b32_e32 v17, v3, v13, vcc
	v_cndmask_b32_e32 v3, v13, v3, vcc
	v_cmp_lt_f32_e32 vcc, v5, v9
	;; [unrolled: 7-line block ×7, first 2 shown]
	v_cndmask_b32_e32 v12, v23, v24, vcc
	v_cmp_lt_f32_e64 s[0:1], v26, v21
	v_cndmask_b32_e32 v5, v18, v9, vcc
	v_cndmask_b32_e32 v8, v9, v18, vcc
	;; [unrolled: 1-line block ×3, first 2 shown]
	v_cndmask_b32_e64 v18, v3, v1, s[0:1]
	v_cndmask_b32_e64 v14, v13, v25, s[0:1]
	;; [unrolled: 1-line block ×3, first 2 shown]
	v_cmp_lt_f32_e64 s[2:3], v16, v12
	v_cndmask_b32_e32 v10, v22, v11, vcc
	v_cndmask_b32_e32 v9, v24, v23, vcc
	v_cndmask_b32_e64 v1, v1, v3, s[0:1]
	v_cndmask_b32_e64 v3, v25, v13, s[0:1]
	;; [unrolled: 1-line block ×3, first 2 shown]
	s_and_saveexec_b64 s[0:1], s[2:3]
	s_xor_b64 s[0:1], exec, s[0:1]
; %bb.13:
	v_mov_b32_e32 v13, v20
	v_mov_b32_e32 v21, v15
	;; [unrolled: 1-line block ×3, first 2 shown]
	v_swap_b32 v16, v12
	v_swap_b32 v20, v8
	v_swap_b32 v15, v10
; %bb.14:
	s_or_b64 exec, exec, s[0:1]
	s_load_dword s7, s[4:5], 0x28
	s_load_dwordx4 s[16:19], s[4:5], 0x10
	s_waitcnt lgkmcnt(0)
	s_cmp_lt_i32 s7, 1
	s_cbranch_scc1 .LBB42_20
; %bb.15:
	v_cmp_lt_f32_e32 vcc, v17, v16
	v_cndmask_b32_e32 v13, v15, v14, vcc
	v_cndmask_b32_e32 v14, v14, v15, vcc
	;; [unrolled: 1-line block ×6, first 2 shown]
	v_mbcnt_lo_u32_b32 v20, -1, 0
	v_mbcnt_hi_u32_b32 v20, -1, v20
	v_bfrev_b32_e32 v24, 0.5
	v_mov_b32_e32 v22, 0
	v_mov_b32_e32 v21, 0
	;; [unrolled: 1-line block ×3, first 2 shown]
	v_lshl_or_b32 v24, v20, 2, v24
	v_mov_b32_e32 v25, v0
	s_mov_b32 s20, s7
	v_mov_b32_e32 v20, 0
.LBB42_16:                              ; =>This Inner Loop Header: Depth=1
	v_cmp_eq_u32_e32 vcc, 1, v22
	v_cndmask_b32_e32 v26, v6, v11, vcc
	v_cmp_eq_u32_e64 s[0:1], 2, v22
	v_cndmask_b32_e64 v26, v26, v16, s[0:1]
	v_cmp_eq_u32_e64 s[2:3], 3, v22
	v_cndmask_b32_e64 v26, v26, v15, s[2:3]
	;; [unrolled: 2-line block ×4, first 2 shown]
	v_cmp_gt_u32_e64 s[12:13], 6, v22
	v_cndmask_b32_e64 v26, v23, v26, s[12:13]
	;;#ASMSTART
	v_max_f32 v27, v26, v26 quad_perm:[1,0,3,2] row_mask:0xf bank_mask:0xf bound_ctrl:1
	;;#ASMEND
	;;#ASMSTART
	v_max_f32 v28, v27, v27 quad_perm:[2,3,0,1] row_mask:0xf bank_mask:0xf bound_ctrl:1
	;;#ASMEND
	;;#ASMSTART
	v_max_f32 v27, v28, v28 row_half_mirror row_mask:0xf bank_mask:0xf bound_ctrl:1
	;;#ASMEND
	;;#ASMSTART
	v_max_f32 v28, v27, v27 row_mirror row_mask:0xf bank_mask:0xf bound_ctrl:1
	;;#ASMEND
	;;#ASMSTART
	v_max_f32 v27, v28, v28 row_ror:4 row_mask:0xf bank_mask:0xf bound_ctrl:1
	;;#ASMEND
	;;#ASMSTART
	v_max_f32 v28, v27, v27 row_ror:8 row_mask:0xf bank_mask:0xf bound_ctrl:1
	;;#ASMEND
	;;#ASMSTART
	v_max_f32 v27, v28, v28 row_bcast:15 row_mask:0xf bank_mask:0xf bound_ctrl:1
	;;#ASMEND
	;;#ASMSTART
	v_max_f32 v28, v27, v27 row_bcast:31 row_mask:0xf bank_mask:0xf bound_ctrl:1
	;;#ASMEND
	ds_bpermute_b32 v27, v24, v28
	s_waitcnt lgkmcnt(0)
	v_cmp_eq_f32_e64 s[14:15], v26, v27
	v_cndmask_b32_e32 v26, v4, v3, vcc
	v_cndmask_b32_e64 v26, v26, v14, s[0:1]
	v_cndmask_b32_e64 v26, v26, v13, s[2:3]
	;; [unrolled: 1-line block ×4, first 2 shown]
	s_ff1_i32_b64 s21, s[14:15]
	s_cmp_lg_u64 s[14:15], 0
	s_cselect_b32 s14, s21, 0
	v_cndmask_b32_e64 v27, 0, v26, s[12:13]
	v_readlane_b32 s21, v27, s14
	v_cmp_eq_u32_e64 s[14:15], s21, v26
	v_cndmask_b32_e32 v26, v2, v1, vcc
	v_cndmask_b32_e64 v26, v26, v18, s[0:1]
	v_cndmask_b32_e64 v26, v26, v17, s[2:3]
	;; [unrolled: 1-line block ×4, first 2 shown]
	s_and_b64 vcc, s[12:13], s[14:15]
	s_and_b32 s0, s21, 63
	v_cndmask_b32_e32 v26, 0, v26, vcc
	v_readlane_b32 s0, v26, s0
	v_mov_b32_e32 v26, s0
	v_cmp_eq_u32_e64 s[0:1], 0, v25
	v_cndmask_b32_e64 v21, v21, v26, s[0:1]
	v_mov_b32_e32 v26, s21
	s_add_i32 s20, s20, -1
	v_cndmask_b32_e64 v20, v20, v26, s[0:1]
	v_addc_co_u32_e32 v22, vcc, 0, v22, vcc
	s_cmp_eq_u32 s20, 0
	v_add_u32_e32 v25, -1, v25
	s_cbranch_scc0 .LBB42_16
; %bb.17:
	v_cmp_gt_i32_e32 vcc, s7, v0
	s_and_saveexec_b64 s[0:1], vcc
	s_cbranch_execz .LBB42_19
.LBB42_18:
	s_load_dword s2, s[4:5], 0x30
	s_load_dwordx2 s[0:1], s[4:5], 0x20
	s_ashr_i32 s3, s6, 31
	s_waitcnt lgkmcnt(0)
	v_mul_f32_e32 v0, s2, v21
	s_mul_i32 s1, s6, s1
	s_mul_hi_u32 s2, s6, s0
	s_add_i32 s1, s2, s1
	s_mul_i32 s3, s3, s0
	s_add_i32 s1, s1, s3
	s_mul_i32 s0, s6, s0
	s_lshl_b64 s[0:1], s[0:1], 2
	s_add_u32 s2, s16, s0
	s_addc_u32 s3, s17, s1
	s_add_u32 s0, s18, s0
	s_addc_u32 s1, s19, s1
	global_store_dword v19, v0, s[2:3]
	global_store_dword v19, v20, s[0:1]
.LBB42_19:
	s_endpgm
.LBB42_20:
	v_mov_b32_e32 v20, 0
	v_mov_b32_e32 v21, 0
	v_cmp_gt_i32_e32 vcc, s7, v0
	s_and_saveexec_b64 s[0:1], vcc
	s_cbranch_execnz .LBB42_18
	s_branch .LBB42_19
	.section	.rodata,"a",@progbits
	.p2align	6, 0x0
	.amdhsa_kernel _ZN5aiter24topk_softplus_kernel_optIf6__halfLi384ELb0ELi1EEEvPKT_PKT0_PfPimiif
		.amdhsa_group_segment_fixed_size 0
		.amdhsa_private_segment_fixed_size 0
		.amdhsa_kernarg_size 52
		.amdhsa_user_sgpr_count 6
		.amdhsa_user_sgpr_private_segment_buffer 1
		.amdhsa_user_sgpr_dispatch_ptr 0
		.amdhsa_user_sgpr_queue_ptr 0
		.amdhsa_user_sgpr_kernarg_segment_ptr 1
		.amdhsa_user_sgpr_dispatch_id 0
		.amdhsa_user_sgpr_flat_scratch_init 0
		.amdhsa_user_sgpr_kernarg_preload_length 0
		.amdhsa_user_sgpr_kernarg_preload_offset 0
		.amdhsa_user_sgpr_private_segment_size 0
		.amdhsa_uses_dynamic_stack 0
		.amdhsa_system_sgpr_private_segment_wavefront_offset 0
		.amdhsa_system_sgpr_workgroup_id_x 1
		.amdhsa_system_sgpr_workgroup_id_y 0
		.amdhsa_system_sgpr_workgroup_id_z 0
		.amdhsa_system_sgpr_workgroup_info 0
		.amdhsa_system_vgpr_workitem_id 0
		.amdhsa_next_free_vgpr 29
		.amdhsa_next_free_sgpr 22
		.amdhsa_accum_offset 32
		.amdhsa_reserve_vcc 1
		.amdhsa_reserve_flat_scratch 0
		.amdhsa_float_round_mode_32 0
		.amdhsa_float_round_mode_16_64 0
		.amdhsa_float_denorm_mode_32 3
		.amdhsa_float_denorm_mode_16_64 3
		.amdhsa_dx10_clamp 1
		.amdhsa_ieee_mode 1
		.amdhsa_fp16_overflow 0
		.amdhsa_tg_split 0
		.amdhsa_exception_fp_ieee_invalid_op 0
		.amdhsa_exception_fp_denorm_src 0
		.amdhsa_exception_fp_ieee_div_zero 0
		.amdhsa_exception_fp_ieee_overflow 0
		.amdhsa_exception_fp_ieee_underflow 0
		.amdhsa_exception_fp_ieee_inexact 0
		.amdhsa_exception_int_div_zero 0
	.end_amdhsa_kernel
	.section	.text._ZN5aiter24topk_softplus_kernel_optIf6__halfLi384ELb0ELi1EEEvPKT_PKT0_PfPimiif,"axG",@progbits,_ZN5aiter24topk_softplus_kernel_optIf6__halfLi384ELb0ELi1EEEvPKT_PKT0_PfPimiif,comdat
.Lfunc_end42:
	.size	_ZN5aiter24topk_softplus_kernel_optIf6__halfLi384ELb0ELi1EEEvPKT_PKT0_PfPimiif, .Lfunc_end42-_ZN5aiter24topk_softplus_kernel_optIf6__halfLi384ELb0ELi1EEEvPKT_PKT0_PfPimiif
                                        ; -- End function
	.section	.AMDGPU.csdata,"",@progbits
; Kernel info:
; codeLenInByte = 1652
; NumSgprs: 26
; NumVgprs: 29
; NumAgprs: 0
; TotalNumVgprs: 29
; ScratchSize: 0
; MemoryBound: 0
; FloatMode: 240
; IeeeMode: 1
; LDSByteSize: 0 bytes/workgroup (compile time only)
; SGPRBlocks: 3
; VGPRBlocks: 3
; NumSGPRsForWavesPerEU: 26
; NumVGPRsForWavesPerEU: 29
; AccumOffset: 32
; Occupancy: 8
; WaveLimiterHint : 0
; COMPUTE_PGM_RSRC2:SCRATCH_EN: 0
; COMPUTE_PGM_RSRC2:USER_SGPR: 6
; COMPUTE_PGM_RSRC2:TRAP_HANDLER: 0
; COMPUTE_PGM_RSRC2:TGID_X_EN: 1
; COMPUTE_PGM_RSRC2:TGID_Y_EN: 0
; COMPUTE_PGM_RSRC2:TGID_Z_EN: 0
; COMPUTE_PGM_RSRC2:TIDIG_COMP_CNT: 0
; COMPUTE_PGM_RSRC3_GFX90A:ACCUM_OFFSET: 7
; COMPUTE_PGM_RSRC3_GFX90A:TG_SPLIT: 0
	.section	.text._ZN5aiter20topk_softplus_kernelIf6__halfDv4_fLb1ELi1EEEvPKT_PKT0_PfPimiiif,"axG",@progbits,_ZN5aiter20topk_softplus_kernelIf6__halfDv4_fLb1ELi1EEEvPKT_PKT0_PfPimiiif,comdat
	.protected	_ZN5aiter20topk_softplus_kernelIf6__halfDv4_fLb1ELi1EEEvPKT_PKT0_PfPimiiif ; -- Begin function _ZN5aiter20topk_softplus_kernelIf6__halfDv4_fLb1ELi1EEEvPKT_PKT0_PfPimiiif
	.globl	_ZN5aiter20topk_softplus_kernelIf6__halfDv4_fLb1ELi1EEEvPKT_PKT0_PfPimiiif
	.p2align	8
	.type	_ZN5aiter20topk_softplus_kernelIf6__halfDv4_fLb1ELi1EEEvPKT_PKT0_PfPimiiif,@function
_ZN5aiter20topk_softplus_kernelIf6__halfDv4_fLb1ELi1EEEvPKT_PKT0_PfPimiiif: ; @_ZN5aiter20topk_softplus_kernelIf6__halfDv4_fLb1ELi1EEEvPKT_PKT0_PfPimiiif
; %bb.0:
	s_load_dwordx2 s[16:17], s[4:5], 0x28
	s_load_dwordx8 s[8:15], s[4:5], 0x0
	v_lshlrev_b32_e32 v1, 2, v0
	s_waitcnt lgkmcnt(0)
	s_ashr_i32 s0, s16, 31
	s_lshr_b32 s0, s0, 30
	s_add_i32 s0, s16, s0
	s_mul_i32 s18, s6, s16
	s_ashr_i32 s7, s0, 2
	s_ashr_i32 s19, s18, 31
	v_cmp_gt_i32_e64 s[0:1], s7, v0
	s_and_saveexec_b64 s[20:21], s[0:1]
	s_cbranch_execz .LBB43_11
; %bb.1:
	s_load_dword s25, s[4:5], 0x44
	s_cmp_lg_u64 s[10:11], 0
	s_cselect_b64 s[2:3], -1, 0
	v_lshlrev_b32_e32 v2, 4, v0
	v_add_u32_e32 v12, 0, v2
	s_waitcnt lgkmcnt(0)
	s_and_b32 s25, s25, 0xffff
	s_add_u32 s26, s10, 2
	s_addc_u32 s27, s11, 0
	s_add_u32 s28, s10, 4
	s_addc_u32 s29, s11, 0
	;; [unrolled: 2-line block ×3, first 2 shown]
	s_lshl_b64 s[34:35], s[18:19], 2
	s_add_u32 s33, s8, s34
	s_addc_u32 s34, s9, s35
	v_mov_b32_e32 v3, s34
	v_add_co_u32_e32 v6, vcc, s33, v2
	v_cndmask_b32_e64 v2, 0, 1, s[2:3]
	s_mov_b64 s[22:23], 0
	s_mov_b32 s24, 0
	v_addc_co_u32_e32 v7, vcc, 0, v3, vcc
	s_lshl_b32 s33, s25, 4
	v_lshlrev_b32_e32 v8, 2, v0
	s_lshl_b32 s34, s25, 2
	v_mov_b32_e32 v9, 0
	s_mov_b32 s35, 0xc2fc0000
	v_mov_b32_e32 v13, 0x1f800000
	v_mov_b32_e32 v14, 0x42800000
	v_cmp_ne_u32_e64 s[2:3], 1, v2
	v_mov_b32_e32 v15, v0
	s_branch .LBB43_3
.LBB43_2:                               ;   in Loop: Header=BB43_3 Depth=1
	ds_write_b128 v12, v[2:5]
	v_mov_b32_e32 v2, s24
	v_add_co_u32_e32 v6, vcc, s33, v6
	v_add_u32_e32 v15, s25, v15
	v_addc_co_u32_e32 v7, vcc, v7, v2, vcc
	v_cmp_le_i32_e32 vcc, s7, v15
	v_add_u32_e32 v8, s34, v8
	s_or_b64 s[22:23], vcc, s[22:23]
	v_add_u32_e32 v12, s33, v12
	s_andn2_b64 exec, exec, s[22:23]
	s_cbranch_execz .LBB43_11
.LBB43_3:                               ; =>This Inner Loop Header: Depth=1
	global_load_dwordx4 v[2:5], v[6:7], off
	s_waitcnt vmcnt(0)
	v_mul_f32_e32 v10, 0xbfb8aa3b, v2
	v_cmp_gt_f32_e32 vcc, s35, v10
	v_cndmask_b32_e32 v11, 0, v14, vcc
	v_fmac_f32_e32 v11, 0xbfb8aa3b, v2
	v_exp_f32_e32 v2, v11
	v_cndmask_b32_e32 v10, 1.0, v13, vcc
	s_and_b64 vcc, exec, s[2:3]
	v_fma_f32 v2, v2, v10, 1.0
	v_rcp_f32_e32 v2, v2
	v_lshlrev_b64 v[10:11], 1, v[8:9]
	s_cbranch_vccnz .LBB43_5
; %bb.4:                                ;   in Loop: Header=BB43_3 Depth=1
	v_mov_b32_e32 v17, s11
	v_add_co_u32_e32 v16, vcc, s10, v10
	v_addc_co_u32_e32 v17, vcc, v17, v11, vcc
	global_load_ushort v16, v[16:17], off
	s_waitcnt vmcnt(0)
	v_cvt_f32_f16_e32 v16, v16
	v_add_f32_e32 v2, v2, v16
.LBB43_5:                               ;   in Loop: Header=BB43_3 Depth=1
	v_mul_f32_e32 v16, 0xbfb8aa3b, v3
	v_cmp_gt_f32_e32 vcc, s35, v16
	v_cndmask_b32_e32 v17, 0, v14, vcc
	v_fmac_f32_e32 v17, 0xbfb8aa3b, v3
	v_exp_f32_e32 v3, v17
	v_cndmask_b32_e32 v16, 1.0, v13, vcc
	s_and_b64 vcc, exec, s[2:3]
	v_fma_f32 v3, v3, v16, 1.0
	v_rcp_f32_e32 v3, v3
	s_cbranch_vccnz .LBB43_7
; %bb.6:                                ;   in Loop: Header=BB43_3 Depth=1
	v_mov_b32_e32 v17, s27
	v_add_co_u32_e32 v16, vcc, s26, v10
	v_addc_co_u32_e32 v17, vcc, v17, v11, vcc
	global_load_ushort v16, v[16:17], off
	s_waitcnt vmcnt(0)
	v_cvt_f32_f16_e32 v16, v16
	v_add_f32_e32 v3, v3, v16
.LBB43_7:                               ;   in Loop: Header=BB43_3 Depth=1
	v_mul_f32_e32 v16, 0xbfb8aa3b, v4
	v_cmp_gt_f32_e32 vcc, s35, v16
	v_cndmask_b32_e32 v17, 0, v14, vcc
	v_fmac_f32_e32 v17, 0xbfb8aa3b, v4
	v_exp_f32_e32 v4, v17
	v_cndmask_b32_e32 v16, 1.0, v13, vcc
	s_and_b64 vcc, exec, s[2:3]
	v_fma_f32 v4, v4, v16, 1.0
	v_rcp_f32_e32 v4, v4
	;; [unrolled: 19-line block ×3, first 2 shown]
	s_cbranch_vccnz .LBB43_2
; %bb.10:                               ;   in Loop: Header=BB43_3 Depth=1
	v_mov_b32_e32 v16, s31
	v_add_co_u32_e32 v10, vcc, s30, v10
	v_addc_co_u32_e32 v11, vcc, v16, v11, vcc
	global_load_ushort v10, v[10:11], off
	s_waitcnt vmcnt(0)
	v_cvt_f32_f16_e32 v10, v10
	v_add_f32_e32 v5, v5, v10
	s_branch .LBB43_2
.LBB43_11:
	s_or_b64 exec, exec, s[20:21]
	v_lshl_add_u32 v2, s7, 2, v0
	v_cmp_gt_i32_e32 vcc, s16, v2
	s_and_saveexec_b64 s[20:21], vcc
	s_cbranch_execz .LBB43_16
; %bb.12:
	s_lshl_b64 s[2:3], s[18:19], 2
	s_load_dword s19, s[4:5], 0x44
	s_add_u32 s18, s8, s2
	s_addc_u32 s23, s9, s3
	s_cmp_lg_u64 s[10:11], 0
	s_cselect_b64 s[2:3], -1, 0
	s_lshl_b32 s22, s7, 4
	s_waitcnt lgkmcnt(0)
	s_and_b32 s19, s19, 0xffff
	s_add_i32 s22, s22, 0
	v_cndmask_b32_e64 v3, 0, 1, s[2:3]
	s_mov_b64 s[8:9], 0
	v_lshl_add_u32 v4, v0, 2, s22
	s_lshl_b32 s22, s19, 2
	v_mov_b32_e32 v5, s23
	s_mov_b32 s23, 0xc2fc0000
	v_mov_b32_e32 v6, 0x42800000
	v_mov_b32_e32 v7, 0x1f800000
	v_cmp_ne_u32_e64 s[2:3], 1, v3
	s_branch .LBB43_14
.LBB43_13:                              ;   in Loop: Header=BB43_14 Depth=1
	v_add_u32_e32 v2, s19, v2
	v_cmp_le_i32_e32 vcc, s16, v2
	s_or_b64 s[8:9], vcc, s[8:9]
	v_add_u32_e32 v4, s22, v4
	s_andn2_b64 exec, exec, s[8:9]
	s_cbranch_execz .LBB43_16
.LBB43_14:                              ; =>This Inner Loop Header: Depth=1
	v_ashrrev_i32_e32 v3, 31, v2
	v_lshlrev_b64 v[8:9], 2, v[2:3]
	v_add_co_u32_e32 v8, vcc, s18, v8
	v_addc_co_u32_e32 v9, vcc, v5, v9, vcc
	global_load_dword v8, v[8:9], off
	s_waitcnt vmcnt(0)
	v_mul_f32_e32 v9, 0xbfb8aa3b, v8
	v_cmp_gt_f32_e32 vcc, s23, v9
	v_cndmask_b32_e32 v9, 0, v6, vcc
	v_fmac_f32_e32 v9, 0xbfb8aa3b, v8
	v_exp_f32_e32 v8, v9
	v_cndmask_b32_e32 v9, 1.0, v7, vcc
	s_and_b64 vcc, exec, s[2:3]
	v_fma_f32 v8, v8, v9, 1.0
	v_rcp_f32_e32 v8, v8
	ds_write_b32 v4, v8
	s_cbranch_vccnz .LBB43_13
; %bb.15:                               ;   in Loop: Header=BB43_14 Depth=1
	v_lshlrev_b64 v[10:11], 1, v[2:3]
	v_mov_b32_e32 v3, s11
	v_add_co_u32_e32 v10, vcc, s10, v10
	v_addc_co_u32_e32 v11, vcc, v3, v11, vcc
	global_load_ushort v3, v[10:11], off
	s_waitcnt vmcnt(0)
	v_cvt_f32_f16_e32 v3, v3
	v_add_f32_e32 v3, v8, v3
	ds_write_b32 v4, v3
	s_branch .LBB43_13
.LBB43_16:
	s_or_b64 exec, exec, s[20:21]
	s_cmp_lt_i32 s17, 1
	v_mov_b32_e32 v3, 0
	s_waitcnt lgkmcnt(0)
	s_barrier
	s_cbranch_scc1 .LBB43_25
; %bb.17:
	s_add_u32 s2, s4, 56
	s_addc_u32 s3, s5, 0
	v_mbcnt_lo_u32_b32 v2, -1, 0
	s_cmp_lg_u64 s[10:11], 0
	v_mbcnt_hi_u32_b32 v2, -1, v2
	v_bfrev_b32_e32 v4, 0.5
	s_cselect_b64 s[8:9], -1, 0
	v_lshl_add_u32 v5, v0, 4, 0
	s_mov_b32 s16, 0
	v_mov_b32_e32 v3, 0
	v_lshl_or_b32 v6, v2, 2, v4
	v_mov_b32_e32 v7, 0
	v_mov_b32_e32 v8, 0xff800000
	;; [unrolled: 1-line block ×4, first 2 shown]
	s_branch .LBB43_19
.LBB43_18:                              ;   in Loop: Header=BB43_19 Depth=1
	s_lshl_b32 s19, s18, 2
	s_add_i32 s19, s19, 0
	v_mov_b32_e32 v9, s19
	ds_write_b32 v9, v8
	v_mov_b32_e32 v9, s18
	v_cmp_eq_u32_e32 vcc, s16, v0
	s_add_i32 s16, s16, 1
	v_cndmask_b32_e32 v2, v2, v9, vcc
	v_cndmask_b32_e32 v3, v3, v11, vcc
	s_cmp_eq_u32 s16, s17
	v_add_f32_e32 v4, v4, v11
	s_cbranch_scc1 .LBB43_26
.LBB43_19:                              ; =>This Loop Header: Depth=1
                                        ;     Child Loop BB43_21 Depth 2
	v_mov_b32_e32 v9, s16
	v_mov_b32_e32 v10, 0xff800000
	s_and_saveexec_b64 s[18:19], s[0:1]
	s_cbranch_execz .LBB43_23
; %bb.20:                               ;   in Loop: Header=BB43_19 Depth=1
	s_load_dword s22, s[2:3], 0xc
	s_mov_b64 s[20:21], 0
	v_mov_b32_e32 v9, s16
	v_mov_b32_e32 v10, 0xff800000
	;; [unrolled: 1-line block ×3, first 2 shown]
	s_waitcnt lgkmcnt(0)
	s_and_b32 s22, s22, 0xffff
	s_lshl_b32 s23, s22, 2
	s_lshl_b32 s24, s22, 4
	v_mov_b32_e32 v12, v1
	v_mov_b32_e32 v13, v0
.LBB43_21:                              ;   Parent Loop BB43_19 Depth=1
                                        ; =>  This Inner Loop Header: Depth=2
	ds_read_b128 v[14:17], v11
	v_add_u32_e32 v13, s22, v13
	v_cmp_le_i32_e32 vcc, s7, v13
	s_or_b64 s[20:21], vcc, s[20:21]
	v_add_u32_e32 v18, 1, v12
	s_waitcnt lgkmcnt(0)
	v_cmp_gt_f32_e32 vcc, v14, v10
	v_cndmask_b32_e32 v10, v10, v14, vcc
	v_cndmask_b32_e32 v9, v9, v12, vcc
	v_cmp_gt_f32_e32 vcc, v15, v10
	v_cndmask_b32_e32 v10, v10, v15, vcc
	v_cndmask_b32_e32 v9, v9, v18, vcc
	v_cmp_gt_f32_e32 vcc, v16, v10
	v_add_u32_e32 v19, 2, v12
	v_cndmask_b32_e32 v10, v10, v16, vcc
	v_add_u32_e32 v20, 3, v12
	v_cndmask_b32_e32 v9, v9, v19, vcc
	v_cmp_gt_f32_e32 vcc, v17, v10
	v_add_u32_e32 v11, s24, v11
	v_add_u32_e32 v12, s23, v12
	v_cndmask_b32_e32 v10, v10, v17, vcc
	v_cndmask_b32_e32 v9, v9, v20, vcc
	s_andn2_b64 exec, exec, s[20:21]
	s_cbranch_execnz .LBB43_21
; %bb.22:                               ;   in Loop: Header=BB43_19 Depth=1
	s_or_b64 exec, exec, s[20:21]
.LBB43_23:                              ;   in Loop: Header=BB43_19 Depth=1
	s_or_b64 exec, exec, s[18:19]
	;;#ASMSTART
	v_max_f32 v11, v10, v10 quad_perm:[1,0,3,2] row_mask:0xf bank_mask:0xf bound_ctrl:1
	;;#ASMEND
	;;#ASMSTART
	v_max_f32 v12, v11, v11 quad_perm:[2,3,0,1] row_mask:0xf bank_mask:0xf bound_ctrl:1
	;;#ASMEND
	;;#ASMSTART
	v_max_f32 v11, v12, v12 row_half_mirror row_mask:0xf bank_mask:0xf bound_ctrl:1
	;;#ASMEND
	;;#ASMSTART
	v_max_f32 v12, v11, v11 row_mirror row_mask:0xf bank_mask:0xf bound_ctrl:1
	;;#ASMEND
	;;#ASMSTART
	v_max_f32 v11, v12, v12 row_ror:4 row_mask:0xf bank_mask:0xf bound_ctrl:1
	;;#ASMEND
	;;#ASMSTART
	v_max_f32 v12, v11, v11 row_ror:8 row_mask:0xf bank_mask:0xf bound_ctrl:1
	;;#ASMEND
	;;#ASMSTART
	v_max_f32 v11, v12, v12 row_bcast:15 row_mask:0xf bank_mask:0xf bound_ctrl:1
	;;#ASMEND
	;;#ASMSTART
	v_max_f32 v12, v11, v11 row_bcast:31 row_mask:0xf bank_mask:0xf bound_ctrl:1
	;;#ASMEND
	ds_bpermute_b32 v11, v6, v12
	s_waitcnt lgkmcnt(0)
	v_cmp_eq_f32_e32 vcc, v10, v11
	s_ff1_i32_b64 s18, vcc
	s_cmp_lg_u64 vcc, 0
	s_cselect_b32 s18, s18, 0
	s_and_b64 vcc, exec, s[8:9]
	v_readlane_b32 s18, v9, s18
	s_cbranch_vccz .LBB43_18
; %bb.24:                               ;   in Loop: Header=BB43_19 Depth=1
	s_ashr_i32 s19, s18, 31
	s_lshl_b64 s[20:21], s[18:19], 1
	s_add_u32 s20, s10, s20
	s_addc_u32 s21, s11, s21
	global_load_ushort v9, v7, s[20:21]
	s_waitcnt vmcnt(0)
	v_cvt_f32_f16_e32 v9, v9
	v_sub_f32_e32 v11, v11, v9
	s_branch .LBB43_18
.LBB43_25:
	v_mov_b32_e32 v2, 0
	v_mov_b32_e32 v4, 0
.LBB43_26:
	v_cmp_gt_i32_e32 vcc, s17, v0
	s_and_saveexec_b64 s[0:1], vcc
	s_cbranch_execz .LBB43_29
; %bb.27:
	s_load_dword s2, s[4:5], 0x34
	v_max_f32_e32 v1, v4, v4
	v_max_f32_e32 v1, 0x1e3ce508, v1
	s_load_dword s3, s[4:5], 0x44
	s_waitcnt lgkmcnt(0)
	v_div_scale_f32 v4, s[0:1], v1, v1, s2
	s_load_dwordx2 s[0:1], s[4:5], 0x20
	v_rcp_f32_e32 v5, v4
	v_div_scale_f32 v6, vcc, s2, v1, s2
	s_and_b32 s3, s3, 0xffff
	v_fma_f32 v7, -v4, v5, 1.0
	v_fmac_f32_e32 v5, v7, v5
	v_mul_f32_e32 v7, v6, v5
	v_fma_f32 v8, -v4, v7, v6
	v_fmac_f32_e32 v7, v8, v5
	v_fma_f32 v4, -v4, v7, v6
	v_div_fmas_f32 v4, v4, v5, v7
	v_div_fixup_f32 v1, v4, v1, s2
	s_ashr_i32 s2, s6, 31
	s_waitcnt lgkmcnt(0)
	s_mul_i32 s1, s6, s1
	s_mul_hi_u32 s4, s6, s0
	s_add_i32 s1, s4, s1
	s_mul_i32 s2, s2, s0
	s_add_i32 s4, s1, s2
	v_mul_f32_e32 v1, v3, v1
	s_mul_i32 s2, s6, s0
	s_mov_b64 s[0:1], 0
	v_mov_b32_e32 v3, s4
	v_mov_b32_e32 v4, s13
	;; [unrolled: 1-line block ×3, first 2 shown]
.LBB43_28:                              ; =>This Inner Loop Header: Depth=1
	v_ashrrev_i32_e32 v7, 31, v0
	v_add_co_u32_e32 v6, vcc, s2, v0
	v_addc_co_u32_e32 v7, vcc, v3, v7, vcc
	v_add_u32_e32 v0, s3, v0
	v_cmp_le_i32_e32 vcc, s17, v0
	v_lshlrev_b64 v[6:7], 2, v[6:7]
	s_or_b64 s[0:1], vcc, s[0:1]
	v_add_co_u32_e32 v8, vcc, s12, v6
	v_addc_co_u32_e32 v9, vcc, v4, v7, vcc
	v_add_co_u32_e32 v6, vcc, s14, v6
	v_addc_co_u32_e32 v7, vcc, v5, v7, vcc
	global_store_dword v[8:9], v1, off
	global_store_dword v[6:7], v2, off
	s_andn2_b64 exec, exec, s[0:1]
	s_cbranch_execnz .LBB43_28
.LBB43_29:
	s_endpgm
	.section	.rodata,"a",@progbits
	.p2align	6, 0x0
	.amdhsa_kernel _ZN5aiter20topk_softplus_kernelIf6__halfDv4_fLb1ELi1EEEvPKT_PKT0_PfPimiiif
		.amdhsa_group_segment_fixed_size 0
		.amdhsa_private_segment_fixed_size 0
		.amdhsa_kernarg_size 312
		.amdhsa_user_sgpr_count 6
		.amdhsa_user_sgpr_private_segment_buffer 1
		.amdhsa_user_sgpr_dispatch_ptr 0
		.amdhsa_user_sgpr_queue_ptr 0
		.amdhsa_user_sgpr_kernarg_segment_ptr 1
		.amdhsa_user_sgpr_dispatch_id 0
		.amdhsa_user_sgpr_flat_scratch_init 0
		.amdhsa_user_sgpr_kernarg_preload_length 0
		.amdhsa_user_sgpr_kernarg_preload_offset 0
		.amdhsa_user_sgpr_private_segment_size 0
		.amdhsa_uses_dynamic_stack 0
		.amdhsa_system_sgpr_private_segment_wavefront_offset 0
		.amdhsa_system_sgpr_workgroup_id_x 1
		.amdhsa_system_sgpr_workgroup_id_y 0
		.amdhsa_system_sgpr_workgroup_id_z 0
		.amdhsa_system_sgpr_workgroup_info 0
		.amdhsa_system_vgpr_workitem_id 0
		.amdhsa_next_free_vgpr 21
		.amdhsa_next_free_sgpr 36
		.amdhsa_accum_offset 24
		.amdhsa_reserve_vcc 1
		.amdhsa_reserve_flat_scratch 0
		.amdhsa_float_round_mode_32 0
		.amdhsa_float_round_mode_16_64 0
		.amdhsa_float_denorm_mode_32 3
		.amdhsa_float_denorm_mode_16_64 3
		.amdhsa_dx10_clamp 1
		.amdhsa_ieee_mode 1
		.amdhsa_fp16_overflow 0
		.amdhsa_tg_split 0
		.amdhsa_exception_fp_ieee_invalid_op 0
		.amdhsa_exception_fp_denorm_src 0
		.amdhsa_exception_fp_ieee_div_zero 0
		.amdhsa_exception_fp_ieee_overflow 0
		.amdhsa_exception_fp_ieee_underflow 0
		.amdhsa_exception_fp_ieee_inexact 0
		.amdhsa_exception_int_div_zero 0
	.end_amdhsa_kernel
	.section	.text._ZN5aiter20topk_softplus_kernelIf6__halfDv4_fLb1ELi1EEEvPKT_PKT0_PfPimiiif,"axG",@progbits,_ZN5aiter20topk_softplus_kernelIf6__halfDv4_fLb1ELi1EEEvPKT_PKT0_PfPimiiif,comdat
.Lfunc_end43:
	.size	_ZN5aiter20topk_softplus_kernelIf6__halfDv4_fLb1ELi1EEEvPKT_PKT0_PfPimiiif, .Lfunc_end43-_ZN5aiter20topk_softplus_kernelIf6__halfDv4_fLb1ELi1EEEvPKT_PKT0_PfPimiiif
                                        ; -- End function
	.section	.AMDGPU.csdata,"",@progbits
; Kernel info:
; codeLenInByte = 1692
; NumSgprs: 40
; NumVgprs: 21
; NumAgprs: 0
; TotalNumVgprs: 21
; ScratchSize: 0
; MemoryBound: 0
; FloatMode: 240
; IeeeMode: 1
; LDSByteSize: 0 bytes/workgroup (compile time only)
; SGPRBlocks: 4
; VGPRBlocks: 2
; NumSGPRsForWavesPerEU: 40
; NumVGPRsForWavesPerEU: 21
; AccumOffset: 24
; Occupancy: 8
; WaveLimiterHint : 0
; COMPUTE_PGM_RSRC2:SCRATCH_EN: 0
; COMPUTE_PGM_RSRC2:USER_SGPR: 6
; COMPUTE_PGM_RSRC2:TRAP_HANDLER: 0
; COMPUTE_PGM_RSRC2:TGID_X_EN: 1
; COMPUTE_PGM_RSRC2:TGID_Y_EN: 0
; COMPUTE_PGM_RSRC2:TGID_Z_EN: 0
; COMPUTE_PGM_RSRC2:TIDIG_COMP_CNT: 0
; COMPUTE_PGM_RSRC3_GFX90A:ACCUM_OFFSET: 5
; COMPUTE_PGM_RSRC3_GFX90A:TG_SPLIT: 0
	.section	.text._ZN5aiter20topk_softplus_kernelIf6__halfDv4_fLb0ELi1EEEvPKT_PKT0_PfPimiiif,"axG",@progbits,_ZN5aiter20topk_softplus_kernelIf6__halfDv4_fLb0ELi1EEEvPKT_PKT0_PfPimiiif,comdat
	.protected	_ZN5aiter20topk_softplus_kernelIf6__halfDv4_fLb0ELi1EEEvPKT_PKT0_PfPimiiif ; -- Begin function _ZN5aiter20topk_softplus_kernelIf6__halfDv4_fLb0ELi1EEEvPKT_PKT0_PfPimiiif
	.globl	_ZN5aiter20topk_softplus_kernelIf6__halfDv4_fLb0ELi1EEEvPKT_PKT0_PfPimiiif
	.p2align	8
	.type	_ZN5aiter20topk_softplus_kernelIf6__halfDv4_fLb0ELi1EEEvPKT_PKT0_PfPimiiif,@function
_ZN5aiter20topk_softplus_kernelIf6__halfDv4_fLb0ELi1EEEvPKT_PKT0_PfPimiiif: ; @_ZN5aiter20topk_softplus_kernelIf6__halfDv4_fLb0ELi1EEEvPKT_PKT0_PfPimiiif
; %bb.0:
	s_load_dwordx2 s[16:17], s[4:5], 0x28
	s_load_dwordx8 s[8:15], s[4:5], 0x0
	v_lshlrev_b32_e32 v1, 2, v0
	s_waitcnt lgkmcnt(0)
	s_ashr_i32 s0, s16, 31
	s_lshr_b32 s0, s0, 30
	s_add_i32 s0, s16, s0
	s_mul_i32 s18, s6, s16
	s_ashr_i32 s7, s0, 2
	s_ashr_i32 s19, s18, 31
	v_cmp_gt_i32_e64 s[0:1], s7, v0
	s_and_saveexec_b64 s[20:21], s[0:1]
	s_cbranch_execz .LBB44_11
; %bb.1:
	s_load_dword s25, s[4:5], 0x44
	s_cmp_lg_u64 s[10:11], 0
	s_cselect_b64 s[2:3], -1, 0
	v_lshlrev_b32_e32 v2, 4, v0
	v_add_u32_e32 v12, 0, v2
	s_waitcnt lgkmcnt(0)
	s_and_b32 s25, s25, 0xffff
	s_add_u32 s26, s10, 2
	s_addc_u32 s27, s11, 0
	s_add_u32 s28, s10, 4
	s_addc_u32 s29, s11, 0
	;; [unrolled: 2-line block ×3, first 2 shown]
	s_lshl_b64 s[34:35], s[18:19], 2
	s_add_u32 s33, s8, s34
	s_addc_u32 s34, s9, s35
	v_mov_b32_e32 v3, s34
	v_add_co_u32_e32 v6, vcc, s33, v2
	v_cndmask_b32_e64 v2, 0, 1, s[2:3]
	s_mov_b64 s[22:23], 0
	s_mov_b32 s24, 0
	v_addc_co_u32_e32 v7, vcc, 0, v3, vcc
	s_lshl_b32 s33, s25, 4
	v_lshlrev_b32_e32 v8, 2, v0
	s_lshl_b32 s34, s25, 2
	v_mov_b32_e32 v9, 0
	s_mov_b32 s35, 0xc2fc0000
	v_mov_b32_e32 v13, 0x1f800000
	v_mov_b32_e32 v14, 0x42800000
	v_cmp_ne_u32_e64 s[2:3], 1, v2
	v_mov_b32_e32 v15, v0
	s_branch .LBB44_3
.LBB44_2:                               ;   in Loop: Header=BB44_3 Depth=1
	ds_write_b128 v12, v[2:5]
	v_mov_b32_e32 v2, s24
	v_add_co_u32_e32 v6, vcc, s33, v6
	v_add_u32_e32 v15, s25, v15
	v_addc_co_u32_e32 v7, vcc, v7, v2, vcc
	v_cmp_le_i32_e32 vcc, s7, v15
	v_add_u32_e32 v8, s34, v8
	s_or_b64 s[22:23], vcc, s[22:23]
	v_add_u32_e32 v12, s33, v12
	s_andn2_b64 exec, exec, s[22:23]
	s_cbranch_execz .LBB44_11
.LBB44_3:                               ; =>This Inner Loop Header: Depth=1
	global_load_dwordx4 v[2:5], v[6:7], off
	s_waitcnt vmcnt(0)
	v_mul_f32_e32 v10, 0xbfb8aa3b, v2
	v_cmp_gt_f32_e32 vcc, s35, v10
	v_cndmask_b32_e32 v11, 0, v14, vcc
	v_fmac_f32_e32 v11, 0xbfb8aa3b, v2
	v_exp_f32_e32 v2, v11
	v_cndmask_b32_e32 v10, 1.0, v13, vcc
	s_and_b64 vcc, exec, s[2:3]
	v_fma_f32 v2, v2, v10, 1.0
	v_rcp_f32_e32 v2, v2
	v_lshlrev_b64 v[10:11], 1, v[8:9]
	s_cbranch_vccnz .LBB44_5
; %bb.4:                                ;   in Loop: Header=BB44_3 Depth=1
	v_mov_b32_e32 v17, s11
	v_add_co_u32_e32 v16, vcc, s10, v10
	v_addc_co_u32_e32 v17, vcc, v17, v11, vcc
	global_load_ushort v16, v[16:17], off
	s_waitcnt vmcnt(0)
	v_cvt_f32_f16_e32 v16, v16
	v_add_f32_e32 v2, v2, v16
.LBB44_5:                               ;   in Loop: Header=BB44_3 Depth=1
	v_mul_f32_e32 v16, 0xbfb8aa3b, v3
	v_cmp_gt_f32_e32 vcc, s35, v16
	v_cndmask_b32_e32 v17, 0, v14, vcc
	v_fmac_f32_e32 v17, 0xbfb8aa3b, v3
	v_exp_f32_e32 v3, v17
	v_cndmask_b32_e32 v16, 1.0, v13, vcc
	s_and_b64 vcc, exec, s[2:3]
	v_fma_f32 v3, v3, v16, 1.0
	v_rcp_f32_e32 v3, v3
	s_cbranch_vccnz .LBB44_7
; %bb.6:                                ;   in Loop: Header=BB44_3 Depth=1
	v_mov_b32_e32 v17, s27
	v_add_co_u32_e32 v16, vcc, s26, v10
	v_addc_co_u32_e32 v17, vcc, v17, v11, vcc
	global_load_ushort v16, v[16:17], off
	s_waitcnt vmcnt(0)
	v_cvt_f32_f16_e32 v16, v16
	v_add_f32_e32 v3, v3, v16
.LBB44_7:                               ;   in Loop: Header=BB44_3 Depth=1
	v_mul_f32_e32 v16, 0xbfb8aa3b, v4
	v_cmp_gt_f32_e32 vcc, s35, v16
	v_cndmask_b32_e32 v17, 0, v14, vcc
	v_fmac_f32_e32 v17, 0xbfb8aa3b, v4
	v_exp_f32_e32 v4, v17
	v_cndmask_b32_e32 v16, 1.0, v13, vcc
	s_and_b64 vcc, exec, s[2:3]
	v_fma_f32 v4, v4, v16, 1.0
	v_rcp_f32_e32 v4, v4
	;; [unrolled: 19-line block ×3, first 2 shown]
	s_cbranch_vccnz .LBB44_2
; %bb.10:                               ;   in Loop: Header=BB44_3 Depth=1
	v_mov_b32_e32 v16, s31
	v_add_co_u32_e32 v10, vcc, s30, v10
	v_addc_co_u32_e32 v11, vcc, v16, v11, vcc
	global_load_ushort v10, v[10:11], off
	s_waitcnt vmcnt(0)
	v_cvt_f32_f16_e32 v10, v10
	v_add_f32_e32 v5, v5, v10
	s_branch .LBB44_2
.LBB44_11:
	s_or_b64 exec, exec, s[20:21]
	v_lshl_add_u32 v2, s7, 2, v0
	v_cmp_gt_i32_e32 vcc, s16, v2
	s_and_saveexec_b64 s[20:21], vcc
	s_cbranch_execz .LBB44_16
; %bb.12:
	s_lshl_b64 s[2:3], s[18:19], 2
	s_load_dword s19, s[4:5], 0x44
	s_add_u32 s18, s8, s2
	s_addc_u32 s23, s9, s3
	s_cmp_lg_u64 s[10:11], 0
	s_cselect_b64 s[2:3], -1, 0
	s_lshl_b32 s22, s7, 4
	s_waitcnt lgkmcnt(0)
	s_and_b32 s19, s19, 0xffff
	s_add_i32 s22, s22, 0
	v_cndmask_b32_e64 v3, 0, 1, s[2:3]
	s_mov_b64 s[8:9], 0
	v_lshl_add_u32 v4, v0, 2, s22
	s_lshl_b32 s22, s19, 2
	v_mov_b32_e32 v5, s23
	s_mov_b32 s23, 0xc2fc0000
	v_mov_b32_e32 v6, 0x42800000
	v_mov_b32_e32 v7, 0x1f800000
	v_cmp_ne_u32_e64 s[2:3], 1, v3
	s_branch .LBB44_14
.LBB44_13:                              ;   in Loop: Header=BB44_14 Depth=1
	v_add_u32_e32 v2, s19, v2
	v_cmp_le_i32_e32 vcc, s16, v2
	s_or_b64 s[8:9], vcc, s[8:9]
	v_add_u32_e32 v4, s22, v4
	s_andn2_b64 exec, exec, s[8:9]
	s_cbranch_execz .LBB44_16
.LBB44_14:                              ; =>This Inner Loop Header: Depth=1
	v_ashrrev_i32_e32 v3, 31, v2
	v_lshlrev_b64 v[8:9], 2, v[2:3]
	v_add_co_u32_e32 v8, vcc, s18, v8
	v_addc_co_u32_e32 v9, vcc, v5, v9, vcc
	global_load_dword v8, v[8:9], off
	s_waitcnt vmcnt(0)
	v_mul_f32_e32 v9, 0xbfb8aa3b, v8
	v_cmp_gt_f32_e32 vcc, s23, v9
	v_cndmask_b32_e32 v9, 0, v6, vcc
	v_fmac_f32_e32 v9, 0xbfb8aa3b, v8
	v_exp_f32_e32 v8, v9
	v_cndmask_b32_e32 v9, 1.0, v7, vcc
	s_and_b64 vcc, exec, s[2:3]
	v_fma_f32 v8, v8, v9, 1.0
	v_rcp_f32_e32 v8, v8
	ds_write_b32 v4, v8
	s_cbranch_vccnz .LBB44_13
; %bb.15:                               ;   in Loop: Header=BB44_14 Depth=1
	v_lshlrev_b64 v[10:11], 1, v[2:3]
	v_mov_b32_e32 v3, s11
	v_add_co_u32_e32 v10, vcc, s10, v10
	v_addc_co_u32_e32 v11, vcc, v3, v11, vcc
	global_load_ushort v3, v[10:11], off
	s_waitcnt vmcnt(0)
	v_cvt_f32_f16_e32 v3, v3
	v_add_f32_e32 v3, v8, v3
	ds_write_b32 v4, v3
	s_branch .LBB44_13
.LBB44_16:
	s_or_b64 exec, exec, s[20:21]
	s_cmp_lt_i32 s17, 1
	s_waitcnt lgkmcnt(0)
	s_barrier
	s_cbranch_scc1 .LBB44_25
; %bb.17:
	s_add_u32 s2, s4, 56
	s_addc_u32 s3, s5, 0
	v_mbcnt_lo_u32_b32 v3, -1, 0
	s_cmp_lg_u64 s[10:11], 0
	v_mbcnt_hi_u32_b32 v3, -1, v3
	v_bfrev_b32_e32 v6, 0.5
	s_cselect_b64 s[8:9], -1, 0
	s_mov_b32 s16, 0
	v_mov_b32_e32 v2, 0
	v_lshl_add_u32 v4, v0, 4, 0
	v_mov_b32_e32 v5, 0
	v_lshl_or_b32 v6, v3, 2, v6
	v_mov_b32_e32 v7, 0xff800000
	v_mov_b32_e32 v3, 0
	s_branch .LBB44_19
.LBB44_18:                              ;   in Loop: Header=BB44_19 Depth=1
	s_lshl_b32 s19, s18, 2
	s_add_i32 s19, s19, 0
	v_mov_b32_e32 v8, s19
	ds_write_b32 v8, v7
	v_mov_b32_e32 v8, s18
	v_cmp_eq_u32_e32 vcc, s16, v0
	s_add_i32 s16, s16, 1
	v_cndmask_b32_e32 v2, v2, v8, vcc
	s_cmp_eq_u32 s16, s17
	v_cndmask_b32_e32 v3, v3, v10, vcc
	s_cbranch_scc1 .LBB44_26
.LBB44_19:                              ; =>This Loop Header: Depth=1
                                        ;     Child Loop BB44_21 Depth 2
	v_mov_b32_e32 v8, s16
	v_mov_b32_e32 v9, 0xff800000
	s_and_saveexec_b64 s[18:19], s[0:1]
	s_cbranch_execz .LBB44_23
; %bb.20:                               ;   in Loop: Header=BB44_19 Depth=1
	s_load_dword s22, s[2:3], 0xc
	s_mov_b64 s[20:21], 0
	v_mov_b32_e32 v8, s16
	v_mov_b32_e32 v9, 0xff800000
	;; [unrolled: 1-line block ×3, first 2 shown]
	s_waitcnt lgkmcnt(0)
	s_and_b32 s22, s22, 0xffff
	s_lshl_b32 s23, s22, 2
	s_lshl_b32 s24, s22, 4
	v_mov_b32_e32 v11, v1
	v_mov_b32_e32 v12, v0
.LBB44_21:                              ;   Parent Loop BB44_19 Depth=1
                                        ; =>  This Inner Loop Header: Depth=2
	ds_read_b128 v[14:17], v10
	v_add_u32_e32 v12, s22, v12
	v_cmp_le_i32_e32 vcc, s7, v12
	s_or_b64 s[20:21], vcc, s[20:21]
	v_add_u32_e32 v13, 1, v11
	s_waitcnt lgkmcnt(0)
	v_cmp_gt_f32_e32 vcc, v14, v9
	v_cndmask_b32_e32 v9, v9, v14, vcc
	v_cndmask_b32_e32 v8, v8, v11, vcc
	v_cmp_gt_f32_e32 vcc, v15, v9
	v_cndmask_b32_e32 v9, v9, v15, vcc
	v_cndmask_b32_e32 v8, v8, v13, vcc
	v_cmp_gt_f32_e32 vcc, v16, v9
	v_add_u32_e32 v18, 2, v11
	v_cndmask_b32_e32 v9, v9, v16, vcc
	v_add_u32_e32 v19, 3, v11
	v_cndmask_b32_e32 v8, v8, v18, vcc
	v_cmp_gt_f32_e32 vcc, v17, v9
	v_add_u32_e32 v10, s24, v10
	v_add_u32_e32 v11, s23, v11
	v_cndmask_b32_e32 v9, v9, v17, vcc
	v_cndmask_b32_e32 v8, v8, v19, vcc
	s_andn2_b64 exec, exec, s[20:21]
	s_cbranch_execnz .LBB44_21
; %bb.22:                               ;   in Loop: Header=BB44_19 Depth=1
	s_or_b64 exec, exec, s[20:21]
.LBB44_23:                              ;   in Loop: Header=BB44_19 Depth=1
	s_or_b64 exec, exec, s[18:19]
	;;#ASMSTART
	v_max_f32 v10, v9, v9 quad_perm:[1,0,3,2] row_mask:0xf bank_mask:0xf bound_ctrl:1
	;;#ASMEND
	;;#ASMSTART
	v_max_f32 v11, v10, v10 quad_perm:[2,3,0,1] row_mask:0xf bank_mask:0xf bound_ctrl:1
	;;#ASMEND
	;;#ASMSTART
	v_max_f32 v10, v11, v11 row_half_mirror row_mask:0xf bank_mask:0xf bound_ctrl:1
	;;#ASMEND
	;;#ASMSTART
	v_max_f32 v11, v10, v10 row_mirror row_mask:0xf bank_mask:0xf bound_ctrl:1
	;;#ASMEND
	;;#ASMSTART
	v_max_f32 v10, v11, v11 row_ror:4 row_mask:0xf bank_mask:0xf bound_ctrl:1
	;;#ASMEND
	;;#ASMSTART
	v_max_f32 v11, v10, v10 row_ror:8 row_mask:0xf bank_mask:0xf bound_ctrl:1
	;;#ASMEND
	;;#ASMSTART
	v_max_f32 v10, v11, v11 row_bcast:15 row_mask:0xf bank_mask:0xf bound_ctrl:1
	;;#ASMEND
	;;#ASMSTART
	v_max_f32 v11, v10, v10 row_bcast:31 row_mask:0xf bank_mask:0xf bound_ctrl:1
	;;#ASMEND
	ds_bpermute_b32 v10, v6, v11
	s_waitcnt lgkmcnt(0)
	v_cmp_eq_f32_e32 vcc, v9, v10
	s_ff1_i32_b64 s18, vcc
	s_cmp_lg_u64 vcc, 0
	s_cselect_b32 s18, s18, 0
	s_and_b64 vcc, exec, s[8:9]
	v_readlane_b32 s18, v8, s18
	s_cbranch_vccz .LBB44_18
; %bb.24:                               ;   in Loop: Header=BB44_19 Depth=1
	s_ashr_i32 s19, s18, 31
	s_lshl_b64 s[20:21], s[18:19], 1
	s_add_u32 s20, s10, s20
	s_addc_u32 s21, s11, s21
	global_load_ushort v8, v5, s[20:21]
	s_waitcnt vmcnt(0)
	v_cvt_f32_f16_e32 v8, v8
	v_sub_f32_e32 v10, v10, v8
	s_branch .LBB44_18
.LBB44_25:
	v_mov_b32_e32 v3, 0
	v_mov_b32_e32 v2, 0
.LBB44_26:
	v_cmp_gt_i32_e32 vcc, s17, v0
	s_and_saveexec_b64 s[0:1], vcc
	s_cbranch_execz .LBB44_29
; %bb.27:
	s_load_dword s2, s[4:5], 0x34
	s_load_dwordx2 s[0:1], s[4:5], 0x20
	s_ashr_i32 s3, s6, 31
	s_load_dword s4, s[4:5], 0x44
	v_mov_b32_e32 v4, s13
	s_waitcnt lgkmcnt(0)
	v_mul_f32_e32 v1, s2, v3
	s_mul_i32 s1, s6, s1
	s_mul_hi_u32 s2, s6, s0
	s_add_i32 s1, s2, s1
	s_mul_i32 s3, s3, s0
	s_add_i32 s5, s1, s3
	s_mul_i32 s2, s6, s0
	s_and_b32 s3, s4, 0xffff
	s_mov_b64 s[0:1], 0
	v_mov_b32_e32 v3, s5
	v_mov_b32_e32 v5, s15
.LBB44_28:                              ; =>This Inner Loop Header: Depth=1
	v_ashrrev_i32_e32 v7, 31, v0
	v_add_co_u32_e32 v6, vcc, s2, v0
	v_addc_co_u32_e32 v7, vcc, v3, v7, vcc
	v_add_u32_e32 v0, s3, v0
	v_cmp_le_i32_e32 vcc, s17, v0
	v_lshlrev_b64 v[6:7], 2, v[6:7]
	s_or_b64 s[0:1], vcc, s[0:1]
	v_add_co_u32_e32 v8, vcc, s12, v6
	v_addc_co_u32_e32 v9, vcc, v4, v7, vcc
	v_add_co_u32_e32 v6, vcc, s14, v6
	v_addc_co_u32_e32 v7, vcc, v5, v7, vcc
	global_store_dword v[8:9], v1, off
	global_store_dword v[6:7], v2, off
	s_andn2_b64 exec, exec, s[0:1]
	s_cbranch_execnz .LBB44_28
.LBB44_29:
	s_endpgm
	.section	.rodata,"a",@progbits
	.p2align	6, 0x0
	.amdhsa_kernel _ZN5aiter20topk_softplus_kernelIf6__halfDv4_fLb0ELi1EEEvPKT_PKT0_PfPimiiif
		.amdhsa_group_segment_fixed_size 0
		.amdhsa_private_segment_fixed_size 0
		.amdhsa_kernarg_size 312
		.amdhsa_user_sgpr_count 6
		.amdhsa_user_sgpr_private_segment_buffer 1
		.amdhsa_user_sgpr_dispatch_ptr 0
		.amdhsa_user_sgpr_queue_ptr 0
		.amdhsa_user_sgpr_kernarg_segment_ptr 1
		.amdhsa_user_sgpr_dispatch_id 0
		.amdhsa_user_sgpr_flat_scratch_init 0
		.amdhsa_user_sgpr_kernarg_preload_length 0
		.amdhsa_user_sgpr_kernarg_preload_offset 0
		.amdhsa_user_sgpr_private_segment_size 0
		.amdhsa_uses_dynamic_stack 0
		.amdhsa_system_sgpr_private_segment_wavefront_offset 0
		.amdhsa_system_sgpr_workgroup_id_x 1
		.amdhsa_system_sgpr_workgroup_id_y 0
		.amdhsa_system_sgpr_workgroup_id_z 0
		.amdhsa_system_sgpr_workgroup_info 0
		.amdhsa_system_vgpr_workitem_id 0
		.amdhsa_next_free_vgpr 20
		.amdhsa_next_free_sgpr 36
		.amdhsa_accum_offset 20
		.amdhsa_reserve_vcc 1
		.amdhsa_reserve_flat_scratch 0
		.amdhsa_float_round_mode_32 0
		.amdhsa_float_round_mode_16_64 0
		.amdhsa_float_denorm_mode_32 3
		.amdhsa_float_denorm_mode_16_64 3
		.amdhsa_dx10_clamp 1
		.amdhsa_ieee_mode 1
		.amdhsa_fp16_overflow 0
		.amdhsa_tg_split 0
		.amdhsa_exception_fp_ieee_invalid_op 0
		.amdhsa_exception_fp_denorm_src 0
		.amdhsa_exception_fp_ieee_div_zero 0
		.amdhsa_exception_fp_ieee_overflow 0
		.amdhsa_exception_fp_ieee_underflow 0
		.amdhsa_exception_fp_ieee_inexact 0
		.amdhsa_exception_int_div_zero 0
	.end_amdhsa_kernel
	.section	.text._ZN5aiter20topk_softplus_kernelIf6__halfDv4_fLb0ELi1EEEvPKT_PKT0_PfPimiiif,"axG",@progbits,_ZN5aiter20topk_softplus_kernelIf6__halfDv4_fLb0ELi1EEEvPKT_PKT0_PfPimiiif,comdat
.Lfunc_end44:
	.size	_ZN5aiter20topk_softplus_kernelIf6__halfDv4_fLb0ELi1EEEvPKT_PKT0_PfPimiiif, .Lfunc_end44-_ZN5aiter20topk_softplus_kernelIf6__halfDv4_fLb0ELi1EEEvPKT_PKT0_PfPimiiif
                                        ; -- End function
	.section	.AMDGPU.csdata,"",@progbits
; Kernel info:
; codeLenInByte = 1592
; NumSgprs: 40
; NumVgprs: 20
; NumAgprs: 0
; TotalNumVgprs: 20
; ScratchSize: 0
; MemoryBound: 0
; FloatMode: 240
; IeeeMode: 1
; LDSByteSize: 0 bytes/workgroup (compile time only)
; SGPRBlocks: 4
; VGPRBlocks: 2
; NumSGPRsForWavesPerEU: 40
; NumVGPRsForWavesPerEU: 20
; AccumOffset: 20
; Occupancy: 8
; WaveLimiterHint : 0
; COMPUTE_PGM_RSRC2:SCRATCH_EN: 0
; COMPUTE_PGM_RSRC2:USER_SGPR: 6
; COMPUTE_PGM_RSRC2:TRAP_HANDLER: 0
; COMPUTE_PGM_RSRC2:TGID_X_EN: 1
; COMPUTE_PGM_RSRC2:TGID_Y_EN: 0
; COMPUTE_PGM_RSRC2:TGID_Z_EN: 0
; COMPUTE_PGM_RSRC2:TIDIG_COMP_CNT: 0
; COMPUTE_PGM_RSRC3_GFX90A:ACCUM_OFFSET: 4
; COMPUTE_PGM_RSRC3_GFX90A:TG_SPLIT: 0
	.section	.text._ZN5aiter20topk_softplus_kernelIf6__halfDv2_fLb1ELi1EEEvPKT_PKT0_PfPimiiif,"axG",@progbits,_ZN5aiter20topk_softplus_kernelIf6__halfDv2_fLb1ELi1EEEvPKT_PKT0_PfPimiiif,comdat
	.protected	_ZN5aiter20topk_softplus_kernelIf6__halfDv2_fLb1ELi1EEEvPKT_PKT0_PfPimiiif ; -- Begin function _ZN5aiter20topk_softplus_kernelIf6__halfDv2_fLb1ELi1EEEvPKT_PKT0_PfPimiiif
	.globl	_ZN5aiter20topk_softplus_kernelIf6__halfDv2_fLb1ELi1EEEvPKT_PKT0_PfPimiiif
	.p2align	8
	.type	_ZN5aiter20topk_softplus_kernelIf6__halfDv2_fLb1ELi1EEEvPKT_PKT0_PfPimiiif,@function
_ZN5aiter20topk_softplus_kernelIf6__halfDv2_fLb1ELi1EEEvPKT_PKT0_PfPimiiif: ; @_ZN5aiter20topk_softplus_kernelIf6__halfDv2_fLb1ELi1EEEvPKT_PKT0_PfPimiiif
; %bb.0:
	s_load_dwordx2 s[16:17], s[4:5], 0x28
	s_load_dwordx8 s[8:15], s[4:5], 0x0
	s_waitcnt lgkmcnt(0)
	s_lshr_b32 s0, s16, 31
	s_add_i32 s0, s16, s0
	s_mul_i32 s18, s6, s16
	s_ashr_i32 s7, s0, 1
	s_ashr_i32 s19, s18, 31
	v_cmp_gt_i32_e64 s[0:1], s7, v0
	s_and_saveexec_b64 s[20:21], s[0:1]
	s_cbranch_execz .LBB45_7
; %bb.1:
	s_load_dword s24, s[4:5], 0x44
	s_cmp_lg_u64 s[10:11], 0
	s_cselect_b64 s[2:3], -1, 0
	s_lshl_b64 s[26:27], s[18:19], 2
	v_lshlrev_b32_e32 v1, 3, v0
	s_waitcnt lgkmcnt(0)
	s_and_b32 s24, s24, 0xffff
	s_add_u32 s25, s8, s26
	s_addc_u32 s26, s9, s27
	v_mov_b32_e32 v3, s26
	v_add_co_u32_e32 v2, vcc, s25, v1
	v_addc_co_u32_e32 v3, vcc, 0, v3, vcc
	v_lshlrev_b32_e32 v4, 2, v0
	v_mov_b32_e32 v5, s11
	v_add_co_u32_e32 v4, vcc, s10, v4
	v_addc_co_u32_e32 v5, vcc, 0, v5, vcc
	s_mov_b32 s28, 0
	v_add_co_u32_e32 v4, vcc, 2, v4
	v_cndmask_b32_e64 v6, 0, 1, s[2:3]
	s_mov_b64 s[22:23], 0
	s_lshl_b32 s25, s24, 3
	v_addc_co_u32_e32 v5, vcc, 0, v5, vcc
	s_lshl_b32 s26, s24, 2
	v_add_u32_e32 v1, 0, v1
	s_mov_b32 s27, 0xc2fc0000
	v_mov_b32_e32 v8, 0x1f800000
	v_mov_b32_e32 v9, 0x42800000
	v_cmp_ne_u32_e64 s[2:3], 1, v6
	v_mov_b32_e32 v10, s28
	v_mov_b32_e32 v11, s28
	v_mov_b32_e32 v12, v0
	s_branch .LBB45_3
.LBB45_2:                               ;   in Loop: Header=BB45_3 Depth=1
	v_add_co_u32_e32 v2, vcc, s25, v2
	v_addc_co_u32_e32 v3, vcc, v3, v10, vcc
	v_add_co_u32_e32 v4, vcc, s26, v4
	v_add_u32_e32 v12, s24, v12
	v_addc_co_u32_e32 v5, vcc, v5, v11, vcc
	v_cmp_le_i32_e32 vcc, s7, v12
	ds_write_b64 v1, v[6:7]
	s_or_b64 s[22:23], vcc, s[22:23]
	v_add_u32_e32 v1, s25, v1
	s_andn2_b64 exec, exec, s[22:23]
	s_cbranch_execz .LBB45_7
.LBB45_3:                               ; =>This Inner Loop Header: Depth=1
	global_load_dwordx2 v[6:7], v[2:3], off
	s_waitcnt vmcnt(0)
	v_mul_f32_e32 v13, 0xbfb8aa3b, v6
	v_cmp_gt_f32_e32 vcc, s27, v13
	v_cndmask_b32_e32 v14, 0, v9, vcc
	v_fmac_f32_e32 v14, 0xbfb8aa3b, v6
	v_exp_f32_e32 v6, v14
	v_cndmask_b32_e32 v13, 1.0, v8, vcc
	s_and_b64 vcc, exec, s[2:3]
	v_fma_f32 v6, v6, v13, 1.0
	v_rcp_f32_e32 v6, v6
	s_cbranch_vccnz .LBB45_5
; %bb.4:                                ;   in Loop: Header=BB45_3 Depth=1
	global_load_ushort v13, v[4:5], off offset:-2
	s_waitcnt vmcnt(0)
	v_cvt_f32_f16_e32 v13, v13
	v_add_f32_e32 v6, v6, v13
.LBB45_5:                               ;   in Loop: Header=BB45_3 Depth=1
	v_mul_f32_e32 v13, 0xbfb8aa3b, v7
	v_cmp_gt_f32_e32 vcc, s27, v13
	v_cndmask_b32_e32 v14, 0, v9, vcc
	v_fmac_f32_e32 v14, 0xbfb8aa3b, v7
	v_exp_f32_e32 v7, v14
	v_cndmask_b32_e32 v13, 1.0, v8, vcc
	s_and_b64 vcc, exec, s[2:3]
	v_fma_f32 v7, v7, v13, 1.0
	v_rcp_f32_e32 v7, v7
	s_cbranch_vccnz .LBB45_2
; %bb.6:                                ;   in Loop: Header=BB45_3 Depth=1
	global_load_ushort v13, v[4:5], off
	s_waitcnt vmcnt(0)
	v_cvt_f32_f16_e32 v13, v13
	v_add_f32_e32 v7, v7, v13
	s_branch .LBB45_2
.LBB45_7:
	s_or_b64 exec, exec, s[20:21]
	v_lshl_add_u32 v2, s7, 1, v0
	v_cmp_gt_i32_e32 vcc, s16, v2
	s_and_saveexec_b64 s[20:21], vcc
	s_cbranch_execz .LBB45_12
; %bb.8:
	s_lshl_b64 s[2:3], s[18:19], 2
	s_load_dword s19, s[4:5], 0x44
	s_add_u32 s18, s8, s2
	s_addc_u32 s23, s9, s3
	s_cmp_lg_u64 s[10:11], 0
	s_cselect_b64 s[2:3], -1, 0
	s_lshl_b32 s22, s7, 3
	s_waitcnt lgkmcnt(0)
	s_and_b32 s19, s19, 0xffff
	s_add_i32 s22, s22, 0
	v_cndmask_b32_e64 v3, 0, 1, s[2:3]
	s_mov_b64 s[8:9], 0
	v_lshl_add_u32 v1, v0, 2, s22
	s_lshl_b32 s22, s19, 2
	v_mov_b32_e32 v4, s23
	s_mov_b32 s23, 0xc2fc0000
	v_mov_b32_e32 v5, 0x42800000
	v_mov_b32_e32 v6, 0x1f800000
	v_cmp_ne_u32_e64 s[2:3], 1, v3
	s_branch .LBB45_10
.LBB45_9:                               ;   in Loop: Header=BB45_10 Depth=1
	v_add_u32_e32 v2, s19, v2
	v_cmp_le_i32_e32 vcc, s16, v2
	s_or_b64 s[8:9], vcc, s[8:9]
	v_add_u32_e32 v1, s22, v1
	s_andn2_b64 exec, exec, s[8:9]
	s_cbranch_execz .LBB45_12
.LBB45_10:                              ; =>This Inner Loop Header: Depth=1
	v_ashrrev_i32_e32 v3, 31, v2
	v_lshlrev_b64 v[8:9], 2, v[2:3]
	v_add_co_u32_e32 v8, vcc, s18, v8
	v_addc_co_u32_e32 v9, vcc, v4, v9, vcc
	global_load_dword v7, v[8:9], off
	s_waitcnt vmcnt(0)
	v_mul_f32_e32 v8, 0xbfb8aa3b, v7
	v_cmp_gt_f32_e32 vcc, s23, v8
	v_cndmask_b32_e32 v8, 0, v5, vcc
	v_fmac_f32_e32 v8, 0xbfb8aa3b, v7
	v_exp_f32_e32 v7, v8
	v_cndmask_b32_e32 v8, 1.0, v6, vcc
	s_and_b64 vcc, exec, s[2:3]
	v_fma_f32 v7, v7, v8, 1.0
	v_rcp_f32_e32 v7, v7
	ds_write_b32 v1, v7
	s_cbranch_vccnz .LBB45_9
; %bb.11:                               ;   in Loop: Header=BB45_10 Depth=1
	v_lshlrev_b64 v[8:9], 1, v[2:3]
	v_mov_b32_e32 v3, s11
	v_add_co_u32_e32 v8, vcc, s10, v8
	v_addc_co_u32_e32 v9, vcc, v3, v9, vcc
	global_load_ushort v3, v[8:9], off
	s_waitcnt vmcnt(0)
	v_cvt_f32_f16_e32 v3, v3
	v_add_f32_e32 v3, v7, v3
	ds_write_b32 v1, v3
	s_branch .LBB45_9
.LBB45_12:
	s_or_b64 exec, exec, s[20:21]
	s_cmp_lt_i32 s17, 1
	v_mov_b32_e32 v2, 0
	s_waitcnt lgkmcnt(0)
	s_barrier
	s_cbranch_scc1 .LBB45_21
; %bb.13:
	s_add_u32 s2, s4, 56
	s_addc_u32 s3, s5, 0
	v_mbcnt_lo_u32_b32 v1, -1, 0
	s_cmp_lg_u64 s[10:11], 0
	v_mbcnt_hi_u32_b32 v1, -1, v1
	v_bfrev_b32_e32 v3, 0.5
	s_cselect_b64 s[8:9], -1, 0
	v_lshlrev_b32_e32 v4, 1, v0
	v_lshl_add_u32 v5, v0, 3, 0
	s_mov_b32 s16, 0
	v_mov_b32_e32 v2, 0
	v_lshl_or_b32 v6, v1, 2, v3
	v_mov_b32_e32 v7, 0
	v_mov_b32_e32 v8, 0xff800000
	;; [unrolled: 1-line block ×4, first 2 shown]
	s_branch .LBB45_15
.LBB45_14:                              ;   in Loop: Header=BB45_15 Depth=1
	s_lshl_b32 s19, s18, 2
	s_add_i32 s19, s19, 0
	v_mov_b32_e32 v9, s19
	ds_write_b32 v9, v8
	v_mov_b32_e32 v9, s18
	v_cmp_eq_u32_e32 vcc, s16, v0
	s_add_i32 s16, s16, 1
	v_cndmask_b32_e32 v1, v1, v9, vcc
	v_cndmask_b32_e32 v2, v2, v11, vcc
	s_cmp_eq_u32 s16, s17
	v_add_f32_e32 v3, v3, v11
	s_cbranch_scc1 .LBB45_22
.LBB45_15:                              ; =>This Loop Header: Depth=1
                                        ;     Child Loop BB45_17 Depth 2
	v_mov_b32_e32 v9, s16
	v_mov_b32_e32 v10, 0xff800000
	s_and_saveexec_b64 s[18:19], s[0:1]
	s_cbranch_execz .LBB45_19
; %bb.16:                               ;   in Loop: Header=BB45_15 Depth=1
	s_load_dword s22, s[2:3], 0xc
	s_mov_b64 s[20:21], 0
	v_mov_b32_e32 v9, s16
	v_mov_b32_e32 v10, 0xff800000
	v_mov_b32_e32 v11, v5
	s_waitcnt lgkmcnt(0)
	s_and_b32 s22, s22, 0xffff
	s_lshl_b32 s23, s22, 1
	s_lshl_b32 s24, s22, 3
	v_mov_b32_e32 v12, v4
	v_mov_b32_e32 v13, v0
.LBB45_17:                              ;   Parent Loop BB45_15 Depth=1
                                        ; =>  This Inner Loop Header: Depth=2
	ds_read_b64 v[14:15], v11
	v_add_u32_e32 v13, s22, v13
	v_cmp_le_i32_e32 vcc, s7, v13
	s_or_b64 s[20:21], vcc, s[20:21]
	v_add_u32_e32 v16, 1, v12
	s_waitcnt lgkmcnt(0)
	v_cmp_gt_f32_e32 vcc, v14, v10
	v_cndmask_b32_e32 v10, v10, v14, vcc
	v_cndmask_b32_e32 v9, v9, v12, vcc
	v_cmp_gt_f32_e32 vcc, v15, v10
	v_add_u32_e32 v11, s24, v11
	v_cndmask_b32_e32 v10, v10, v15, vcc
	v_add_u32_e32 v12, s23, v12
	v_cndmask_b32_e32 v9, v9, v16, vcc
	s_andn2_b64 exec, exec, s[20:21]
	s_cbranch_execnz .LBB45_17
; %bb.18:                               ;   in Loop: Header=BB45_15 Depth=1
	s_or_b64 exec, exec, s[20:21]
.LBB45_19:                              ;   in Loop: Header=BB45_15 Depth=1
	s_or_b64 exec, exec, s[18:19]
	;;#ASMSTART
	v_max_f32 v11, v10, v10 quad_perm:[1,0,3,2] row_mask:0xf bank_mask:0xf bound_ctrl:1
	;;#ASMEND
	;;#ASMSTART
	v_max_f32 v12, v11, v11 quad_perm:[2,3,0,1] row_mask:0xf bank_mask:0xf bound_ctrl:1
	;;#ASMEND
	;;#ASMSTART
	v_max_f32 v11, v12, v12 row_half_mirror row_mask:0xf bank_mask:0xf bound_ctrl:1
	;;#ASMEND
	;;#ASMSTART
	v_max_f32 v12, v11, v11 row_mirror row_mask:0xf bank_mask:0xf bound_ctrl:1
	;;#ASMEND
	;;#ASMSTART
	v_max_f32 v11, v12, v12 row_ror:4 row_mask:0xf bank_mask:0xf bound_ctrl:1
	;;#ASMEND
	;;#ASMSTART
	v_max_f32 v12, v11, v11 row_ror:8 row_mask:0xf bank_mask:0xf bound_ctrl:1
	;;#ASMEND
	;;#ASMSTART
	v_max_f32 v11, v12, v12 row_bcast:15 row_mask:0xf bank_mask:0xf bound_ctrl:1
	;;#ASMEND
	;;#ASMSTART
	v_max_f32 v12, v11, v11 row_bcast:31 row_mask:0xf bank_mask:0xf bound_ctrl:1
	;;#ASMEND
	ds_bpermute_b32 v11, v6, v12
	s_waitcnt lgkmcnt(0)
	v_cmp_eq_f32_e32 vcc, v10, v11
	s_ff1_i32_b64 s18, vcc
	s_cmp_lg_u64 vcc, 0
	s_cselect_b32 s18, s18, 0
	s_and_b64 vcc, exec, s[8:9]
	v_readlane_b32 s18, v9, s18
	s_cbranch_vccz .LBB45_14
; %bb.20:                               ;   in Loop: Header=BB45_15 Depth=1
	s_ashr_i32 s19, s18, 31
	s_lshl_b64 s[20:21], s[18:19], 1
	s_add_u32 s20, s10, s20
	s_addc_u32 s21, s11, s21
	global_load_ushort v9, v7, s[20:21]
	s_waitcnt vmcnt(0)
	v_cvt_f32_f16_e32 v9, v9
	v_sub_f32_e32 v11, v11, v9
	s_branch .LBB45_14
.LBB45_21:
	v_mov_b32_e32 v1, 0
	v_mov_b32_e32 v3, 0
.LBB45_22:
	v_cmp_gt_i32_e32 vcc, s17, v0
	s_and_saveexec_b64 s[0:1], vcc
	s_cbranch_execz .LBB45_25
; %bb.23:
	s_load_dword s2, s[4:5], 0x34
	v_max_f32_e32 v3, v3, v3
	v_max_f32_e32 v3, 0x1e3ce508, v3
	s_load_dword s3, s[4:5], 0x44
	s_waitcnt lgkmcnt(0)
	v_div_scale_f32 v4, s[0:1], v3, v3, s2
	s_load_dwordx2 s[0:1], s[4:5], 0x20
	v_rcp_f32_e32 v5, v4
	v_div_scale_f32 v6, vcc, s2, v3, s2
	s_and_b32 s3, s3, 0xffff
	v_fma_f32 v7, -v4, v5, 1.0
	v_fmac_f32_e32 v5, v7, v5
	v_mul_f32_e32 v7, v6, v5
	v_fma_f32 v8, -v4, v7, v6
	v_fmac_f32_e32 v7, v8, v5
	v_fma_f32 v4, -v4, v7, v6
	v_div_fmas_f32 v4, v4, v5, v7
	v_div_fixup_f32 v3, v4, v3, s2
	s_ashr_i32 s2, s6, 31
	s_waitcnt lgkmcnt(0)
	s_mul_i32 s1, s6, s1
	s_mul_hi_u32 s4, s6, s0
	s_add_i32 s1, s4, s1
	s_mul_i32 s2, s2, s0
	s_add_i32 s4, s1, s2
	v_mul_f32_e32 v2, v2, v3
	s_mul_i32 s2, s6, s0
	s_mov_b64 s[0:1], 0
	v_mov_b32_e32 v3, s4
	v_mov_b32_e32 v4, s13
	;; [unrolled: 1-line block ×3, first 2 shown]
.LBB45_24:                              ; =>This Inner Loop Header: Depth=1
	v_ashrrev_i32_e32 v7, 31, v0
	v_add_co_u32_e32 v6, vcc, s2, v0
	v_addc_co_u32_e32 v7, vcc, v3, v7, vcc
	v_add_u32_e32 v0, s3, v0
	v_cmp_le_i32_e32 vcc, s17, v0
	v_lshlrev_b64 v[6:7], 2, v[6:7]
	s_or_b64 s[0:1], vcc, s[0:1]
	v_add_co_u32_e32 v8, vcc, s12, v6
	v_addc_co_u32_e32 v9, vcc, v4, v7, vcc
	v_add_co_u32_e32 v6, vcc, s14, v6
	v_addc_co_u32_e32 v7, vcc, v5, v7, vcc
	global_store_dword v[8:9], v2, off
	global_store_dword v[6:7], v1, off
	s_andn2_b64 exec, exec, s[0:1]
	s_cbranch_execnz .LBB45_24
.LBB45_25:
	s_endpgm
	.section	.rodata,"a",@progbits
	.p2align	6, 0x0
	.amdhsa_kernel _ZN5aiter20topk_softplus_kernelIf6__halfDv2_fLb1ELi1EEEvPKT_PKT0_PfPimiiif
		.amdhsa_group_segment_fixed_size 0
		.amdhsa_private_segment_fixed_size 0
		.amdhsa_kernarg_size 312
		.amdhsa_user_sgpr_count 6
		.amdhsa_user_sgpr_private_segment_buffer 1
		.amdhsa_user_sgpr_dispatch_ptr 0
		.amdhsa_user_sgpr_queue_ptr 0
		.amdhsa_user_sgpr_kernarg_segment_ptr 1
		.amdhsa_user_sgpr_dispatch_id 0
		.amdhsa_user_sgpr_flat_scratch_init 0
		.amdhsa_user_sgpr_kernarg_preload_length 0
		.amdhsa_user_sgpr_kernarg_preload_offset 0
		.amdhsa_user_sgpr_private_segment_size 0
		.amdhsa_uses_dynamic_stack 0
		.amdhsa_system_sgpr_private_segment_wavefront_offset 0
		.amdhsa_system_sgpr_workgroup_id_x 1
		.amdhsa_system_sgpr_workgroup_id_y 0
		.amdhsa_system_sgpr_workgroup_id_z 0
		.amdhsa_system_sgpr_workgroup_info 0
		.amdhsa_system_vgpr_workitem_id 0
		.amdhsa_next_free_vgpr 17
		.amdhsa_next_free_sgpr 29
		.amdhsa_accum_offset 20
		.amdhsa_reserve_vcc 1
		.amdhsa_reserve_flat_scratch 0
		.amdhsa_float_round_mode_32 0
		.amdhsa_float_round_mode_16_64 0
		.amdhsa_float_denorm_mode_32 3
		.amdhsa_float_denorm_mode_16_64 3
		.amdhsa_dx10_clamp 1
		.amdhsa_ieee_mode 1
		.amdhsa_fp16_overflow 0
		.amdhsa_tg_split 0
		.amdhsa_exception_fp_ieee_invalid_op 0
		.amdhsa_exception_fp_denorm_src 0
		.amdhsa_exception_fp_ieee_div_zero 0
		.amdhsa_exception_fp_ieee_overflow 0
		.amdhsa_exception_fp_ieee_underflow 0
		.amdhsa_exception_fp_ieee_inexact 0
		.amdhsa_exception_int_div_zero 0
	.end_amdhsa_kernel
	.section	.text._ZN5aiter20topk_softplus_kernelIf6__halfDv2_fLb1ELi1EEEvPKT_PKT0_PfPimiiif,"axG",@progbits,_ZN5aiter20topk_softplus_kernelIf6__halfDv2_fLb1ELi1EEEvPKT_PKT0_PfPimiiif,comdat
.Lfunc_end45:
	.size	_ZN5aiter20topk_softplus_kernelIf6__halfDv2_fLb1ELi1EEEvPKT_PKT0_PfPimiiif, .Lfunc_end45-_ZN5aiter20topk_softplus_kernelIf6__halfDv2_fLb1ELi1EEEvPKT_PKT0_PfPimiiif
                                        ; -- End function
	.section	.AMDGPU.csdata,"",@progbits
; Kernel info:
; codeLenInByte = 1456
; NumSgprs: 33
; NumVgprs: 17
; NumAgprs: 0
; TotalNumVgprs: 17
; ScratchSize: 0
; MemoryBound: 0
; FloatMode: 240
; IeeeMode: 1
; LDSByteSize: 0 bytes/workgroup (compile time only)
; SGPRBlocks: 4
; VGPRBlocks: 2
; NumSGPRsForWavesPerEU: 33
; NumVGPRsForWavesPerEU: 17
; AccumOffset: 20
; Occupancy: 8
; WaveLimiterHint : 0
; COMPUTE_PGM_RSRC2:SCRATCH_EN: 0
; COMPUTE_PGM_RSRC2:USER_SGPR: 6
; COMPUTE_PGM_RSRC2:TRAP_HANDLER: 0
; COMPUTE_PGM_RSRC2:TGID_X_EN: 1
; COMPUTE_PGM_RSRC2:TGID_Y_EN: 0
; COMPUTE_PGM_RSRC2:TGID_Z_EN: 0
; COMPUTE_PGM_RSRC2:TIDIG_COMP_CNT: 0
; COMPUTE_PGM_RSRC3_GFX90A:ACCUM_OFFSET: 4
; COMPUTE_PGM_RSRC3_GFX90A:TG_SPLIT: 0
	.section	.text._ZN5aiter20topk_softplus_kernelIf6__halfDv2_fLb0ELi1EEEvPKT_PKT0_PfPimiiif,"axG",@progbits,_ZN5aiter20topk_softplus_kernelIf6__halfDv2_fLb0ELi1EEEvPKT_PKT0_PfPimiiif,comdat
	.protected	_ZN5aiter20topk_softplus_kernelIf6__halfDv2_fLb0ELi1EEEvPKT_PKT0_PfPimiiif ; -- Begin function _ZN5aiter20topk_softplus_kernelIf6__halfDv2_fLb0ELi1EEEvPKT_PKT0_PfPimiiif
	.globl	_ZN5aiter20topk_softplus_kernelIf6__halfDv2_fLb0ELi1EEEvPKT_PKT0_PfPimiiif
	.p2align	8
	.type	_ZN5aiter20topk_softplus_kernelIf6__halfDv2_fLb0ELi1EEEvPKT_PKT0_PfPimiiif,@function
_ZN5aiter20topk_softplus_kernelIf6__halfDv2_fLb0ELi1EEEvPKT_PKT0_PfPimiiif: ; @_ZN5aiter20topk_softplus_kernelIf6__halfDv2_fLb0ELi1EEEvPKT_PKT0_PfPimiiif
; %bb.0:
	s_load_dwordx2 s[16:17], s[4:5], 0x28
	s_load_dwordx8 s[8:15], s[4:5], 0x0
	s_waitcnt lgkmcnt(0)
	s_lshr_b32 s0, s16, 31
	s_add_i32 s0, s16, s0
	s_mul_i32 s18, s6, s16
	s_ashr_i32 s7, s0, 1
	s_ashr_i32 s19, s18, 31
	v_cmp_gt_i32_e64 s[0:1], s7, v0
	s_and_saveexec_b64 s[20:21], s[0:1]
	s_cbranch_execz .LBB46_7
; %bb.1:
	s_load_dword s24, s[4:5], 0x44
	s_cmp_lg_u64 s[10:11], 0
	s_cselect_b64 s[2:3], -1, 0
	s_lshl_b64 s[26:27], s[18:19], 2
	v_lshlrev_b32_e32 v1, 3, v0
	s_waitcnt lgkmcnt(0)
	s_and_b32 s24, s24, 0xffff
	s_add_u32 s25, s8, s26
	s_addc_u32 s26, s9, s27
	v_mov_b32_e32 v3, s26
	v_add_co_u32_e32 v2, vcc, s25, v1
	v_addc_co_u32_e32 v3, vcc, 0, v3, vcc
	v_lshlrev_b32_e32 v4, 2, v0
	v_mov_b32_e32 v5, s11
	v_add_co_u32_e32 v4, vcc, s10, v4
	v_addc_co_u32_e32 v5, vcc, 0, v5, vcc
	s_mov_b32 s28, 0
	v_add_co_u32_e32 v4, vcc, 2, v4
	v_cndmask_b32_e64 v6, 0, 1, s[2:3]
	s_mov_b64 s[22:23], 0
	s_lshl_b32 s25, s24, 3
	v_addc_co_u32_e32 v5, vcc, 0, v5, vcc
	s_lshl_b32 s26, s24, 2
	v_add_u32_e32 v1, 0, v1
	s_mov_b32 s27, 0xc2fc0000
	v_mov_b32_e32 v8, 0x1f800000
	v_mov_b32_e32 v9, 0x42800000
	v_cmp_ne_u32_e64 s[2:3], 1, v6
	v_mov_b32_e32 v10, s28
	v_mov_b32_e32 v11, s28
	;; [unrolled: 1-line block ×3, first 2 shown]
	s_branch .LBB46_3
.LBB46_2:                               ;   in Loop: Header=BB46_3 Depth=1
	v_add_co_u32_e32 v2, vcc, s25, v2
	v_addc_co_u32_e32 v3, vcc, v3, v10, vcc
	v_add_co_u32_e32 v4, vcc, s26, v4
	v_add_u32_e32 v12, s24, v12
	v_addc_co_u32_e32 v5, vcc, v5, v11, vcc
	v_cmp_le_i32_e32 vcc, s7, v12
	ds_write_b64 v1, v[6:7]
	s_or_b64 s[22:23], vcc, s[22:23]
	v_add_u32_e32 v1, s25, v1
	s_andn2_b64 exec, exec, s[22:23]
	s_cbranch_execz .LBB46_7
.LBB46_3:                               ; =>This Inner Loop Header: Depth=1
	global_load_dwordx2 v[6:7], v[2:3], off
	s_waitcnt vmcnt(0)
	v_mul_f32_e32 v13, 0xbfb8aa3b, v6
	v_cmp_gt_f32_e32 vcc, s27, v13
	v_cndmask_b32_e32 v14, 0, v9, vcc
	v_fmac_f32_e32 v14, 0xbfb8aa3b, v6
	v_exp_f32_e32 v6, v14
	v_cndmask_b32_e32 v13, 1.0, v8, vcc
	s_and_b64 vcc, exec, s[2:3]
	v_fma_f32 v6, v6, v13, 1.0
	v_rcp_f32_e32 v6, v6
	s_cbranch_vccnz .LBB46_5
; %bb.4:                                ;   in Loop: Header=BB46_3 Depth=1
	global_load_ushort v13, v[4:5], off offset:-2
	s_waitcnt vmcnt(0)
	v_cvt_f32_f16_e32 v13, v13
	v_add_f32_e32 v6, v6, v13
.LBB46_5:                               ;   in Loop: Header=BB46_3 Depth=1
	v_mul_f32_e32 v13, 0xbfb8aa3b, v7
	v_cmp_gt_f32_e32 vcc, s27, v13
	v_cndmask_b32_e32 v14, 0, v9, vcc
	v_fmac_f32_e32 v14, 0xbfb8aa3b, v7
	v_exp_f32_e32 v7, v14
	v_cndmask_b32_e32 v13, 1.0, v8, vcc
	s_and_b64 vcc, exec, s[2:3]
	v_fma_f32 v7, v7, v13, 1.0
	v_rcp_f32_e32 v7, v7
	s_cbranch_vccnz .LBB46_2
; %bb.6:                                ;   in Loop: Header=BB46_3 Depth=1
	global_load_ushort v13, v[4:5], off
	s_waitcnt vmcnt(0)
	v_cvt_f32_f16_e32 v13, v13
	v_add_f32_e32 v7, v7, v13
	s_branch .LBB46_2
.LBB46_7:
	s_or_b64 exec, exec, s[20:21]
	v_lshl_add_u32 v2, s7, 1, v0
	v_cmp_gt_i32_e32 vcc, s16, v2
	s_and_saveexec_b64 s[20:21], vcc
	s_cbranch_execz .LBB46_12
; %bb.8:
	s_lshl_b64 s[2:3], s[18:19], 2
	s_load_dword s19, s[4:5], 0x44
	s_add_u32 s18, s8, s2
	s_addc_u32 s23, s9, s3
	s_cmp_lg_u64 s[10:11], 0
	s_cselect_b64 s[2:3], -1, 0
	s_lshl_b32 s22, s7, 3
	s_waitcnt lgkmcnt(0)
	s_and_b32 s19, s19, 0xffff
	s_add_i32 s22, s22, 0
	v_cndmask_b32_e64 v3, 0, 1, s[2:3]
	s_mov_b64 s[8:9], 0
	v_lshl_add_u32 v1, v0, 2, s22
	s_lshl_b32 s22, s19, 2
	v_mov_b32_e32 v4, s23
	s_mov_b32 s23, 0xc2fc0000
	v_mov_b32_e32 v5, 0x42800000
	v_mov_b32_e32 v6, 0x1f800000
	v_cmp_ne_u32_e64 s[2:3], 1, v3
	s_branch .LBB46_10
.LBB46_9:                               ;   in Loop: Header=BB46_10 Depth=1
	v_add_u32_e32 v2, s19, v2
	v_cmp_le_i32_e32 vcc, s16, v2
	s_or_b64 s[8:9], vcc, s[8:9]
	v_add_u32_e32 v1, s22, v1
	s_andn2_b64 exec, exec, s[8:9]
	s_cbranch_execz .LBB46_12
.LBB46_10:                              ; =>This Inner Loop Header: Depth=1
	v_ashrrev_i32_e32 v3, 31, v2
	v_lshlrev_b64 v[8:9], 2, v[2:3]
	v_add_co_u32_e32 v8, vcc, s18, v8
	v_addc_co_u32_e32 v9, vcc, v4, v9, vcc
	global_load_dword v7, v[8:9], off
	s_waitcnt vmcnt(0)
	v_mul_f32_e32 v8, 0xbfb8aa3b, v7
	v_cmp_gt_f32_e32 vcc, s23, v8
	v_cndmask_b32_e32 v8, 0, v5, vcc
	v_fmac_f32_e32 v8, 0xbfb8aa3b, v7
	v_exp_f32_e32 v7, v8
	v_cndmask_b32_e32 v8, 1.0, v6, vcc
	s_and_b64 vcc, exec, s[2:3]
	v_fma_f32 v7, v7, v8, 1.0
	v_rcp_f32_e32 v7, v7
	ds_write_b32 v1, v7
	s_cbranch_vccnz .LBB46_9
; %bb.11:                               ;   in Loop: Header=BB46_10 Depth=1
	v_lshlrev_b64 v[8:9], 1, v[2:3]
	v_mov_b32_e32 v3, s11
	v_add_co_u32_e32 v8, vcc, s10, v8
	v_addc_co_u32_e32 v9, vcc, v3, v9, vcc
	global_load_ushort v3, v[8:9], off
	s_waitcnt vmcnt(0)
	v_cvt_f32_f16_e32 v3, v3
	v_add_f32_e32 v3, v7, v3
	ds_write_b32 v1, v3
	s_branch .LBB46_9
.LBB46_12:
	s_or_b64 exec, exec, s[20:21]
	s_cmp_lt_i32 s17, 1
	s_waitcnt lgkmcnt(0)
	s_barrier
	s_cbranch_scc1 .LBB46_21
; %bb.13:
	s_add_u32 s2, s4, 56
	s_addc_u32 s3, s5, 0
	v_mbcnt_lo_u32_b32 v2, -1, 0
	s_cmp_lg_u64 s[10:11], 0
	v_mbcnt_hi_u32_b32 v2, -1, v2
	v_bfrev_b32_e32 v6, 0.5
	s_cselect_b64 s[8:9], -1, 0
	v_lshlrev_b32_e32 v3, 1, v0
	s_mov_b32 s16, 0
	v_mov_b32_e32 v1, 0
	v_lshl_add_u32 v4, v0, 3, 0
	v_mov_b32_e32 v5, 0
	v_lshl_or_b32 v6, v2, 2, v6
	v_mov_b32_e32 v7, 0xff800000
	v_mov_b32_e32 v2, 0
	s_branch .LBB46_15
.LBB46_14:                              ;   in Loop: Header=BB46_15 Depth=1
	s_lshl_b32 s19, s18, 2
	s_add_i32 s19, s19, 0
	v_mov_b32_e32 v8, s19
	ds_write_b32 v8, v7
	v_mov_b32_e32 v8, s18
	v_cmp_eq_u32_e32 vcc, s16, v0
	s_add_i32 s16, s16, 1
	v_cndmask_b32_e32 v1, v1, v8, vcc
	s_cmp_eq_u32 s16, s17
	v_cndmask_b32_e32 v2, v2, v10, vcc
	s_cbranch_scc1 .LBB46_22
.LBB46_15:                              ; =>This Loop Header: Depth=1
                                        ;     Child Loop BB46_17 Depth 2
	v_mov_b32_e32 v8, s16
	v_mov_b32_e32 v9, 0xff800000
	s_and_saveexec_b64 s[18:19], s[0:1]
	s_cbranch_execz .LBB46_19
; %bb.16:                               ;   in Loop: Header=BB46_15 Depth=1
	s_load_dword s22, s[2:3], 0xc
	s_mov_b64 s[20:21], 0
	v_mov_b32_e32 v8, s16
	v_mov_b32_e32 v9, 0xff800000
	;; [unrolled: 1-line block ×3, first 2 shown]
	s_waitcnt lgkmcnt(0)
	s_and_b32 s22, s22, 0xffff
	s_lshl_b32 s23, s22, 1
	s_lshl_b32 s24, s22, 3
	v_mov_b32_e32 v11, v3
	v_mov_b32_e32 v12, v0
.LBB46_17:                              ;   Parent Loop BB46_15 Depth=1
                                        ; =>  This Inner Loop Header: Depth=2
	ds_read_b64 v[14:15], v10
	v_add_u32_e32 v12, s22, v12
	v_cmp_le_i32_e32 vcc, s7, v12
	s_or_b64 s[20:21], vcc, s[20:21]
	v_add_u32_e32 v13, 1, v11
	s_waitcnt lgkmcnt(0)
	v_cmp_gt_f32_e32 vcc, v14, v9
	v_cndmask_b32_e32 v9, v9, v14, vcc
	v_cndmask_b32_e32 v8, v8, v11, vcc
	v_cmp_gt_f32_e32 vcc, v15, v9
	v_add_u32_e32 v10, s24, v10
	v_cndmask_b32_e32 v9, v9, v15, vcc
	v_add_u32_e32 v11, s23, v11
	v_cndmask_b32_e32 v8, v8, v13, vcc
	s_andn2_b64 exec, exec, s[20:21]
	s_cbranch_execnz .LBB46_17
; %bb.18:                               ;   in Loop: Header=BB46_15 Depth=1
	s_or_b64 exec, exec, s[20:21]
.LBB46_19:                              ;   in Loop: Header=BB46_15 Depth=1
	s_or_b64 exec, exec, s[18:19]
	;;#ASMSTART
	v_max_f32 v10, v9, v9 quad_perm:[1,0,3,2] row_mask:0xf bank_mask:0xf bound_ctrl:1
	;;#ASMEND
	;;#ASMSTART
	v_max_f32 v11, v10, v10 quad_perm:[2,3,0,1] row_mask:0xf bank_mask:0xf bound_ctrl:1
	;;#ASMEND
	;;#ASMSTART
	v_max_f32 v10, v11, v11 row_half_mirror row_mask:0xf bank_mask:0xf bound_ctrl:1
	;;#ASMEND
	;;#ASMSTART
	v_max_f32 v11, v10, v10 row_mirror row_mask:0xf bank_mask:0xf bound_ctrl:1
	;;#ASMEND
	;;#ASMSTART
	v_max_f32 v10, v11, v11 row_ror:4 row_mask:0xf bank_mask:0xf bound_ctrl:1
	;;#ASMEND
	;;#ASMSTART
	v_max_f32 v11, v10, v10 row_ror:8 row_mask:0xf bank_mask:0xf bound_ctrl:1
	;;#ASMEND
	;;#ASMSTART
	v_max_f32 v10, v11, v11 row_bcast:15 row_mask:0xf bank_mask:0xf bound_ctrl:1
	;;#ASMEND
	;;#ASMSTART
	v_max_f32 v11, v10, v10 row_bcast:31 row_mask:0xf bank_mask:0xf bound_ctrl:1
	;;#ASMEND
	ds_bpermute_b32 v10, v6, v11
	s_waitcnt lgkmcnt(0)
	v_cmp_eq_f32_e32 vcc, v9, v10
	s_ff1_i32_b64 s18, vcc
	s_cmp_lg_u64 vcc, 0
	s_cselect_b32 s18, s18, 0
	s_and_b64 vcc, exec, s[8:9]
	v_readlane_b32 s18, v8, s18
	s_cbranch_vccz .LBB46_14
; %bb.20:                               ;   in Loop: Header=BB46_15 Depth=1
	s_ashr_i32 s19, s18, 31
	s_lshl_b64 s[20:21], s[18:19], 1
	s_add_u32 s20, s10, s20
	s_addc_u32 s21, s11, s21
	global_load_ushort v8, v5, s[20:21]
	s_waitcnt vmcnt(0)
	v_cvt_f32_f16_e32 v8, v8
	v_sub_f32_e32 v10, v10, v8
	s_branch .LBB46_14
.LBB46_21:
	v_mov_b32_e32 v2, 0
	v_mov_b32_e32 v1, 0
.LBB46_22:
	v_cmp_gt_i32_e32 vcc, s17, v0
	s_and_saveexec_b64 s[0:1], vcc
	s_cbranch_execz .LBB46_25
; %bb.23:
	s_load_dword s2, s[4:5], 0x34
	s_load_dwordx2 s[0:1], s[4:5], 0x20
	s_ashr_i32 s3, s6, 31
	s_load_dword s4, s[4:5], 0x44
	v_mov_b32_e32 v4, s13
	s_waitcnt lgkmcnt(0)
	v_mul_f32_e32 v2, s2, v2
	s_mul_i32 s1, s6, s1
	s_mul_hi_u32 s2, s6, s0
	s_add_i32 s1, s2, s1
	s_mul_i32 s3, s3, s0
	s_add_i32 s5, s1, s3
	s_mul_i32 s2, s6, s0
	s_and_b32 s3, s4, 0xffff
	s_mov_b64 s[0:1], 0
	v_mov_b32_e32 v3, s5
	v_mov_b32_e32 v5, s15
.LBB46_24:                              ; =>This Inner Loop Header: Depth=1
	v_ashrrev_i32_e32 v7, 31, v0
	v_add_co_u32_e32 v6, vcc, s2, v0
	v_addc_co_u32_e32 v7, vcc, v3, v7, vcc
	v_add_u32_e32 v0, s3, v0
	v_cmp_le_i32_e32 vcc, s17, v0
	v_lshlrev_b64 v[6:7], 2, v[6:7]
	s_or_b64 s[0:1], vcc, s[0:1]
	v_add_co_u32_e32 v8, vcc, s12, v6
	v_addc_co_u32_e32 v9, vcc, v4, v7, vcc
	v_add_co_u32_e32 v6, vcc, s14, v6
	v_addc_co_u32_e32 v7, vcc, v5, v7, vcc
	global_store_dword v[8:9], v2, off
	global_store_dword v[6:7], v1, off
	s_andn2_b64 exec, exec, s[0:1]
	s_cbranch_execnz .LBB46_24
.LBB46_25:
	s_endpgm
	.section	.rodata,"a",@progbits
	.p2align	6, 0x0
	.amdhsa_kernel _ZN5aiter20topk_softplus_kernelIf6__halfDv2_fLb0ELi1EEEvPKT_PKT0_PfPimiiif
		.amdhsa_group_segment_fixed_size 0
		.amdhsa_private_segment_fixed_size 0
		.amdhsa_kernarg_size 312
		.amdhsa_user_sgpr_count 6
		.amdhsa_user_sgpr_private_segment_buffer 1
		.amdhsa_user_sgpr_dispatch_ptr 0
		.amdhsa_user_sgpr_queue_ptr 0
		.amdhsa_user_sgpr_kernarg_segment_ptr 1
		.amdhsa_user_sgpr_dispatch_id 0
		.amdhsa_user_sgpr_flat_scratch_init 0
		.amdhsa_user_sgpr_kernarg_preload_length 0
		.amdhsa_user_sgpr_kernarg_preload_offset 0
		.amdhsa_user_sgpr_private_segment_size 0
		.amdhsa_uses_dynamic_stack 0
		.amdhsa_system_sgpr_private_segment_wavefront_offset 0
		.amdhsa_system_sgpr_workgroup_id_x 1
		.amdhsa_system_sgpr_workgroup_id_y 0
		.amdhsa_system_sgpr_workgroup_id_z 0
		.amdhsa_system_sgpr_workgroup_info 0
		.amdhsa_system_vgpr_workitem_id 0
		.amdhsa_next_free_vgpr 16
		.amdhsa_next_free_sgpr 29
		.amdhsa_accum_offset 16
		.amdhsa_reserve_vcc 1
		.amdhsa_reserve_flat_scratch 0
		.amdhsa_float_round_mode_32 0
		.amdhsa_float_round_mode_16_64 0
		.amdhsa_float_denorm_mode_32 3
		.amdhsa_float_denorm_mode_16_64 3
		.amdhsa_dx10_clamp 1
		.amdhsa_ieee_mode 1
		.amdhsa_fp16_overflow 0
		.amdhsa_tg_split 0
		.amdhsa_exception_fp_ieee_invalid_op 0
		.amdhsa_exception_fp_denorm_src 0
		.amdhsa_exception_fp_ieee_div_zero 0
		.amdhsa_exception_fp_ieee_overflow 0
		.amdhsa_exception_fp_ieee_underflow 0
		.amdhsa_exception_fp_ieee_inexact 0
		.amdhsa_exception_int_div_zero 0
	.end_amdhsa_kernel
	.section	.text._ZN5aiter20topk_softplus_kernelIf6__halfDv2_fLb0ELi1EEEvPKT_PKT0_PfPimiiif,"axG",@progbits,_ZN5aiter20topk_softplus_kernelIf6__halfDv2_fLb0ELi1EEEvPKT_PKT0_PfPimiiif,comdat
.Lfunc_end46:
	.size	_ZN5aiter20topk_softplus_kernelIf6__halfDv2_fLb0ELi1EEEvPKT_PKT0_PfPimiiif, .Lfunc_end46-_ZN5aiter20topk_softplus_kernelIf6__halfDv2_fLb0ELi1EEEvPKT_PKT0_PfPimiiif
                                        ; -- End function
	.section	.AMDGPU.csdata,"",@progbits
; Kernel info:
; codeLenInByte = 1356
; NumSgprs: 33
; NumVgprs: 16
; NumAgprs: 0
; TotalNumVgprs: 16
; ScratchSize: 0
; MemoryBound: 0
; FloatMode: 240
; IeeeMode: 1
; LDSByteSize: 0 bytes/workgroup (compile time only)
; SGPRBlocks: 4
; VGPRBlocks: 1
; NumSGPRsForWavesPerEU: 33
; NumVGPRsForWavesPerEU: 16
; AccumOffset: 16
; Occupancy: 8
; WaveLimiterHint : 0
; COMPUTE_PGM_RSRC2:SCRATCH_EN: 0
; COMPUTE_PGM_RSRC2:USER_SGPR: 6
; COMPUTE_PGM_RSRC2:TRAP_HANDLER: 0
; COMPUTE_PGM_RSRC2:TGID_X_EN: 1
; COMPUTE_PGM_RSRC2:TGID_Y_EN: 0
; COMPUTE_PGM_RSRC2:TGID_Z_EN: 0
; COMPUTE_PGM_RSRC2:TIDIG_COMP_CNT: 0
; COMPUTE_PGM_RSRC3_GFX90A:ACCUM_OFFSET: 3
; COMPUTE_PGM_RSRC3_GFX90A:TG_SPLIT: 0
	.section	.text._ZN5aiter20topk_softplus_kernelIf6__halfDv1_fLb1ELi1EEEvPKT_PKT0_PfPimiiif,"axG",@progbits,_ZN5aiter20topk_softplus_kernelIf6__halfDv1_fLb1ELi1EEEvPKT_PKT0_PfPimiiif,comdat
	.protected	_ZN5aiter20topk_softplus_kernelIf6__halfDv1_fLb1ELi1EEEvPKT_PKT0_PfPimiiif ; -- Begin function _ZN5aiter20topk_softplus_kernelIf6__halfDv1_fLb1ELi1EEEvPKT_PKT0_PfPimiiif
	.globl	_ZN5aiter20topk_softplus_kernelIf6__halfDv1_fLb1ELi1EEEvPKT_PKT0_PfPimiiif
	.p2align	8
	.type	_ZN5aiter20topk_softplus_kernelIf6__halfDv1_fLb1ELi1EEEvPKT_PKT0_PfPimiiif,@function
_ZN5aiter20topk_softplus_kernelIf6__halfDv1_fLb1ELi1EEEvPKT_PKT0_PfPimiiif: ; @_ZN5aiter20topk_softplus_kernelIf6__halfDv1_fLb1ELi1EEEvPKT_PKT0_PfPimiiif
; %bb.0:
	s_load_dwordx2 s[16:17], s[4:5], 0x28
	s_load_dwordx8 s[8:15], s[4:5], 0x0
	v_lshl_add_u32 v1, v0, 2, 0
	s_waitcnt lgkmcnt(0)
	s_mul_i32 s2, s6, s16
	s_ashr_i32 s3, s2, 31
	s_lshl_b64 s[2:3], s[2:3], 2
	s_add_u32 s7, s8, s2
	v_cmp_gt_i32_e64 s[0:1], s16, v0
	s_addc_u32 s20, s9, s3
	s_and_saveexec_b64 s[8:9], s[0:1]
	s_cbranch_execz .LBB47_5
; %bb.1:
	s_load_dword s21, s[4:5], 0x44
	s_cmp_lg_u64 s[10:11], 0
	s_cselect_b64 s[2:3], -1, 0
	v_cndmask_b32_e64 v2, 0, 1, s[2:3]
	s_mov_b64 s[18:19], 0
	s_waitcnt lgkmcnt(0)
	s_and_b32 s21, s21, 0xffff
	v_lshl_add_u32 v4, v0, 2, 0
	s_lshl_b32 s22, s21, 2
	v_mov_b32_e32 v5, s20
	s_mov_b32 s23, 0xc2fc0000
	v_mov_b32_e32 v6, 0x42800000
	v_mov_b32_e32 v7, 0x1f800000
	v_cmp_ne_u32_e64 s[2:3], 1, v2
	v_mov_b32_e32 v2, v0
	s_branch .LBB47_3
.LBB47_2:                               ;   in Loop: Header=BB47_3 Depth=1
	v_add_u32_e32 v2, s21, v2
	v_cmp_le_i32_e32 vcc, s16, v2
	ds_write_b32 v4, v8
	s_or_b64 s[18:19], vcc, s[18:19]
	v_add_u32_e32 v4, s22, v4
	s_andn2_b64 exec, exec, s[18:19]
	s_cbranch_execz .LBB47_5
.LBB47_3:                               ; =>This Inner Loop Header: Depth=1
	v_ashrrev_i32_e32 v3, 31, v2
	v_lshlrev_b64 v[8:9], 2, v[2:3]
	v_add_co_u32_e32 v8, vcc, s7, v8
	v_addc_co_u32_e32 v9, vcc, v5, v9, vcc
	global_load_dword v8, v[8:9], off
	s_waitcnt vmcnt(0)
	v_mul_f32_e32 v9, 0xbfb8aa3b, v8
	v_cmp_gt_f32_e32 vcc, s23, v9
	v_cndmask_b32_e32 v9, 0, v6, vcc
	v_fmac_f32_e32 v9, 0xbfb8aa3b, v8
	v_exp_f32_e32 v8, v9
	v_cndmask_b32_e32 v9, 1.0, v7, vcc
	s_and_b64 vcc, exec, s[2:3]
	v_fma_f32 v8, v8, v9, 1.0
	v_rcp_f32_e32 v8, v8
	s_cbranch_vccnz .LBB47_2
; %bb.4:                                ;   in Loop: Header=BB47_3 Depth=1
	v_lshlrev_b64 v[10:11], 1, v[2:3]
	v_mov_b32_e32 v3, s11
	v_add_co_u32_e32 v10, vcc, s10, v10
	v_addc_co_u32_e32 v11, vcc, v3, v11, vcc
	global_load_ushort v3, v[10:11], off
	s_waitcnt vmcnt(0)
	v_cvt_f32_f16_e32 v3, v3
	v_add_f32_e32 v8, v8, v3
	s_branch .LBB47_2
.LBB47_5:
	s_or_b64 exec, exec, s[8:9]
	v_add_u32_e32 v2, s16, v0
	v_cmp_gt_i32_e32 vcc, s16, v2
	s_and_saveexec_b64 s[8:9], vcc
	s_cbranch_execz .LBB47_10
; %bb.6:
	s_load_dword s21, s[4:5], 0x44
	s_cmp_lg_u64 s[10:11], 0
	s_cselect_b64 s[2:3], -1, 0
	v_cndmask_b32_e64 v3, 0, 1, s[2:3]
	s_mov_b64 s[18:19], 0
	s_waitcnt lgkmcnt(0)
	s_and_b32 s21, s21, 0xffff
	v_lshl_add_u32 v4, v2, 2, 0
	s_lshl_b32 s22, s21, 2
	v_mov_b32_e32 v5, s20
	s_mov_b32 s20, 0xc2fc0000
	v_mov_b32_e32 v6, 0x42800000
	v_mov_b32_e32 v7, 0x1f800000
	v_cmp_ne_u32_e64 s[2:3], 1, v3
	s_branch .LBB47_8
.LBB47_7:                               ;   in Loop: Header=BB47_8 Depth=1
	v_add_u32_e32 v2, s21, v2
	v_cmp_le_i32_e32 vcc, s16, v2
	s_or_b64 s[18:19], vcc, s[18:19]
	v_add_u32_e32 v4, s22, v4
	s_andn2_b64 exec, exec, s[18:19]
	s_cbranch_execz .LBB47_10
.LBB47_8:                               ; =>This Inner Loop Header: Depth=1
	v_ashrrev_i32_e32 v3, 31, v2
	v_lshlrev_b64 v[8:9], 2, v[2:3]
	v_add_co_u32_e32 v8, vcc, s7, v8
	v_addc_co_u32_e32 v9, vcc, v5, v9, vcc
	global_load_dword v8, v[8:9], off
	s_waitcnt vmcnt(0)
	v_mul_f32_e32 v9, 0xbfb8aa3b, v8
	v_cmp_gt_f32_e32 vcc, s20, v9
	v_cndmask_b32_e32 v9, 0, v6, vcc
	v_fmac_f32_e32 v9, 0xbfb8aa3b, v8
	v_exp_f32_e32 v8, v9
	v_cndmask_b32_e32 v9, 1.0, v7, vcc
	s_and_b64 vcc, exec, s[2:3]
	v_fma_f32 v8, v8, v9, 1.0
	v_rcp_f32_e32 v8, v8
	ds_write_b32 v4, v8
	s_cbranch_vccnz .LBB47_7
; %bb.9:                                ;   in Loop: Header=BB47_8 Depth=1
	v_lshlrev_b64 v[10:11], 1, v[2:3]
	v_mov_b32_e32 v3, s11
	v_add_co_u32_e32 v10, vcc, s10, v10
	v_addc_co_u32_e32 v11, vcc, v3, v11, vcc
	global_load_ushort v3, v[10:11], off
	s_waitcnt vmcnt(0)
	v_cvt_f32_f16_e32 v3, v3
	v_add_f32_e32 v3, v8, v3
	ds_write_b32 v4, v3
	s_branch .LBB47_7
.LBB47_10:
	s_or_b64 exec, exec, s[8:9]
	s_cmp_lt_i32 s17, 1
	v_mov_b32_e32 v3, 0
	s_waitcnt lgkmcnt(0)
	s_barrier
	s_cbranch_scc1 .LBB47_19
; %bb.11:
	s_add_u32 s2, s4, 56
	s_addc_u32 s3, s5, 0
	v_mbcnt_lo_u32_b32 v2, -1, 0
	s_cmp_lg_u64 s[10:11], 0
	v_mbcnt_hi_u32_b32 v2, -1, v2
	v_bfrev_b32_e32 v4, 0.5
	s_cselect_b64 s[8:9], -1, 0
	s_mov_b32 s7, 0
	v_mov_b32_e32 v3, 0
	v_lshl_or_b32 v5, v2, 2, v4
	v_mov_b32_e32 v6, 0
	v_mov_b32_e32 v7, 0xff800000
	v_mov_b32_e32 v2, 0
	v_mov_b32_e32 v4, 0
	s_branch .LBB47_13
.LBB47_12:                              ;   in Loop: Header=BB47_13 Depth=1
	s_lshl_b32 s19, s18, 2
	s_add_i32 s19, s19, 0
	v_mov_b32_e32 v8, s19
	ds_write_b32 v8, v7
	v_mov_b32_e32 v8, s18
	v_cmp_eq_u32_e32 vcc, s7, v0
	s_add_i32 s7, s7, 1
	v_cndmask_b32_e32 v2, v2, v8, vcc
	v_cndmask_b32_e32 v3, v3, v10, vcc
	s_cmp_eq_u32 s7, s17
	v_add_f32_e32 v4, v4, v10
	s_cbranch_scc1 .LBB47_20
.LBB47_13:                              ; =>This Loop Header: Depth=1
                                        ;     Child Loop BB47_15 Depth 2
	v_mov_b32_e32 v8, s7
	v_mov_b32_e32 v9, 0xff800000
	s_and_saveexec_b64 s[18:19], s[0:1]
	s_cbranch_execz .LBB47_17
; %bb.14:                               ;   in Loop: Header=BB47_13 Depth=1
	s_load_dword s22, s[2:3], 0xc
	s_mov_b64 s[20:21], 0
	v_mov_b32_e32 v8, s7
	v_mov_b32_e32 v9, 0xff800000
	;; [unrolled: 1-line block ×3, first 2 shown]
	s_waitcnt lgkmcnt(0)
	s_and_b32 s22, s22, 0xffff
	s_lshl_b32 s23, s22, 2
	v_mov_b32_e32 v11, v0
.LBB47_15:                              ;   Parent Loop BB47_13 Depth=1
                                        ; =>  This Inner Loop Header: Depth=2
	ds_read_b32 v12, v10
	v_add_u32_e32 v10, s23, v10
	s_waitcnt lgkmcnt(0)
	v_cmp_gt_f32_e32 vcc, v12, v9
	v_cndmask_b32_e32 v8, v8, v11, vcc
	v_add_u32_e32 v11, s22, v11
	v_cndmask_b32_e32 v9, v9, v12, vcc
	v_cmp_le_i32_e32 vcc, s16, v11
	s_or_b64 s[20:21], vcc, s[20:21]
	s_andn2_b64 exec, exec, s[20:21]
	s_cbranch_execnz .LBB47_15
; %bb.16:                               ;   in Loop: Header=BB47_13 Depth=1
	s_or_b64 exec, exec, s[20:21]
.LBB47_17:                              ;   in Loop: Header=BB47_13 Depth=1
	s_or_b64 exec, exec, s[18:19]
	;;#ASMSTART
	v_max_f32 v10, v9, v9 quad_perm:[1,0,3,2] row_mask:0xf bank_mask:0xf bound_ctrl:1
	;;#ASMEND
	;;#ASMSTART
	v_max_f32 v11, v10, v10 quad_perm:[2,3,0,1] row_mask:0xf bank_mask:0xf bound_ctrl:1
	;;#ASMEND
	;;#ASMSTART
	v_max_f32 v10, v11, v11 row_half_mirror row_mask:0xf bank_mask:0xf bound_ctrl:1
	;;#ASMEND
	;;#ASMSTART
	v_max_f32 v11, v10, v10 row_mirror row_mask:0xf bank_mask:0xf bound_ctrl:1
	;;#ASMEND
	;;#ASMSTART
	v_max_f32 v10, v11, v11 row_ror:4 row_mask:0xf bank_mask:0xf bound_ctrl:1
	;;#ASMEND
	;;#ASMSTART
	v_max_f32 v11, v10, v10 row_ror:8 row_mask:0xf bank_mask:0xf bound_ctrl:1
	;;#ASMEND
	;;#ASMSTART
	v_max_f32 v10, v11, v11 row_bcast:15 row_mask:0xf bank_mask:0xf bound_ctrl:1
	;;#ASMEND
	;;#ASMSTART
	v_max_f32 v11, v10, v10 row_bcast:31 row_mask:0xf bank_mask:0xf bound_ctrl:1
	;;#ASMEND
	ds_bpermute_b32 v10, v5, v11
	s_waitcnt lgkmcnt(0)
	v_cmp_eq_f32_e32 vcc, v9, v10
	s_ff1_i32_b64 s18, vcc
	s_cmp_lg_u64 vcc, 0
	s_cselect_b32 s18, s18, 0
	s_and_b64 vcc, exec, s[8:9]
	v_readlane_b32 s18, v8, s18
	s_cbranch_vccz .LBB47_12
; %bb.18:                               ;   in Loop: Header=BB47_13 Depth=1
	s_ashr_i32 s19, s18, 31
	s_lshl_b64 s[20:21], s[18:19], 1
	s_add_u32 s20, s10, s20
	s_addc_u32 s21, s11, s21
	global_load_ushort v8, v6, s[20:21]
	s_waitcnt vmcnt(0)
	v_cvt_f32_f16_e32 v8, v8
	v_sub_f32_e32 v10, v10, v8
	s_branch .LBB47_12
.LBB47_19:
	v_mov_b32_e32 v2, 0
	v_mov_b32_e32 v4, 0
.LBB47_20:
	v_cmp_gt_i32_e32 vcc, s17, v0
	s_and_saveexec_b64 s[0:1], vcc
	s_cbranch_execz .LBB47_23
; %bb.21:
	s_load_dword s2, s[4:5], 0x34
	v_max_f32_e32 v1, v4, v4
	v_max_f32_e32 v1, 0x1e3ce508, v1
	s_load_dword s3, s[4:5], 0x44
	s_waitcnt lgkmcnt(0)
	v_div_scale_f32 v4, s[0:1], v1, v1, s2
	s_load_dwordx2 s[0:1], s[4:5], 0x20
	v_rcp_f32_e32 v5, v4
	v_div_scale_f32 v6, vcc, s2, v1, s2
	s_and_b32 s3, s3, 0xffff
	v_fma_f32 v7, -v4, v5, 1.0
	v_fmac_f32_e32 v5, v7, v5
	v_mul_f32_e32 v7, v6, v5
	v_fma_f32 v8, -v4, v7, v6
	v_fmac_f32_e32 v7, v8, v5
	v_fma_f32 v4, -v4, v7, v6
	v_div_fmas_f32 v4, v4, v5, v7
	v_div_fixup_f32 v1, v4, v1, s2
	s_ashr_i32 s2, s6, 31
	s_waitcnt lgkmcnt(0)
	s_mul_i32 s1, s6, s1
	s_mul_hi_u32 s4, s6, s0
	s_add_i32 s1, s4, s1
	s_mul_i32 s2, s2, s0
	s_add_i32 s4, s1, s2
	v_mul_f32_e32 v1, v3, v1
	s_mul_i32 s2, s6, s0
	s_mov_b64 s[0:1], 0
	v_mov_b32_e32 v3, s4
	v_mov_b32_e32 v4, s13
	;; [unrolled: 1-line block ×3, first 2 shown]
.LBB47_22:                              ; =>This Inner Loop Header: Depth=1
	v_ashrrev_i32_e32 v7, 31, v0
	v_add_co_u32_e32 v6, vcc, s2, v0
	v_addc_co_u32_e32 v7, vcc, v3, v7, vcc
	v_add_u32_e32 v0, s3, v0
	v_cmp_le_i32_e32 vcc, s17, v0
	v_lshlrev_b64 v[6:7], 2, v[6:7]
	s_or_b64 s[0:1], vcc, s[0:1]
	v_add_co_u32_e32 v8, vcc, s12, v6
	v_addc_co_u32_e32 v9, vcc, v4, v7, vcc
	v_add_co_u32_e32 v6, vcc, s14, v6
	v_addc_co_u32_e32 v7, vcc, v5, v7, vcc
	global_store_dword v[8:9], v1, off
	global_store_dword v[6:7], v2, off
	s_andn2_b64 exec, exec, s[0:1]
	s_cbranch_execnz .LBB47_22
.LBB47_23:
	s_endpgm
	.section	.rodata,"a",@progbits
	.p2align	6, 0x0
	.amdhsa_kernel _ZN5aiter20topk_softplus_kernelIf6__halfDv1_fLb1ELi1EEEvPKT_PKT0_PfPimiiif
		.amdhsa_group_segment_fixed_size 0
		.amdhsa_private_segment_fixed_size 0
		.amdhsa_kernarg_size 312
		.amdhsa_user_sgpr_count 6
		.amdhsa_user_sgpr_private_segment_buffer 1
		.amdhsa_user_sgpr_dispatch_ptr 0
		.amdhsa_user_sgpr_queue_ptr 0
		.amdhsa_user_sgpr_kernarg_segment_ptr 1
		.amdhsa_user_sgpr_dispatch_id 0
		.amdhsa_user_sgpr_flat_scratch_init 0
		.amdhsa_user_sgpr_kernarg_preload_length 0
		.amdhsa_user_sgpr_kernarg_preload_offset 0
		.amdhsa_user_sgpr_private_segment_size 0
		.amdhsa_uses_dynamic_stack 0
		.amdhsa_system_sgpr_private_segment_wavefront_offset 0
		.amdhsa_system_sgpr_workgroup_id_x 1
		.amdhsa_system_sgpr_workgroup_id_y 0
		.amdhsa_system_sgpr_workgroup_id_z 0
		.amdhsa_system_sgpr_workgroup_info 0
		.amdhsa_system_vgpr_workitem_id 0
		.amdhsa_next_free_vgpr 13
		.amdhsa_next_free_sgpr 24
		.amdhsa_accum_offset 16
		.amdhsa_reserve_vcc 1
		.amdhsa_reserve_flat_scratch 0
		.amdhsa_float_round_mode_32 0
		.amdhsa_float_round_mode_16_64 0
		.amdhsa_float_denorm_mode_32 3
		.amdhsa_float_denorm_mode_16_64 3
		.amdhsa_dx10_clamp 1
		.amdhsa_ieee_mode 1
		.amdhsa_fp16_overflow 0
		.amdhsa_tg_split 0
		.amdhsa_exception_fp_ieee_invalid_op 0
		.amdhsa_exception_fp_denorm_src 0
		.amdhsa_exception_fp_ieee_div_zero 0
		.amdhsa_exception_fp_ieee_overflow 0
		.amdhsa_exception_fp_ieee_underflow 0
		.amdhsa_exception_fp_ieee_inexact 0
		.amdhsa_exception_int_div_zero 0
	.end_amdhsa_kernel
	.section	.text._ZN5aiter20topk_softplus_kernelIf6__halfDv1_fLb1ELi1EEEvPKT_PKT0_PfPimiiif,"axG",@progbits,_ZN5aiter20topk_softplus_kernelIf6__halfDv1_fLb1ELi1EEEvPKT_PKT0_PfPimiiif,comdat
.Lfunc_end47:
	.size	_ZN5aiter20topk_softplus_kernelIf6__halfDv1_fLb1ELi1EEEvPKT_PKT0_PfPimiiif, .Lfunc_end47-_ZN5aiter20topk_softplus_kernelIf6__halfDv1_fLb1ELi1EEEvPKT_PKT0_PfPimiiif
                                        ; -- End function
	.section	.AMDGPU.csdata,"",@progbits
; Kernel info:
; codeLenInByte = 1292
; NumSgprs: 28
; NumVgprs: 13
; NumAgprs: 0
; TotalNumVgprs: 13
; ScratchSize: 0
; MemoryBound: 0
; FloatMode: 240
; IeeeMode: 1
; LDSByteSize: 0 bytes/workgroup (compile time only)
; SGPRBlocks: 3
; VGPRBlocks: 1
; NumSGPRsForWavesPerEU: 28
; NumVGPRsForWavesPerEU: 13
; AccumOffset: 16
; Occupancy: 8
; WaveLimiterHint : 0
; COMPUTE_PGM_RSRC2:SCRATCH_EN: 0
; COMPUTE_PGM_RSRC2:USER_SGPR: 6
; COMPUTE_PGM_RSRC2:TRAP_HANDLER: 0
; COMPUTE_PGM_RSRC2:TGID_X_EN: 1
; COMPUTE_PGM_RSRC2:TGID_Y_EN: 0
; COMPUTE_PGM_RSRC2:TGID_Z_EN: 0
; COMPUTE_PGM_RSRC2:TIDIG_COMP_CNT: 0
; COMPUTE_PGM_RSRC3_GFX90A:ACCUM_OFFSET: 3
; COMPUTE_PGM_RSRC3_GFX90A:TG_SPLIT: 0
	.section	.text._ZN5aiter20topk_softplus_kernelIf6__halfDv1_fLb0ELi1EEEvPKT_PKT0_PfPimiiif,"axG",@progbits,_ZN5aiter20topk_softplus_kernelIf6__halfDv1_fLb0ELi1EEEvPKT_PKT0_PfPimiiif,comdat
	.protected	_ZN5aiter20topk_softplus_kernelIf6__halfDv1_fLb0ELi1EEEvPKT_PKT0_PfPimiiif ; -- Begin function _ZN5aiter20topk_softplus_kernelIf6__halfDv1_fLb0ELi1EEEvPKT_PKT0_PfPimiiif
	.globl	_ZN5aiter20topk_softplus_kernelIf6__halfDv1_fLb0ELi1EEEvPKT_PKT0_PfPimiiif
	.p2align	8
	.type	_ZN5aiter20topk_softplus_kernelIf6__halfDv1_fLb0ELi1EEEvPKT_PKT0_PfPimiiif,@function
_ZN5aiter20topk_softplus_kernelIf6__halfDv1_fLb0ELi1EEEvPKT_PKT0_PfPimiiif: ; @_ZN5aiter20topk_softplus_kernelIf6__halfDv1_fLb0ELi1EEEvPKT_PKT0_PfPimiiif
; %bb.0:
	s_load_dwordx2 s[16:17], s[4:5], 0x28
	s_load_dwordx8 s[8:15], s[4:5], 0x0
	v_lshl_add_u32 v1, v0, 2, 0
	s_waitcnt lgkmcnt(0)
	s_mul_i32 s2, s6, s16
	s_ashr_i32 s3, s2, 31
	s_lshl_b64 s[2:3], s[2:3], 2
	s_add_u32 s7, s8, s2
	v_cmp_gt_i32_e64 s[0:1], s16, v0
	s_addc_u32 s20, s9, s3
	s_and_saveexec_b64 s[8:9], s[0:1]
	s_cbranch_execz .LBB48_5
; %bb.1:
	s_load_dword s21, s[4:5], 0x44
	s_cmp_lg_u64 s[10:11], 0
	s_cselect_b64 s[2:3], -1, 0
	v_cndmask_b32_e64 v2, 0, 1, s[2:3]
	s_mov_b64 s[18:19], 0
	s_waitcnt lgkmcnt(0)
	s_and_b32 s21, s21, 0xffff
	v_lshl_add_u32 v4, v0, 2, 0
	s_lshl_b32 s22, s21, 2
	v_mov_b32_e32 v5, s20
	s_mov_b32 s23, 0xc2fc0000
	v_mov_b32_e32 v6, 0x42800000
	v_mov_b32_e32 v7, 0x1f800000
	v_cmp_ne_u32_e64 s[2:3], 1, v2
	v_mov_b32_e32 v2, v0
	s_branch .LBB48_3
.LBB48_2:                               ;   in Loop: Header=BB48_3 Depth=1
	v_add_u32_e32 v2, s21, v2
	v_cmp_le_i32_e32 vcc, s16, v2
	ds_write_b32 v4, v8
	s_or_b64 s[18:19], vcc, s[18:19]
	v_add_u32_e32 v4, s22, v4
	s_andn2_b64 exec, exec, s[18:19]
	s_cbranch_execz .LBB48_5
.LBB48_3:                               ; =>This Inner Loop Header: Depth=1
	v_ashrrev_i32_e32 v3, 31, v2
	v_lshlrev_b64 v[8:9], 2, v[2:3]
	v_add_co_u32_e32 v8, vcc, s7, v8
	v_addc_co_u32_e32 v9, vcc, v5, v9, vcc
	global_load_dword v8, v[8:9], off
	s_waitcnt vmcnt(0)
	v_mul_f32_e32 v9, 0xbfb8aa3b, v8
	v_cmp_gt_f32_e32 vcc, s23, v9
	v_cndmask_b32_e32 v9, 0, v6, vcc
	v_fmac_f32_e32 v9, 0xbfb8aa3b, v8
	v_exp_f32_e32 v8, v9
	v_cndmask_b32_e32 v9, 1.0, v7, vcc
	s_and_b64 vcc, exec, s[2:3]
	v_fma_f32 v8, v8, v9, 1.0
	v_rcp_f32_e32 v8, v8
	s_cbranch_vccnz .LBB48_2
; %bb.4:                                ;   in Loop: Header=BB48_3 Depth=1
	v_lshlrev_b64 v[10:11], 1, v[2:3]
	v_mov_b32_e32 v3, s11
	v_add_co_u32_e32 v10, vcc, s10, v10
	v_addc_co_u32_e32 v11, vcc, v3, v11, vcc
	global_load_ushort v3, v[10:11], off
	s_waitcnt vmcnt(0)
	v_cvt_f32_f16_e32 v3, v3
	v_add_f32_e32 v8, v8, v3
	s_branch .LBB48_2
.LBB48_5:
	s_or_b64 exec, exec, s[8:9]
	v_add_u32_e32 v2, s16, v0
	v_cmp_gt_i32_e32 vcc, s16, v2
	s_and_saveexec_b64 s[8:9], vcc
	s_cbranch_execz .LBB48_10
; %bb.6:
	s_load_dword s21, s[4:5], 0x44
	s_cmp_lg_u64 s[10:11], 0
	s_cselect_b64 s[2:3], -1, 0
	v_cndmask_b32_e64 v3, 0, 1, s[2:3]
	s_mov_b64 s[18:19], 0
	s_waitcnt lgkmcnt(0)
	s_and_b32 s21, s21, 0xffff
	v_lshl_add_u32 v4, v2, 2, 0
	s_lshl_b32 s22, s21, 2
	v_mov_b32_e32 v5, s20
	s_mov_b32 s20, 0xc2fc0000
	v_mov_b32_e32 v6, 0x42800000
	v_mov_b32_e32 v7, 0x1f800000
	v_cmp_ne_u32_e64 s[2:3], 1, v3
	s_branch .LBB48_8
.LBB48_7:                               ;   in Loop: Header=BB48_8 Depth=1
	v_add_u32_e32 v2, s21, v2
	v_cmp_le_i32_e32 vcc, s16, v2
	s_or_b64 s[18:19], vcc, s[18:19]
	v_add_u32_e32 v4, s22, v4
	s_andn2_b64 exec, exec, s[18:19]
	s_cbranch_execz .LBB48_10
.LBB48_8:                               ; =>This Inner Loop Header: Depth=1
	v_ashrrev_i32_e32 v3, 31, v2
	v_lshlrev_b64 v[8:9], 2, v[2:3]
	v_add_co_u32_e32 v8, vcc, s7, v8
	v_addc_co_u32_e32 v9, vcc, v5, v9, vcc
	global_load_dword v8, v[8:9], off
	s_waitcnt vmcnt(0)
	v_mul_f32_e32 v9, 0xbfb8aa3b, v8
	v_cmp_gt_f32_e32 vcc, s20, v9
	v_cndmask_b32_e32 v9, 0, v6, vcc
	v_fmac_f32_e32 v9, 0xbfb8aa3b, v8
	v_exp_f32_e32 v8, v9
	v_cndmask_b32_e32 v9, 1.0, v7, vcc
	s_and_b64 vcc, exec, s[2:3]
	v_fma_f32 v8, v8, v9, 1.0
	v_rcp_f32_e32 v8, v8
	ds_write_b32 v4, v8
	s_cbranch_vccnz .LBB48_7
; %bb.9:                                ;   in Loop: Header=BB48_8 Depth=1
	v_lshlrev_b64 v[10:11], 1, v[2:3]
	v_mov_b32_e32 v3, s11
	v_add_co_u32_e32 v10, vcc, s10, v10
	v_addc_co_u32_e32 v11, vcc, v3, v11, vcc
	global_load_ushort v3, v[10:11], off
	s_waitcnt vmcnt(0)
	v_cvt_f32_f16_e32 v3, v3
	v_add_f32_e32 v3, v8, v3
	ds_write_b32 v4, v3
	s_branch .LBB48_7
.LBB48_10:
	s_or_b64 exec, exec, s[8:9]
	s_cmp_lt_i32 s17, 1
	s_waitcnt lgkmcnt(0)
	s_barrier
	s_cbranch_scc1 .LBB48_19
; %bb.11:
	s_add_u32 s2, s4, 56
	s_addc_u32 s3, s5, 0
	v_mbcnt_lo_u32_b32 v3, -1, 0
	s_cmp_lg_u64 s[10:11], 0
	v_mbcnt_hi_u32_b32 v3, -1, v3
	v_bfrev_b32_e32 v5, 0.5
	s_cselect_b64 s[8:9], -1, 0
	s_mov_b32 s7, 0
	v_mov_b32_e32 v2, 0
	v_mov_b32_e32 v4, 0
	v_lshl_or_b32 v5, v3, 2, v5
	v_mov_b32_e32 v6, 0xff800000
	v_mov_b32_e32 v3, 0
	s_branch .LBB48_13
.LBB48_12:                              ;   in Loop: Header=BB48_13 Depth=1
	s_lshl_b32 s19, s18, 2
	s_add_i32 s19, s19, 0
	v_mov_b32_e32 v7, s19
	ds_write_b32 v7, v6
	v_mov_b32_e32 v7, s18
	v_cmp_eq_u32_e32 vcc, s7, v0
	s_add_i32 s7, s7, 1
	v_cndmask_b32_e32 v2, v2, v7, vcc
	s_cmp_eq_u32 s7, s17
	v_cndmask_b32_e32 v3, v3, v9, vcc
	s_cbranch_scc1 .LBB48_20
.LBB48_13:                              ; =>This Loop Header: Depth=1
                                        ;     Child Loop BB48_15 Depth 2
	v_mov_b32_e32 v7, s7
	v_mov_b32_e32 v8, 0xff800000
	s_and_saveexec_b64 s[18:19], s[0:1]
	s_cbranch_execz .LBB48_17
; %bb.14:                               ;   in Loop: Header=BB48_13 Depth=1
	s_load_dword s22, s[2:3], 0xc
	s_mov_b64 s[20:21], 0
	v_mov_b32_e32 v7, s7
	v_mov_b32_e32 v8, 0xff800000
	;; [unrolled: 1-line block ×3, first 2 shown]
	s_waitcnt lgkmcnt(0)
	s_and_b32 s22, s22, 0xffff
	s_lshl_b32 s23, s22, 2
	v_mov_b32_e32 v10, v0
.LBB48_15:                              ;   Parent Loop BB48_13 Depth=1
                                        ; =>  This Inner Loop Header: Depth=2
	ds_read_b32 v11, v9
	v_add_u32_e32 v9, s23, v9
	s_waitcnt lgkmcnt(0)
	v_cmp_gt_f32_e32 vcc, v11, v8
	v_cndmask_b32_e32 v7, v7, v10, vcc
	v_add_u32_e32 v10, s22, v10
	v_cndmask_b32_e32 v8, v8, v11, vcc
	v_cmp_le_i32_e32 vcc, s16, v10
	s_or_b64 s[20:21], vcc, s[20:21]
	s_andn2_b64 exec, exec, s[20:21]
	s_cbranch_execnz .LBB48_15
; %bb.16:                               ;   in Loop: Header=BB48_13 Depth=1
	s_or_b64 exec, exec, s[20:21]
.LBB48_17:                              ;   in Loop: Header=BB48_13 Depth=1
	s_or_b64 exec, exec, s[18:19]
	;;#ASMSTART
	v_max_f32 v9, v8, v8 quad_perm:[1,0,3,2] row_mask:0xf bank_mask:0xf bound_ctrl:1
	;;#ASMEND
	;;#ASMSTART
	v_max_f32 v10, v9, v9 quad_perm:[2,3,0,1] row_mask:0xf bank_mask:0xf bound_ctrl:1
	;;#ASMEND
	;;#ASMSTART
	v_max_f32 v9, v10, v10 row_half_mirror row_mask:0xf bank_mask:0xf bound_ctrl:1
	;;#ASMEND
	;;#ASMSTART
	v_max_f32 v10, v9, v9 row_mirror row_mask:0xf bank_mask:0xf bound_ctrl:1
	;;#ASMEND
	;;#ASMSTART
	v_max_f32 v9, v10, v10 row_ror:4 row_mask:0xf bank_mask:0xf bound_ctrl:1
	;;#ASMEND
	;;#ASMSTART
	v_max_f32 v10, v9, v9 row_ror:8 row_mask:0xf bank_mask:0xf bound_ctrl:1
	;;#ASMEND
	;;#ASMSTART
	v_max_f32 v9, v10, v10 row_bcast:15 row_mask:0xf bank_mask:0xf bound_ctrl:1
	;;#ASMEND
	;;#ASMSTART
	v_max_f32 v10, v9, v9 row_bcast:31 row_mask:0xf bank_mask:0xf bound_ctrl:1
	;;#ASMEND
	ds_bpermute_b32 v9, v5, v10
	s_waitcnt lgkmcnt(0)
	v_cmp_eq_f32_e32 vcc, v8, v9
	s_ff1_i32_b64 s18, vcc
	s_cmp_lg_u64 vcc, 0
	s_cselect_b32 s18, s18, 0
	s_and_b64 vcc, exec, s[8:9]
	v_readlane_b32 s18, v7, s18
	s_cbranch_vccz .LBB48_12
; %bb.18:                               ;   in Loop: Header=BB48_13 Depth=1
	s_ashr_i32 s19, s18, 31
	s_lshl_b64 s[20:21], s[18:19], 1
	s_add_u32 s20, s10, s20
	s_addc_u32 s21, s11, s21
	global_load_ushort v7, v4, s[20:21]
	s_waitcnt vmcnt(0)
	v_cvt_f32_f16_e32 v7, v7
	v_sub_f32_e32 v9, v9, v7
	s_branch .LBB48_12
.LBB48_19:
	v_mov_b32_e32 v3, 0
	v_mov_b32_e32 v2, 0
.LBB48_20:
	v_cmp_gt_i32_e32 vcc, s17, v0
	s_and_saveexec_b64 s[0:1], vcc
	s_cbranch_execz .LBB48_23
; %bb.21:
	s_load_dword s2, s[4:5], 0x34
	s_load_dwordx2 s[0:1], s[4:5], 0x20
	s_ashr_i32 s3, s6, 31
	s_load_dword s4, s[4:5], 0x44
	v_mov_b32_e32 v4, s13
	s_waitcnt lgkmcnt(0)
	v_mul_f32_e32 v1, s2, v3
	s_mul_i32 s1, s6, s1
	s_mul_hi_u32 s2, s6, s0
	s_add_i32 s1, s2, s1
	s_mul_i32 s3, s3, s0
	s_add_i32 s5, s1, s3
	s_mul_i32 s2, s6, s0
	s_and_b32 s3, s4, 0xffff
	s_mov_b64 s[0:1], 0
	v_mov_b32_e32 v3, s5
	v_mov_b32_e32 v5, s15
.LBB48_22:                              ; =>This Inner Loop Header: Depth=1
	v_ashrrev_i32_e32 v7, 31, v0
	v_add_co_u32_e32 v6, vcc, s2, v0
	v_addc_co_u32_e32 v7, vcc, v3, v7, vcc
	v_add_u32_e32 v0, s3, v0
	v_cmp_le_i32_e32 vcc, s17, v0
	v_lshlrev_b64 v[6:7], 2, v[6:7]
	s_or_b64 s[0:1], vcc, s[0:1]
	v_add_co_u32_e32 v8, vcc, s12, v6
	v_addc_co_u32_e32 v9, vcc, v4, v7, vcc
	v_add_co_u32_e32 v6, vcc, s14, v6
	v_addc_co_u32_e32 v7, vcc, v5, v7, vcc
	global_store_dword v[8:9], v1, off
	global_store_dword v[6:7], v2, off
	s_andn2_b64 exec, exec, s[0:1]
	s_cbranch_execnz .LBB48_22
.LBB48_23:
	s_endpgm
	.section	.rodata,"a",@progbits
	.p2align	6, 0x0
	.amdhsa_kernel _ZN5aiter20topk_softplus_kernelIf6__halfDv1_fLb0ELi1EEEvPKT_PKT0_PfPimiiif
		.amdhsa_group_segment_fixed_size 0
		.amdhsa_private_segment_fixed_size 0
		.amdhsa_kernarg_size 312
		.amdhsa_user_sgpr_count 6
		.amdhsa_user_sgpr_private_segment_buffer 1
		.amdhsa_user_sgpr_dispatch_ptr 0
		.amdhsa_user_sgpr_queue_ptr 0
		.amdhsa_user_sgpr_kernarg_segment_ptr 1
		.amdhsa_user_sgpr_dispatch_id 0
		.amdhsa_user_sgpr_flat_scratch_init 0
		.amdhsa_user_sgpr_kernarg_preload_length 0
		.amdhsa_user_sgpr_kernarg_preload_offset 0
		.amdhsa_user_sgpr_private_segment_size 0
		.amdhsa_uses_dynamic_stack 0
		.amdhsa_system_sgpr_private_segment_wavefront_offset 0
		.amdhsa_system_sgpr_workgroup_id_x 1
		.amdhsa_system_sgpr_workgroup_id_y 0
		.amdhsa_system_sgpr_workgroup_id_z 0
		.amdhsa_system_sgpr_workgroup_info 0
		.amdhsa_system_vgpr_workitem_id 0
		.amdhsa_next_free_vgpr 12
		.amdhsa_next_free_sgpr 24
		.amdhsa_accum_offset 12
		.amdhsa_reserve_vcc 1
		.amdhsa_reserve_flat_scratch 0
		.amdhsa_float_round_mode_32 0
		.amdhsa_float_round_mode_16_64 0
		.amdhsa_float_denorm_mode_32 3
		.amdhsa_float_denorm_mode_16_64 3
		.amdhsa_dx10_clamp 1
		.amdhsa_ieee_mode 1
		.amdhsa_fp16_overflow 0
		.amdhsa_tg_split 0
		.amdhsa_exception_fp_ieee_invalid_op 0
		.amdhsa_exception_fp_denorm_src 0
		.amdhsa_exception_fp_ieee_div_zero 0
		.amdhsa_exception_fp_ieee_overflow 0
		.amdhsa_exception_fp_ieee_underflow 0
		.amdhsa_exception_fp_ieee_inexact 0
		.amdhsa_exception_int_div_zero 0
	.end_amdhsa_kernel
	.section	.text._ZN5aiter20topk_softplus_kernelIf6__halfDv1_fLb0ELi1EEEvPKT_PKT0_PfPimiiif,"axG",@progbits,_ZN5aiter20topk_softplus_kernelIf6__halfDv1_fLb0ELi1EEEvPKT_PKT0_PfPimiiif,comdat
.Lfunc_end48:
	.size	_ZN5aiter20topk_softplus_kernelIf6__halfDv1_fLb0ELi1EEEvPKT_PKT0_PfPimiiif, .Lfunc_end48-_ZN5aiter20topk_softplus_kernelIf6__halfDv1_fLb0ELi1EEEvPKT_PKT0_PfPimiiif
                                        ; -- End function
	.section	.AMDGPU.csdata,"",@progbits
; Kernel info:
; codeLenInByte = 1192
; NumSgprs: 28
; NumVgprs: 12
; NumAgprs: 0
; TotalNumVgprs: 12
; ScratchSize: 0
; MemoryBound: 0
; FloatMode: 240
; IeeeMode: 1
; LDSByteSize: 0 bytes/workgroup (compile time only)
; SGPRBlocks: 3
; VGPRBlocks: 1
; NumSGPRsForWavesPerEU: 28
; NumVGPRsForWavesPerEU: 12
; AccumOffset: 12
; Occupancy: 8
; WaveLimiterHint : 0
; COMPUTE_PGM_RSRC2:SCRATCH_EN: 0
; COMPUTE_PGM_RSRC2:USER_SGPR: 6
; COMPUTE_PGM_RSRC2:TRAP_HANDLER: 0
; COMPUTE_PGM_RSRC2:TGID_X_EN: 1
; COMPUTE_PGM_RSRC2:TGID_Y_EN: 0
; COMPUTE_PGM_RSRC2:TGID_Z_EN: 0
; COMPUTE_PGM_RSRC2:TIDIG_COMP_CNT: 0
; COMPUTE_PGM_RSRC3_GFX90A:ACCUM_OFFSET: 2
; COMPUTE_PGM_RSRC3_GFX90A:TG_SPLIT: 0
	.section	.text._ZN5aiter20topk_softplus_kernelIf6__halfDv4_fLb1ELi2EEEvPKT_PKT0_PfPimiiif,"axG",@progbits,_ZN5aiter20topk_softplus_kernelIf6__halfDv4_fLb1ELi2EEEvPKT_PKT0_PfPimiiif,comdat
	.protected	_ZN5aiter20topk_softplus_kernelIf6__halfDv4_fLb1ELi2EEEvPKT_PKT0_PfPimiiif ; -- Begin function _ZN5aiter20topk_softplus_kernelIf6__halfDv4_fLb1ELi2EEEvPKT_PKT0_PfPimiiif
	.globl	_ZN5aiter20topk_softplus_kernelIf6__halfDv4_fLb1ELi2EEEvPKT_PKT0_PfPimiiif
	.p2align	8
	.type	_ZN5aiter20topk_softplus_kernelIf6__halfDv4_fLb1ELi2EEEvPKT_PKT0_PfPimiiif,@function
_ZN5aiter20topk_softplus_kernelIf6__halfDv4_fLb1ELi2EEEvPKT_PKT0_PfPimiiif: ; @_ZN5aiter20topk_softplus_kernelIf6__halfDv4_fLb1ELi2EEEvPKT_PKT0_PfPimiiif
; %bb.0:
	s_load_dwordx2 s[16:17], s[4:5], 0x28
	s_load_dwordx8 s[8:15], s[4:5], 0x0
	s_waitcnt lgkmcnt(0)
	s_ashr_i32 s0, s16, 31
	s_lshr_b32 s0, s0, 30
	s_add_i32 s0, s16, s0
	s_mul_i32 s2, s6, s16
	s_ashr_i32 s7, s0, 2
	s_ashr_i32 s3, s2, 31
	v_cmp_gt_i32_e64 s[0:1], s7, v0
	s_and_saveexec_b64 s[18:19], s[0:1]
	s_cbranch_execz .LBB49_3
; %bb.1:
	s_load_dword s22, s[4:5], 0x44
	s_lshl_b64 s[20:21], s[2:3], 2
	v_lshlrev_b32_e32 v1, 4, v0
	s_mov_b32 s24, 0
	v_mov_b32_e32 v4, s24
	s_waitcnt lgkmcnt(0)
	s_and_b32 s22, s22, 0xffff
	s_add_u32 s20, s8, s20
	s_addc_u32 s21, s9, s21
	v_mov_b32_e32 v3, s21
	v_add_co_u32_e32 v2, vcc, s20, v1
	v_addc_co_u32_e32 v3, vcc, 0, v3, vcc
	s_lshl_b32 s23, s22, 4
	v_add_u32_e32 v1, 0, v1
	s_mov_b64 s[20:21], 0
	v_mov_b32_e32 v5, v0
.LBB49_2:                               ; =>This Inner Loop Header: Depth=1
	global_load_dwordx4 v[6:9], v[2:3], off
	v_add_co_u32_e32 v2, vcc, s23, v2
	v_add_u32_e32 v5, s22, v5
	v_addc_co_u32_e32 v3, vcc, v3, v4, vcc
	v_cmp_le_i32_e32 vcc, s7, v5
	s_or_b64 s[20:21], vcc, s[20:21]
	s_waitcnt vmcnt(0)
	ds_write_b128 v1, v[6:9]
	v_add_u32_e32 v1, s23, v1
	s_andn2_b64 exec, exec, s[20:21]
	s_cbranch_execnz .LBB49_2
.LBB49_3:
	s_or_b64 exec, exec, s[18:19]
	v_lshl_add_u32 v2, s7, 2, v0
	v_cmp_gt_i32_e32 vcc, s16, v2
	s_and_saveexec_b64 s[18:19], vcc
	s_cbranch_execz .LBB49_6
; %bb.4:
	s_load_dword s20, s[4:5], 0x44
	s_lshl_b64 s[2:3], s[2:3], 2
	s_add_u32 s8, s8, s2
	s_addc_u32 s21, s9, s3
	s_lshl_b32 s2, s7, 4
	s_waitcnt lgkmcnt(0)
	s_and_b32 s9, s20, 0xffff
	s_add_i32 s2, s2, 0
	v_lshl_add_u32 v1, v0, 2, s2
	s_lshl_b32 s20, s9, 2
	s_mov_b64 s[2:3], 0
	v_mov_b32_e32 v4, s21
.LBB49_5:                               ; =>This Inner Loop Header: Depth=1
	v_ashrrev_i32_e32 v3, 31, v2
	v_lshlrev_b64 v[6:7], 2, v[2:3]
	v_add_co_u32_e32 v6, vcc, s8, v6
	v_addc_co_u32_e32 v7, vcc, v4, v7, vcc
	global_load_dword v3, v[6:7], off
	v_add_u32_e32 v2, s9, v2
	v_cmp_le_i32_e32 vcc, s16, v2
	s_or_b64 s[2:3], vcc, s[2:3]
	s_waitcnt vmcnt(0)
	ds_write_b32 v1, v3
	v_add_u32_e32 v1, s20, v1
	s_andn2_b64 exec, exec, s[2:3]
	s_cbranch_execnz .LBB49_5
.LBB49_6:
	s_or_b64 exec, exec, s[18:19]
	v_cmp_gt_i32_e32 vcc, s16, v0
	v_mov_b32_e32 v1, 0xff800000
	s_waitcnt lgkmcnt(0)
	s_barrier
	s_and_saveexec_b64 s[8:9], vcc
	s_cbranch_execz .LBB49_10
; %bb.7:
	s_load_dword s2, s[4:5], 0x44
	v_lshl_add_u32 v2, v0, 2, 0
	s_mov_b64 s[18:19], 0
	v_mov_b32_e32 v1, 0xff800000
	v_mov_b32_e32 v3, v0
	s_waitcnt lgkmcnt(0)
	s_and_b32 s20, s2, 0xffff
	s_lshl_b32 s21, s20, 2
.LBB49_8:                               ; =>This Inner Loop Header: Depth=1
	ds_read_b32 v4, v2
	v_add_u32_e32 v3, s20, v3
	v_max_f32_e32 v1, v1, v1
	v_cmp_le_i32_e64 s[2:3], s16, v3
	v_add_u32_e32 v2, s21, v2
	s_waitcnt lgkmcnt(0)
	v_max_f32_e32 v4, v4, v4
	s_or_b64 s[18:19], s[2:3], s[18:19]
	v_max_f32_e32 v1, v1, v4
	s_andn2_b64 exec, exec, s[18:19]
	s_cbranch_execnz .LBB49_8
; %bb.9:
	s_or_b64 exec, exec, s[18:19]
.LBB49_10:
	s_or_b64 exec, exec, s[8:9]
	;;#ASMSTART
	v_max_f32 v2, v1, v1 quad_perm:[1,0,3,2] row_mask:0xf bank_mask:0xf bound_ctrl:1
	;;#ASMEND
	;;#ASMSTART
	v_max_f32 v1, v2, v2 quad_perm:[2,3,0,1] row_mask:0xf bank_mask:0xf bound_ctrl:1
	;;#ASMEND
	;;#ASMSTART
	v_max_f32 v2, v1, v1 row_half_mirror row_mask:0xf bank_mask:0xf bound_ctrl:1
	;;#ASMEND
	;;#ASMSTART
	v_max_f32 v1, v2, v2 row_mirror row_mask:0xf bank_mask:0xf bound_ctrl:1
	;;#ASMEND
	;;#ASMSTART
	v_max_f32 v2, v1, v1 row_ror:4 row_mask:0xf bank_mask:0xf bound_ctrl:1
	;;#ASMEND
	;;#ASMSTART
	v_max_f32 v1, v2, v2 row_ror:8 row_mask:0xf bank_mask:0xf bound_ctrl:1
	;;#ASMEND
	;;#ASMSTART
	v_max_f32 v2, v1, v1 row_bcast:15 row_mask:0xf bank_mask:0xf bound_ctrl:1
	;;#ASMEND
	v_mbcnt_lo_u32_b32 v1, -1, 0
	;;#ASMSTART
	v_max_f32 v3, v2, v2 row_bcast:31 row_mask:0xf bank_mask:0xf bound_ctrl:1
	;;#ASMEND
	v_mbcnt_hi_u32_b32 v1, -1, v1
	v_bfrev_b32_e32 v2, 0.5
	v_lshl_or_b32 v1, v1, 2, v2
	ds_bpermute_b32 v3, v1, v3
	v_mov_b32_e32 v2, 0
	s_and_saveexec_b64 s[18:19], vcc
	s_cbranch_execz .LBB49_14
; %bb.11:
	s_load_dword s2, s[4:5], 0x44
	v_lshl_add_u32 v4, v0, 2, 0
	s_mov_b64 s[20:21], 0
	v_mov_b32_e32 v2, 0
	s_mov_b32 s22, 0xc2fc0000
	s_waitcnt lgkmcnt(0)
	s_and_b32 s23, s2, 0xffff
	s_lshl_b32 s24, s23, 2
	v_mov_b32_e32 v5, 0x42800000
	v_mov_b32_e32 v6, 0x1f800000
	;; [unrolled: 1-line block ×3, first 2 shown]
.LBB49_12:                              ; =>This Inner Loop Header: Depth=1
	ds_read_b32 v8, v4
	v_add_u32_e32 v7, s23, v7
	v_cmp_le_i32_e64 s[8:9], s16, v7
	s_or_b64 s[20:21], s[8:9], s[20:21]
	s_waitcnt lgkmcnt(0)
	v_sub_f32_e32 v8, v8, v3
	v_mul_f32_e32 v9, 0x3fb8aa3b, v8
	v_cmp_gt_f32_e64 s[2:3], s22, v9
	v_cndmask_b32_e64 v9, 0, v5, s[2:3]
	v_fmac_f32_e32 v9, 0x3fb8aa3b, v8
	v_exp_f32_e32 v8, v9
	v_cndmask_b32_e64 v9, 1.0, v6, s[2:3]
	v_mul_f32_e32 v10, v8, v9
	v_fmac_f32_e32 v2, v8, v9
	ds_write_b32 v4, v10
	v_add_u32_e32 v4, s24, v4
	s_andn2_b64 exec, exec, s[20:21]
	s_cbranch_execnz .LBB49_12
; %bb.13:
	s_or_b64 exec, exec, s[20:21]
.LBB49_14:
	s_or_b64 exec, exec, s[18:19]
	s_waitcnt lgkmcnt(0)
	v_mov_b32_dpp v3, v2 quad_perm:[1,0,3,2] row_mask:0xf bank_mask:0xf
	v_add_f32_e32 v2, v2, v3
	s_nop 1
	v_mov_b32_dpp v3, v2 quad_perm:[2,3,0,1] row_mask:0xf bank_mask:0xf
	v_add_f32_e32 v2, v2, v3
	s_nop 1
	v_mov_b32_dpp v3, v2 row_half_mirror row_mask:0xf bank_mask:0xf
	v_add_f32_e32 v2, v2, v3
	s_nop 1
	v_mov_b32_dpp v3, v2 row_mirror row_mask:0xf bank_mask:0xf
	v_add_f32_e32 v2, v2, v3
	s_nop 1
	v_mov_b32_dpp v3, v2 row_bcast:15 row_mask:0xf bank_mask:0xf
	v_add_f32_e32 v2, v2, v3
	s_nop 1
	v_mov_b32_dpp v3, v2 row_bcast:31 row_mask:0xf bank_mask:0xf
	v_add_f32_e32 v2, v2, v3
	ds_bpermute_b32 v2, v1, v2
	s_and_saveexec_b64 s[8:9], vcc
	s_cbranch_execz .LBB49_19
; %bb.15:
	s_load_dword s20, s[4:5], 0x44
	s_waitcnt lgkmcnt(0)
	v_rcp_f32_e32 v4, v2
	s_cmp_lg_u64 s[10:11], 0
	s_cselect_b64 s[2:3], -1, 0
	v_cndmask_b32_e64 v2, 0, 1, s[2:3]
	s_and_b32 s20, s20, 0xffff
	s_mov_b64 s[18:19], 0
	v_lshl_add_u32 v5, v0, 2, 0
	s_lshl_b32 s21, s20, 2
	v_cmp_ne_u32_e64 s[2:3], 1, v2
	v_mov_b32_e32 v2, v0
	s_branch .LBB49_17
.LBB49_16:                              ;   in Loop: Header=BB49_17 Depth=1
	v_add_u32_e32 v2, s20, v2
	v_cmp_le_i32_e32 vcc, s16, v2
	s_or_b64 s[18:19], vcc, s[18:19]
	v_add_u32_e32 v5, s21, v5
	s_andn2_b64 exec, exec, s[18:19]
	s_cbranch_execz .LBB49_19
.LBB49_17:                              ; =>This Inner Loop Header: Depth=1
	ds_read_b32 v3, v5
	s_and_b64 vcc, exec, s[2:3]
	s_waitcnt lgkmcnt(0)
	v_mul_f32_e32 v6, v4, v3
	ds_write_b32 v5, v6
	s_cbranch_vccnz .LBB49_16
; %bb.18:                               ;   in Loop: Header=BB49_17 Depth=1
	v_ashrrev_i32_e32 v3, 31, v2
	v_lshlrev_b64 v[8:9], 1, v[2:3]
	v_mov_b32_e32 v3, s11
	v_add_co_u32_e32 v8, vcc, s10, v8
	v_addc_co_u32_e32 v9, vcc, v3, v9, vcc
	global_load_ushort v3, v[8:9], off
	s_waitcnt vmcnt(0)
	v_cvt_f32_f16_e32 v3, v3
	v_add_f32_e32 v3, v6, v3
	ds_write_b32 v5, v3
	s_branch .LBB49_16
.LBB49_19:
	s_or_b64 exec, exec, s[8:9]
	s_cmp_lt_i32 s17, 1
	v_mov_b32_e32 v3, 0
	s_waitcnt lgkmcnt(0)
	s_barrier
	s_cbranch_scc1 .LBB49_28
; %bb.20:
	s_add_u32 s2, s4, 56
	s_addc_u32 s3, s5, 0
	s_cmp_lg_u64 s[10:11], 0
	s_cselect_b64 s[8:9], -1, 0
	v_lshlrev_b32_e32 v5, 2, v0
	v_lshl_add_u32 v6, v0, 4, 0
	s_mov_b32 s16, 0
	v_mov_b32_e32 v3, 0
	v_mov_b32_e32 v7, 0
	;; [unrolled: 1-line block ×5, first 2 shown]
	s_branch .LBB49_22
.LBB49_21:                              ;   in Loop: Header=BB49_22 Depth=1
	s_lshl_b32 s19, s18, 2
	s_add_i32 s19, s19, 0
	v_mov_b32_e32 v9, s19
	ds_write_b32 v9, v8
	v_mov_b32_e32 v9, s18
	v_cmp_eq_u32_e32 vcc, s16, v0
	s_add_i32 s16, s16, 1
	v_cndmask_b32_e32 v2, v2, v9, vcc
	v_cndmask_b32_e32 v3, v3, v11, vcc
	s_cmp_eq_u32 s16, s17
	v_add_f32_e32 v4, v4, v11
	s_cbranch_scc1 .LBB49_29
.LBB49_22:                              ; =>This Loop Header: Depth=1
                                        ;     Child Loop BB49_24 Depth 2
	v_mov_b32_e32 v9, s16
	v_mov_b32_e32 v10, 0xff800000
	s_and_saveexec_b64 s[18:19], s[0:1]
	s_cbranch_execz .LBB49_26
; %bb.23:                               ;   in Loop: Header=BB49_22 Depth=1
	s_load_dword s22, s[2:3], 0xc
	s_mov_b64 s[20:21], 0
	v_mov_b32_e32 v9, s16
	v_mov_b32_e32 v10, 0xff800000
	;; [unrolled: 1-line block ×3, first 2 shown]
	s_waitcnt lgkmcnt(0)
	s_and_b32 s22, s22, 0xffff
	s_lshl_b32 s23, s22, 2
	s_lshl_b32 s24, s22, 4
	v_mov_b32_e32 v12, v5
	v_mov_b32_e32 v13, v0
.LBB49_24:                              ;   Parent Loop BB49_22 Depth=1
                                        ; =>  This Inner Loop Header: Depth=2
	ds_read_b128 v[14:17], v11
	v_add_u32_e32 v13, s22, v13
	v_cmp_le_i32_e32 vcc, s7, v13
	s_or_b64 s[20:21], vcc, s[20:21]
	v_add_u32_e32 v18, 1, v12
	s_waitcnt lgkmcnt(0)
	v_cmp_gt_f32_e32 vcc, v14, v10
	v_cndmask_b32_e32 v10, v10, v14, vcc
	v_cndmask_b32_e32 v9, v9, v12, vcc
	v_cmp_gt_f32_e32 vcc, v15, v10
	v_cndmask_b32_e32 v10, v10, v15, vcc
	v_cndmask_b32_e32 v9, v9, v18, vcc
	v_cmp_gt_f32_e32 vcc, v16, v10
	v_add_u32_e32 v19, 2, v12
	v_cndmask_b32_e32 v10, v10, v16, vcc
	v_add_u32_e32 v20, 3, v12
	v_cndmask_b32_e32 v9, v9, v19, vcc
	v_cmp_gt_f32_e32 vcc, v17, v10
	v_add_u32_e32 v11, s24, v11
	v_add_u32_e32 v12, s23, v12
	v_cndmask_b32_e32 v10, v10, v17, vcc
	v_cndmask_b32_e32 v9, v9, v20, vcc
	s_andn2_b64 exec, exec, s[20:21]
	s_cbranch_execnz .LBB49_24
; %bb.25:                               ;   in Loop: Header=BB49_22 Depth=1
	s_or_b64 exec, exec, s[20:21]
.LBB49_26:                              ;   in Loop: Header=BB49_22 Depth=1
	s_or_b64 exec, exec, s[18:19]
	;;#ASMSTART
	v_max_f32 v11, v10, v10 quad_perm:[1,0,3,2] row_mask:0xf bank_mask:0xf bound_ctrl:1
	;;#ASMEND
	;;#ASMSTART
	v_max_f32 v12, v11, v11 quad_perm:[2,3,0,1] row_mask:0xf bank_mask:0xf bound_ctrl:1
	;;#ASMEND
	;;#ASMSTART
	v_max_f32 v11, v12, v12 row_half_mirror row_mask:0xf bank_mask:0xf bound_ctrl:1
	;;#ASMEND
	;;#ASMSTART
	v_max_f32 v12, v11, v11 row_mirror row_mask:0xf bank_mask:0xf bound_ctrl:1
	;;#ASMEND
	;;#ASMSTART
	v_max_f32 v11, v12, v12 row_ror:4 row_mask:0xf bank_mask:0xf bound_ctrl:1
	;;#ASMEND
	;;#ASMSTART
	v_max_f32 v12, v11, v11 row_ror:8 row_mask:0xf bank_mask:0xf bound_ctrl:1
	;;#ASMEND
	;;#ASMSTART
	v_max_f32 v11, v12, v12 row_bcast:15 row_mask:0xf bank_mask:0xf bound_ctrl:1
	;;#ASMEND
	;;#ASMSTART
	v_max_f32 v12, v11, v11 row_bcast:31 row_mask:0xf bank_mask:0xf bound_ctrl:1
	;;#ASMEND
	ds_bpermute_b32 v11, v1, v12
	s_waitcnt lgkmcnt(0)
	v_cmp_eq_f32_e32 vcc, v10, v11
	s_ff1_i32_b64 s18, vcc
	s_cmp_lg_u64 vcc, 0
	s_cselect_b32 s18, s18, 0
	s_and_b64 vcc, exec, s[8:9]
	v_readlane_b32 s18, v9, s18
	s_cbranch_vccz .LBB49_21
; %bb.27:                               ;   in Loop: Header=BB49_22 Depth=1
	s_ashr_i32 s19, s18, 31
	s_lshl_b64 s[20:21], s[18:19], 1
	s_add_u32 s20, s10, s20
	s_addc_u32 s21, s11, s21
	global_load_ushort v9, v7, s[20:21]
	s_waitcnt vmcnt(0)
	v_cvt_f32_f16_e32 v9, v9
	v_sub_f32_e32 v11, v11, v9
	s_branch .LBB49_21
.LBB49_28:
	v_mov_b32_e32 v2, 0
	v_mov_b32_e32 v4, 0
.LBB49_29:
	v_cmp_gt_i32_e32 vcc, s17, v0
	s_and_saveexec_b64 s[0:1], vcc
	s_cbranch_execz .LBB49_32
; %bb.30:
	s_load_dword s2, s[4:5], 0x34
	v_max_f32_e32 v1, v4, v4
	v_max_f32_e32 v1, 0x1e3ce508, v1
	s_load_dword s3, s[4:5], 0x44
	s_waitcnt lgkmcnt(0)
	v_div_scale_f32 v4, s[0:1], v1, v1, s2
	s_load_dwordx2 s[0:1], s[4:5], 0x20
	v_rcp_f32_e32 v5, v4
	v_div_scale_f32 v6, vcc, s2, v1, s2
	s_and_b32 s3, s3, 0xffff
	v_fma_f32 v7, -v4, v5, 1.0
	v_fmac_f32_e32 v5, v7, v5
	v_mul_f32_e32 v7, v6, v5
	v_fma_f32 v8, -v4, v7, v6
	v_fmac_f32_e32 v7, v8, v5
	v_fma_f32 v4, -v4, v7, v6
	v_div_fmas_f32 v4, v4, v5, v7
	v_div_fixup_f32 v1, v4, v1, s2
	s_ashr_i32 s2, s6, 31
	s_waitcnt lgkmcnt(0)
	s_mul_i32 s1, s6, s1
	s_mul_hi_u32 s4, s6, s0
	s_add_i32 s1, s4, s1
	s_mul_i32 s2, s2, s0
	s_add_i32 s4, s1, s2
	v_mul_f32_e32 v1, v3, v1
	s_mul_i32 s2, s6, s0
	s_mov_b64 s[0:1], 0
	v_mov_b32_e32 v3, s4
	v_mov_b32_e32 v4, s13
	;; [unrolled: 1-line block ×3, first 2 shown]
.LBB49_31:                              ; =>This Inner Loop Header: Depth=1
	v_ashrrev_i32_e32 v7, 31, v0
	v_add_co_u32_e32 v6, vcc, s2, v0
	v_addc_co_u32_e32 v7, vcc, v3, v7, vcc
	v_add_u32_e32 v0, s3, v0
	v_cmp_le_i32_e32 vcc, s17, v0
	v_lshlrev_b64 v[6:7], 2, v[6:7]
	s_or_b64 s[0:1], vcc, s[0:1]
	v_add_co_u32_e32 v8, vcc, s12, v6
	v_addc_co_u32_e32 v9, vcc, v4, v7, vcc
	v_add_co_u32_e32 v6, vcc, s14, v6
	v_addc_co_u32_e32 v7, vcc, v5, v7, vcc
	global_store_dword v[8:9], v1, off
	global_store_dword v[6:7], v2, off
	s_andn2_b64 exec, exec, s[0:1]
	s_cbranch_execnz .LBB49_31
.LBB49_32:
	s_endpgm
	.section	.rodata,"a",@progbits
	.p2align	6, 0x0
	.amdhsa_kernel _ZN5aiter20topk_softplus_kernelIf6__halfDv4_fLb1ELi2EEEvPKT_PKT0_PfPimiiif
		.amdhsa_group_segment_fixed_size 0
		.amdhsa_private_segment_fixed_size 0
		.amdhsa_kernarg_size 312
		.amdhsa_user_sgpr_count 6
		.amdhsa_user_sgpr_private_segment_buffer 1
		.amdhsa_user_sgpr_dispatch_ptr 0
		.amdhsa_user_sgpr_queue_ptr 0
		.amdhsa_user_sgpr_kernarg_segment_ptr 1
		.amdhsa_user_sgpr_dispatch_id 0
		.amdhsa_user_sgpr_flat_scratch_init 0
		.amdhsa_user_sgpr_kernarg_preload_length 0
		.amdhsa_user_sgpr_kernarg_preload_offset 0
		.amdhsa_user_sgpr_private_segment_size 0
		.amdhsa_uses_dynamic_stack 0
		.amdhsa_system_sgpr_private_segment_wavefront_offset 0
		.amdhsa_system_sgpr_workgroup_id_x 1
		.amdhsa_system_sgpr_workgroup_id_y 0
		.amdhsa_system_sgpr_workgroup_id_z 0
		.amdhsa_system_sgpr_workgroup_info 0
		.amdhsa_system_vgpr_workitem_id 0
		.amdhsa_next_free_vgpr 21
		.amdhsa_next_free_sgpr 25
		.amdhsa_accum_offset 24
		.amdhsa_reserve_vcc 1
		.amdhsa_reserve_flat_scratch 0
		.amdhsa_float_round_mode_32 0
		.amdhsa_float_round_mode_16_64 0
		.amdhsa_float_denorm_mode_32 3
		.amdhsa_float_denorm_mode_16_64 3
		.amdhsa_dx10_clamp 1
		.amdhsa_ieee_mode 1
		.amdhsa_fp16_overflow 0
		.amdhsa_tg_split 0
		.amdhsa_exception_fp_ieee_invalid_op 0
		.amdhsa_exception_fp_denorm_src 0
		.amdhsa_exception_fp_ieee_div_zero 0
		.amdhsa_exception_fp_ieee_overflow 0
		.amdhsa_exception_fp_ieee_underflow 0
		.amdhsa_exception_fp_ieee_inexact 0
		.amdhsa_exception_int_div_zero 0
	.end_amdhsa_kernel
	.section	.text._ZN5aiter20topk_softplus_kernelIf6__halfDv4_fLb1ELi2EEEvPKT_PKT0_PfPimiiif,"axG",@progbits,_ZN5aiter20topk_softplus_kernelIf6__halfDv4_fLb1ELi2EEEvPKT_PKT0_PfPimiiif,comdat
.Lfunc_end49:
	.size	_ZN5aiter20topk_softplus_kernelIf6__halfDv4_fLb1ELi2EEEvPKT_PKT0_PfPimiiif, .Lfunc_end49-_ZN5aiter20topk_softplus_kernelIf6__halfDv4_fLb1ELi2EEEvPKT_PKT0_PfPimiiif
                                        ; -- End function
	.section	.AMDGPU.csdata,"",@progbits
; Kernel info:
; codeLenInByte = 1796
; NumSgprs: 29
; NumVgprs: 21
; NumAgprs: 0
; TotalNumVgprs: 21
; ScratchSize: 0
; MemoryBound: 0
; FloatMode: 240
; IeeeMode: 1
; LDSByteSize: 0 bytes/workgroup (compile time only)
; SGPRBlocks: 3
; VGPRBlocks: 2
; NumSGPRsForWavesPerEU: 29
; NumVGPRsForWavesPerEU: 21
; AccumOffset: 24
; Occupancy: 8
; WaveLimiterHint : 0
; COMPUTE_PGM_RSRC2:SCRATCH_EN: 0
; COMPUTE_PGM_RSRC2:USER_SGPR: 6
; COMPUTE_PGM_RSRC2:TRAP_HANDLER: 0
; COMPUTE_PGM_RSRC2:TGID_X_EN: 1
; COMPUTE_PGM_RSRC2:TGID_Y_EN: 0
; COMPUTE_PGM_RSRC2:TGID_Z_EN: 0
; COMPUTE_PGM_RSRC2:TIDIG_COMP_CNT: 0
; COMPUTE_PGM_RSRC3_GFX90A:ACCUM_OFFSET: 5
; COMPUTE_PGM_RSRC3_GFX90A:TG_SPLIT: 0
	.section	.text._ZN5aiter20topk_softplus_kernelIf6__halfDv4_fLb0ELi2EEEvPKT_PKT0_PfPimiiif,"axG",@progbits,_ZN5aiter20topk_softplus_kernelIf6__halfDv4_fLb0ELi2EEEvPKT_PKT0_PfPimiiif,comdat
	.protected	_ZN5aiter20topk_softplus_kernelIf6__halfDv4_fLb0ELi2EEEvPKT_PKT0_PfPimiiif ; -- Begin function _ZN5aiter20topk_softplus_kernelIf6__halfDv4_fLb0ELi2EEEvPKT_PKT0_PfPimiiif
	.globl	_ZN5aiter20topk_softplus_kernelIf6__halfDv4_fLb0ELi2EEEvPKT_PKT0_PfPimiiif
	.p2align	8
	.type	_ZN5aiter20topk_softplus_kernelIf6__halfDv4_fLb0ELi2EEEvPKT_PKT0_PfPimiiif,@function
_ZN5aiter20topk_softplus_kernelIf6__halfDv4_fLb0ELi2EEEvPKT_PKT0_PfPimiiif: ; @_ZN5aiter20topk_softplus_kernelIf6__halfDv4_fLb0ELi2EEEvPKT_PKT0_PfPimiiif
; %bb.0:
	s_load_dwordx2 s[16:17], s[4:5], 0x28
	s_load_dwordx8 s[8:15], s[4:5], 0x0
	s_waitcnt lgkmcnt(0)
	s_ashr_i32 s0, s16, 31
	s_lshr_b32 s0, s0, 30
	s_add_i32 s0, s16, s0
	s_mul_i32 s2, s6, s16
	s_ashr_i32 s7, s0, 2
	s_ashr_i32 s3, s2, 31
	v_cmp_gt_i32_e64 s[0:1], s7, v0
	s_and_saveexec_b64 s[18:19], s[0:1]
	s_cbranch_execz .LBB50_3
; %bb.1:
	s_load_dword s22, s[4:5], 0x44
	s_lshl_b64 s[20:21], s[2:3], 2
	v_lshlrev_b32_e32 v1, 4, v0
	s_mov_b32 s24, 0
	v_mov_b32_e32 v4, s24
	s_waitcnt lgkmcnt(0)
	s_and_b32 s22, s22, 0xffff
	s_add_u32 s20, s8, s20
	s_addc_u32 s21, s9, s21
	v_mov_b32_e32 v3, s21
	v_add_co_u32_e32 v2, vcc, s20, v1
	v_addc_co_u32_e32 v3, vcc, 0, v3, vcc
	s_lshl_b32 s23, s22, 4
	v_add_u32_e32 v1, 0, v1
	s_mov_b64 s[20:21], 0
	v_mov_b32_e32 v5, v0
.LBB50_2:                               ; =>This Inner Loop Header: Depth=1
	global_load_dwordx4 v[6:9], v[2:3], off
	v_add_co_u32_e32 v2, vcc, s23, v2
	v_add_u32_e32 v5, s22, v5
	v_addc_co_u32_e32 v3, vcc, v3, v4, vcc
	v_cmp_le_i32_e32 vcc, s7, v5
	s_or_b64 s[20:21], vcc, s[20:21]
	s_waitcnt vmcnt(0)
	ds_write_b128 v1, v[6:9]
	v_add_u32_e32 v1, s23, v1
	s_andn2_b64 exec, exec, s[20:21]
	s_cbranch_execnz .LBB50_2
.LBB50_3:
	s_or_b64 exec, exec, s[18:19]
	v_lshl_add_u32 v2, s7, 2, v0
	v_cmp_gt_i32_e32 vcc, s16, v2
	s_and_saveexec_b64 s[18:19], vcc
	s_cbranch_execz .LBB50_6
; %bb.4:
	s_load_dword s20, s[4:5], 0x44
	s_lshl_b64 s[2:3], s[2:3], 2
	s_add_u32 s8, s8, s2
	s_addc_u32 s21, s9, s3
	s_lshl_b32 s2, s7, 4
	s_waitcnt lgkmcnt(0)
	s_and_b32 s9, s20, 0xffff
	s_add_i32 s2, s2, 0
	v_lshl_add_u32 v1, v0, 2, s2
	s_lshl_b32 s20, s9, 2
	s_mov_b64 s[2:3], 0
	v_mov_b32_e32 v4, s21
.LBB50_5:                               ; =>This Inner Loop Header: Depth=1
	v_ashrrev_i32_e32 v3, 31, v2
	v_lshlrev_b64 v[6:7], 2, v[2:3]
	v_add_co_u32_e32 v6, vcc, s8, v6
	v_addc_co_u32_e32 v7, vcc, v4, v7, vcc
	global_load_dword v3, v[6:7], off
	v_add_u32_e32 v2, s9, v2
	v_cmp_le_i32_e32 vcc, s16, v2
	s_or_b64 s[2:3], vcc, s[2:3]
	s_waitcnt vmcnt(0)
	ds_write_b32 v1, v3
	v_add_u32_e32 v1, s20, v1
	s_andn2_b64 exec, exec, s[2:3]
	s_cbranch_execnz .LBB50_5
.LBB50_6:
	s_or_b64 exec, exec, s[18:19]
	v_cmp_gt_i32_e32 vcc, s16, v0
	v_mov_b32_e32 v1, 0xff800000
	s_waitcnt lgkmcnt(0)
	s_barrier
	s_and_saveexec_b64 s[8:9], vcc
	s_cbranch_execz .LBB50_10
; %bb.7:
	s_load_dword s2, s[4:5], 0x44
	v_lshl_add_u32 v2, v0, 2, 0
	s_mov_b64 s[18:19], 0
	v_mov_b32_e32 v1, 0xff800000
	v_mov_b32_e32 v3, v0
	s_waitcnt lgkmcnt(0)
	s_and_b32 s20, s2, 0xffff
	s_lshl_b32 s21, s20, 2
.LBB50_8:                               ; =>This Inner Loop Header: Depth=1
	ds_read_b32 v4, v2
	v_add_u32_e32 v3, s20, v3
	v_max_f32_e32 v1, v1, v1
	v_cmp_le_i32_e64 s[2:3], s16, v3
	v_add_u32_e32 v2, s21, v2
	s_waitcnt lgkmcnt(0)
	v_max_f32_e32 v4, v4, v4
	s_or_b64 s[18:19], s[2:3], s[18:19]
	v_max_f32_e32 v1, v1, v4
	s_andn2_b64 exec, exec, s[18:19]
	s_cbranch_execnz .LBB50_8
; %bb.9:
	s_or_b64 exec, exec, s[18:19]
.LBB50_10:
	s_or_b64 exec, exec, s[8:9]
	;;#ASMSTART
	v_max_f32 v2, v1, v1 quad_perm:[1,0,3,2] row_mask:0xf bank_mask:0xf bound_ctrl:1
	;;#ASMEND
	;;#ASMSTART
	v_max_f32 v1, v2, v2 quad_perm:[2,3,0,1] row_mask:0xf bank_mask:0xf bound_ctrl:1
	;;#ASMEND
	;;#ASMSTART
	v_max_f32 v2, v1, v1 row_half_mirror row_mask:0xf bank_mask:0xf bound_ctrl:1
	;;#ASMEND
	;;#ASMSTART
	v_max_f32 v1, v2, v2 row_mirror row_mask:0xf bank_mask:0xf bound_ctrl:1
	;;#ASMEND
	;;#ASMSTART
	v_max_f32 v2, v1, v1 row_ror:4 row_mask:0xf bank_mask:0xf bound_ctrl:1
	;;#ASMEND
	;;#ASMSTART
	v_max_f32 v1, v2, v2 row_ror:8 row_mask:0xf bank_mask:0xf bound_ctrl:1
	;;#ASMEND
	;;#ASMSTART
	v_max_f32 v2, v1, v1 row_bcast:15 row_mask:0xf bank_mask:0xf bound_ctrl:1
	;;#ASMEND
	v_mbcnt_lo_u32_b32 v1, -1, 0
	;;#ASMSTART
	v_max_f32 v3, v2, v2 row_bcast:31 row_mask:0xf bank_mask:0xf bound_ctrl:1
	;;#ASMEND
	v_mbcnt_hi_u32_b32 v1, -1, v1
	v_bfrev_b32_e32 v2, 0.5
	v_lshl_or_b32 v1, v1, 2, v2
	ds_bpermute_b32 v3, v1, v3
	v_mov_b32_e32 v2, 0
	s_and_saveexec_b64 s[18:19], vcc
	s_cbranch_execz .LBB50_14
; %bb.11:
	s_load_dword s2, s[4:5], 0x44
	v_lshl_add_u32 v4, v0, 2, 0
	s_mov_b64 s[20:21], 0
	v_mov_b32_e32 v2, 0
	s_mov_b32 s22, 0xc2fc0000
	s_waitcnt lgkmcnt(0)
	s_and_b32 s23, s2, 0xffff
	s_lshl_b32 s24, s23, 2
	v_mov_b32_e32 v5, 0x42800000
	v_mov_b32_e32 v6, 0x1f800000
	;; [unrolled: 1-line block ×3, first 2 shown]
.LBB50_12:                              ; =>This Inner Loop Header: Depth=1
	ds_read_b32 v8, v4
	v_add_u32_e32 v7, s23, v7
	v_cmp_le_i32_e64 s[8:9], s16, v7
	s_or_b64 s[20:21], s[8:9], s[20:21]
	s_waitcnt lgkmcnt(0)
	v_sub_f32_e32 v8, v8, v3
	v_mul_f32_e32 v9, 0x3fb8aa3b, v8
	v_cmp_gt_f32_e64 s[2:3], s22, v9
	v_cndmask_b32_e64 v9, 0, v5, s[2:3]
	v_fmac_f32_e32 v9, 0x3fb8aa3b, v8
	v_exp_f32_e32 v8, v9
	v_cndmask_b32_e64 v9, 1.0, v6, s[2:3]
	v_mul_f32_e32 v10, v8, v9
	v_fmac_f32_e32 v2, v8, v9
	ds_write_b32 v4, v10
	v_add_u32_e32 v4, s24, v4
	s_andn2_b64 exec, exec, s[20:21]
	s_cbranch_execnz .LBB50_12
; %bb.13:
	s_or_b64 exec, exec, s[20:21]
.LBB50_14:
	s_or_b64 exec, exec, s[18:19]
	s_waitcnt lgkmcnt(0)
	v_mov_b32_dpp v3, v2 quad_perm:[1,0,3,2] row_mask:0xf bank_mask:0xf
	v_add_f32_e32 v2, v2, v3
	s_nop 1
	v_mov_b32_dpp v3, v2 quad_perm:[2,3,0,1] row_mask:0xf bank_mask:0xf
	v_add_f32_e32 v2, v2, v3
	s_nop 1
	v_mov_b32_dpp v3, v2 row_half_mirror row_mask:0xf bank_mask:0xf
	v_add_f32_e32 v2, v2, v3
	s_nop 1
	v_mov_b32_dpp v3, v2 row_mirror row_mask:0xf bank_mask:0xf
	v_add_f32_e32 v2, v2, v3
	s_nop 1
	v_mov_b32_dpp v3, v2 row_bcast:15 row_mask:0xf bank_mask:0xf
	v_add_f32_e32 v2, v2, v3
	s_nop 1
	v_mov_b32_dpp v3, v2 row_bcast:31 row_mask:0xf bank_mask:0xf
	v_add_f32_e32 v2, v2, v3
	ds_bpermute_b32 v2, v1, v2
	s_and_saveexec_b64 s[8:9], vcc
	s_cbranch_execz .LBB50_19
; %bb.15:
	s_load_dword s20, s[4:5], 0x44
	s_waitcnt lgkmcnt(0)
	v_rcp_f32_e32 v4, v2
	s_cmp_lg_u64 s[10:11], 0
	s_cselect_b64 s[2:3], -1, 0
	v_cndmask_b32_e64 v2, 0, 1, s[2:3]
	s_and_b32 s20, s20, 0xffff
	s_mov_b64 s[18:19], 0
	v_lshl_add_u32 v5, v0, 2, 0
	s_lshl_b32 s21, s20, 2
	v_cmp_ne_u32_e64 s[2:3], 1, v2
	v_mov_b32_e32 v2, v0
	s_branch .LBB50_17
.LBB50_16:                              ;   in Loop: Header=BB50_17 Depth=1
	v_add_u32_e32 v2, s20, v2
	v_cmp_le_i32_e32 vcc, s16, v2
	s_or_b64 s[18:19], vcc, s[18:19]
	v_add_u32_e32 v5, s21, v5
	s_andn2_b64 exec, exec, s[18:19]
	s_cbranch_execz .LBB50_19
.LBB50_17:                              ; =>This Inner Loop Header: Depth=1
	ds_read_b32 v3, v5
	s_and_b64 vcc, exec, s[2:3]
	s_waitcnt lgkmcnt(0)
	v_mul_f32_e32 v6, v4, v3
	ds_write_b32 v5, v6
	s_cbranch_vccnz .LBB50_16
; %bb.18:                               ;   in Loop: Header=BB50_17 Depth=1
	v_ashrrev_i32_e32 v3, 31, v2
	v_lshlrev_b64 v[8:9], 1, v[2:3]
	v_mov_b32_e32 v3, s11
	v_add_co_u32_e32 v8, vcc, s10, v8
	v_addc_co_u32_e32 v9, vcc, v3, v9, vcc
	global_load_ushort v3, v[8:9], off
	s_waitcnt vmcnt(0)
	v_cvt_f32_f16_e32 v3, v3
	v_add_f32_e32 v3, v6, v3
	ds_write_b32 v5, v3
	s_branch .LBB50_16
.LBB50_19:
	s_or_b64 exec, exec, s[8:9]
	s_cmp_lt_i32 s17, 1
	s_waitcnt lgkmcnt(0)
	s_barrier
	s_cbranch_scc1 .LBB50_28
; %bb.20:
	s_add_u32 s2, s4, 56
	s_addc_u32 s3, s5, 0
	s_cmp_lg_u64 s[10:11], 0
	s_cselect_b64 s[8:9], -1, 0
	v_lshlrev_b32_e32 v4, 2, v0
	s_mov_b32 s16, 0
	v_mov_b32_e32 v2, 0
	v_lshl_add_u32 v5, v0, 4, 0
	v_mov_b32_e32 v6, 0
	v_mov_b32_e32 v7, 0xff800000
	;; [unrolled: 1-line block ×3, first 2 shown]
	s_branch .LBB50_22
.LBB50_21:                              ;   in Loop: Header=BB50_22 Depth=1
	s_lshl_b32 s19, s18, 2
	s_add_i32 s19, s19, 0
	v_mov_b32_e32 v8, s19
	ds_write_b32 v8, v7
	v_mov_b32_e32 v8, s18
	v_cmp_eq_u32_e32 vcc, s16, v0
	s_add_i32 s16, s16, 1
	v_cndmask_b32_e32 v2, v2, v8, vcc
	s_cmp_eq_u32 s16, s17
	v_cndmask_b32_e32 v3, v3, v10, vcc
	s_cbranch_scc1 .LBB50_29
.LBB50_22:                              ; =>This Loop Header: Depth=1
                                        ;     Child Loop BB50_24 Depth 2
	v_mov_b32_e32 v8, s16
	v_mov_b32_e32 v9, 0xff800000
	s_and_saveexec_b64 s[18:19], s[0:1]
	s_cbranch_execz .LBB50_26
; %bb.23:                               ;   in Loop: Header=BB50_22 Depth=1
	s_load_dword s22, s[2:3], 0xc
	s_mov_b64 s[20:21], 0
	v_mov_b32_e32 v8, s16
	v_mov_b32_e32 v9, 0xff800000
	;; [unrolled: 1-line block ×3, first 2 shown]
	s_waitcnt lgkmcnt(0)
	s_and_b32 s22, s22, 0xffff
	s_lshl_b32 s23, s22, 2
	s_lshl_b32 s24, s22, 4
	v_mov_b32_e32 v11, v4
	v_mov_b32_e32 v12, v0
.LBB50_24:                              ;   Parent Loop BB50_22 Depth=1
                                        ; =>  This Inner Loop Header: Depth=2
	ds_read_b128 v[14:17], v10
	v_add_u32_e32 v12, s22, v12
	v_cmp_le_i32_e32 vcc, s7, v12
	s_or_b64 s[20:21], vcc, s[20:21]
	v_add_u32_e32 v13, 1, v11
	s_waitcnt lgkmcnt(0)
	v_cmp_gt_f32_e32 vcc, v14, v9
	v_cndmask_b32_e32 v9, v9, v14, vcc
	v_cndmask_b32_e32 v8, v8, v11, vcc
	v_cmp_gt_f32_e32 vcc, v15, v9
	v_cndmask_b32_e32 v9, v9, v15, vcc
	v_cndmask_b32_e32 v8, v8, v13, vcc
	v_cmp_gt_f32_e32 vcc, v16, v9
	v_add_u32_e32 v18, 2, v11
	v_cndmask_b32_e32 v9, v9, v16, vcc
	v_add_u32_e32 v19, 3, v11
	v_cndmask_b32_e32 v8, v8, v18, vcc
	v_cmp_gt_f32_e32 vcc, v17, v9
	v_add_u32_e32 v10, s24, v10
	v_add_u32_e32 v11, s23, v11
	v_cndmask_b32_e32 v9, v9, v17, vcc
	v_cndmask_b32_e32 v8, v8, v19, vcc
	s_andn2_b64 exec, exec, s[20:21]
	s_cbranch_execnz .LBB50_24
; %bb.25:                               ;   in Loop: Header=BB50_22 Depth=1
	s_or_b64 exec, exec, s[20:21]
.LBB50_26:                              ;   in Loop: Header=BB50_22 Depth=1
	s_or_b64 exec, exec, s[18:19]
	;;#ASMSTART
	v_max_f32 v10, v9, v9 quad_perm:[1,0,3,2] row_mask:0xf bank_mask:0xf bound_ctrl:1
	;;#ASMEND
	;;#ASMSTART
	v_max_f32 v11, v10, v10 quad_perm:[2,3,0,1] row_mask:0xf bank_mask:0xf bound_ctrl:1
	;;#ASMEND
	;;#ASMSTART
	v_max_f32 v10, v11, v11 row_half_mirror row_mask:0xf bank_mask:0xf bound_ctrl:1
	;;#ASMEND
	;;#ASMSTART
	v_max_f32 v11, v10, v10 row_mirror row_mask:0xf bank_mask:0xf bound_ctrl:1
	;;#ASMEND
	;;#ASMSTART
	v_max_f32 v10, v11, v11 row_ror:4 row_mask:0xf bank_mask:0xf bound_ctrl:1
	;;#ASMEND
	;;#ASMSTART
	v_max_f32 v11, v10, v10 row_ror:8 row_mask:0xf bank_mask:0xf bound_ctrl:1
	;;#ASMEND
	;;#ASMSTART
	v_max_f32 v10, v11, v11 row_bcast:15 row_mask:0xf bank_mask:0xf bound_ctrl:1
	;;#ASMEND
	;;#ASMSTART
	v_max_f32 v11, v10, v10 row_bcast:31 row_mask:0xf bank_mask:0xf bound_ctrl:1
	;;#ASMEND
	ds_bpermute_b32 v10, v1, v11
	s_waitcnt lgkmcnt(0)
	v_cmp_eq_f32_e32 vcc, v9, v10
	s_ff1_i32_b64 s18, vcc
	s_cmp_lg_u64 vcc, 0
	s_cselect_b32 s18, s18, 0
	s_and_b64 vcc, exec, s[8:9]
	v_readlane_b32 s18, v8, s18
	s_cbranch_vccz .LBB50_21
; %bb.27:                               ;   in Loop: Header=BB50_22 Depth=1
	s_ashr_i32 s19, s18, 31
	s_lshl_b64 s[20:21], s[18:19], 1
	s_add_u32 s20, s10, s20
	s_addc_u32 s21, s11, s21
	global_load_ushort v8, v6, s[20:21]
	s_waitcnt vmcnt(0)
	v_cvt_f32_f16_e32 v8, v8
	v_sub_f32_e32 v10, v10, v8
	s_branch .LBB50_21
.LBB50_28:
	v_mov_b32_e32 v3, 0
	v_mov_b32_e32 v2, 0
.LBB50_29:
	v_cmp_gt_i32_e32 vcc, s17, v0
	s_and_saveexec_b64 s[0:1], vcc
	s_cbranch_execz .LBB50_32
; %bb.30:
	s_load_dword s2, s[4:5], 0x34
	s_load_dwordx2 s[0:1], s[4:5], 0x20
	s_ashr_i32 s3, s6, 31
	s_load_dword s4, s[4:5], 0x44
	v_mov_b32_e32 v4, s13
	s_waitcnt lgkmcnt(0)
	v_mul_f32_e32 v1, s2, v3
	s_mul_i32 s1, s6, s1
	s_mul_hi_u32 s2, s6, s0
	s_add_i32 s1, s2, s1
	s_mul_i32 s3, s3, s0
	s_add_i32 s5, s1, s3
	s_mul_i32 s2, s6, s0
	s_and_b32 s3, s4, 0xffff
	s_mov_b64 s[0:1], 0
	v_mov_b32_e32 v3, s5
	v_mov_b32_e32 v5, s15
.LBB50_31:                              ; =>This Inner Loop Header: Depth=1
	v_ashrrev_i32_e32 v7, 31, v0
	v_add_co_u32_e32 v6, vcc, s2, v0
	v_addc_co_u32_e32 v7, vcc, v3, v7, vcc
	v_add_u32_e32 v0, s3, v0
	v_cmp_le_i32_e32 vcc, s17, v0
	v_lshlrev_b64 v[6:7], 2, v[6:7]
	s_or_b64 s[0:1], vcc, s[0:1]
	v_add_co_u32_e32 v8, vcc, s12, v6
	v_addc_co_u32_e32 v9, vcc, v4, v7, vcc
	v_add_co_u32_e32 v6, vcc, s14, v6
	v_addc_co_u32_e32 v7, vcc, v5, v7, vcc
	global_store_dword v[8:9], v1, off
	global_store_dword v[6:7], v2, off
	s_andn2_b64 exec, exec, s[0:1]
	s_cbranch_execnz .LBB50_31
.LBB50_32:
	s_endpgm
	.section	.rodata,"a",@progbits
	.p2align	6, 0x0
	.amdhsa_kernel _ZN5aiter20topk_softplus_kernelIf6__halfDv4_fLb0ELi2EEEvPKT_PKT0_PfPimiiif
		.amdhsa_group_segment_fixed_size 0
		.amdhsa_private_segment_fixed_size 0
		.amdhsa_kernarg_size 312
		.amdhsa_user_sgpr_count 6
		.amdhsa_user_sgpr_private_segment_buffer 1
		.amdhsa_user_sgpr_dispatch_ptr 0
		.amdhsa_user_sgpr_queue_ptr 0
		.amdhsa_user_sgpr_kernarg_segment_ptr 1
		.amdhsa_user_sgpr_dispatch_id 0
		.amdhsa_user_sgpr_flat_scratch_init 0
		.amdhsa_user_sgpr_kernarg_preload_length 0
		.amdhsa_user_sgpr_kernarg_preload_offset 0
		.amdhsa_user_sgpr_private_segment_size 0
		.amdhsa_uses_dynamic_stack 0
		.amdhsa_system_sgpr_private_segment_wavefront_offset 0
		.amdhsa_system_sgpr_workgroup_id_x 1
		.amdhsa_system_sgpr_workgroup_id_y 0
		.amdhsa_system_sgpr_workgroup_id_z 0
		.amdhsa_system_sgpr_workgroup_info 0
		.amdhsa_system_vgpr_workitem_id 0
		.amdhsa_next_free_vgpr 20
		.amdhsa_next_free_sgpr 25
		.amdhsa_accum_offset 20
		.amdhsa_reserve_vcc 1
		.amdhsa_reserve_flat_scratch 0
		.amdhsa_float_round_mode_32 0
		.amdhsa_float_round_mode_16_64 0
		.amdhsa_float_denorm_mode_32 3
		.amdhsa_float_denorm_mode_16_64 3
		.amdhsa_dx10_clamp 1
		.amdhsa_ieee_mode 1
		.amdhsa_fp16_overflow 0
		.amdhsa_tg_split 0
		.amdhsa_exception_fp_ieee_invalid_op 0
		.amdhsa_exception_fp_denorm_src 0
		.amdhsa_exception_fp_ieee_div_zero 0
		.amdhsa_exception_fp_ieee_overflow 0
		.amdhsa_exception_fp_ieee_underflow 0
		.amdhsa_exception_fp_ieee_inexact 0
		.amdhsa_exception_int_div_zero 0
	.end_amdhsa_kernel
	.section	.text._ZN5aiter20topk_softplus_kernelIf6__halfDv4_fLb0ELi2EEEvPKT_PKT0_PfPimiiif,"axG",@progbits,_ZN5aiter20topk_softplus_kernelIf6__halfDv4_fLb0ELi2EEEvPKT_PKT0_PfPimiiif,comdat
.Lfunc_end50:
	.size	_ZN5aiter20topk_softplus_kernelIf6__halfDv4_fLb0ELi2EEEvPKT_PKT0_PfPimiiif, .Lfunc_end50-_ZN5aiter20topk_softplus_kernelIf6__halfDv4_fLb0ELi2EEEvPKT_PKT0_PfPimiiif
                                        ; -- End function
	.section	.AMDGPU.csdata,"",@progbits
; Kernel info:
; codeLenInByte = 1696
; NumSgprs: 29
; NumVgprs: 20
; NumAgprs: 0
; TotalNumVgprs: 20
; ScratchSize: 0
; MemoryBound: 0
; FloatMode: 240
; IeeeMode: 1
; LDSByteSize: 0 bytes/workgroup (compile time only)
; SGPRBlocks: 3
; VGPRBlocks: 2
; NumSGPRsForWavesPerEU: 29
; NumVGPRsForWavesPerEU: 20
; AccumOffset: 20
; Occupancy: 8
; WaveLimiterHint : 0
; COMPUTE_PGM_RSRC2:SCRATCH_EN: 0
; COMPUTE_PGM_RSRC2:USER_SGPR: 6
; COMPUTE_PGM_RSRC2:TRAP_HANDLER: 0
; COMPUTE_PGM_RSRC2:TGID_X_EN: 1
; COMPUTE_PGM_RSRC2:TGID_Y_EN: 0
; COMPUTE_PGM_RSRC2:TGID_Z_EN: 0
; COMPUTE_PGM_RSRC2:TIDIG_COMP_CNT: 0
; COMPUTE_PGM_RSRC3_GFX90A:ACCUM_OFFSET: 4
; COMPUTE_PGM_RSRC3_GFX90A:TG_SPLIT: 0
	.section	.text._ZN5aiter20topk_softplus_kernelIf6__halfDv2_fLb1ELi2EEEvPKT_PKT0_PfPimiiif,"axG",@progbits,_ZN5aiter20topk_softplus_kernelIf6__halfDv2_fLb1ELi2EEEvPKT_PKT0_PfPimiiif,comdat
	.protected	_ZN5aiter20topk_softplus_kernelIf6__halfDv2_fLb1ELi2EEEvPKT_PKT0_PfPimiiif ; -- Begin function _ZN5aiter20topk_softplus_kernelIf6__halfDv2_fLb1ELi2EEEvPKT_PKT0_PfPimiiif
	.globl	_ZN5aiter20topk_softplus_kernelIf6__halfDv2_fLb1ELi2EEEvPKT_PKT0_PfPimiiif
	.p2align	8
	.type	_ZN5aiter20topk_softplus_kernelIf6__halfDv2_fLb1ELi2EEEvPKT_PKT0_PfPimiiif,@function
_ZN5aiter20topk_softplus_kernelIf6__halfDv2_fLb1ELi2EEEvPKT_PKT0_PfPimiiif: ; @_ZN5aiter20topk_softplus_kernelIf6__halfDv2_fLb1ELi2EEEvPKT_PKT0_PfPimiiif
; %bb.0:
	s_load_dwordx2 s[16:17], s[4:5], 0x28
	s_load_dwordx8 s[8:15], s[4:5], 0x0
	s_waitcnt lgkmcnt(0)
	s_lshr_b32 s0, s16, 31
	s_add_i32 s0, s16, s0
	s_mul_i32 s2, s6, s16
	s_ashr_i32 s7, s0, 1
	s_ashr_i32 s3, s2, 31
	v_cmp_gt_i32_e64 s[0:1], s7, v0
	s_and_saveexec_b64 s[18:19], s[0:1]
	s_cbranch_execz .LBB51_3
; %bb.1:
	s_load_dword s22, s[4:5], 0x44
	s_lshl_b64 s[20:21], s[2:3], 2
	v_lshlrev_b32_e32 v1, 3, v0
	s_mov_b32 s24, 0
	v_mov_b32_e32 v4, s24
	s_waitcnt lgkmcnt(0)
	s_and_b32 s22, s22, 0xffff
	s_add_u32 s20, s8, s20
	s_addc_u32 s21, s9, s21
	v_mov_b32_e32 v3, s21
	v_add_co_u32_e32 v2, vcc, s20, v1
	v_addc_co_u32_e32 v3, vcc, 0, v3, vcc
	s_lshl_b32 s23, s22, 3
	v_add_u32_e32 v1, 0, v1
	s_mov_b64 s[20:21], 0
	v_mov_b32_e32 v5, v0
.LBB51_2:                               ; =>This Inner Loop Header: Depth=1
	global_load_dwordx2 v[6:7], v[2:3], off
	v_add_co_u32_e32 v2, vcc, s23, v2
	v_add_u32_e32 v5, s22, v5
	v_addc_co_u32_e32 v3, vcc, v3, v4, vcc
	v_cmp_le_i32_e32 vcc, s7, v5
	s_or_b64 s[20:21], vcc, s[20:21]
	s_waitcnt vmcnt(0)
	ds_write_b64 v1, v[6:7]
	v_add_u32_e32 v1, s23, v1
	s_andn2_b64 exec, exec, s[20:21]
	s_cbranch_execnz .LBB51_2
.LBB51_3:
	s_or_b64 exec, exec, s[18:19]
	v_lshl_add_u32 v2, s7, 1, v0
	v_cmp_gt_i32_e32 vcc, s16, v2
	s_and_saveexec_b64 s[18:19], vcc
	s_cbranch_execz .LBB51_6
; %bb.4:
	s_load_dword s20, s[4:5], 0x44
	s_lshl_b64 s[2:3], s[2:3], 2
	s_add_u32 s8, s8, s2
	s_addc_u32 s21, s9, s3
	s_lshl_b32 s2, s7, 3
	s_waitcnt lgkmcnt(0)
	s_and_b32 s9, s20, 0xffff
	s_add_i32 s2, s2, 0
	v_lshl_add_u32 v1, v0, 2, s2
	s_lshl_b32 s20, s9, 2
	s_mov_b64 s[2:3], 0
	v_mov_b32_e32 v4, s21
.LBB51_5:                               ; =>This Inner Loop Header: Depth=1
	v_ashrrev_i32_e32 v3, 31, v2
	v_lshlrev_b64 v[6:7], 2, v[2:3]
	v_add_co_u32_e32 v6, vcc, s8, v6
	v_addc_co_u32_e32 v7, vcc, v4, v7, vcc
	global_load_dword v3, v[6:7], off
	v_add_u32_e32 v2, s9, v2
	v_cmp_le_i32_e32 vcc, s16, v2
	s_or_b64 s[2:3], vcc, s[2:3]
	s_waitcnt vmcnt(0)
	ds_write_b32 v1, v3
	v_add_u32_e32 v1, s20, v1
	s_andn2_b64 exec, exec, s[2:3]
	s_cbranch_execnz .LBB51_5
.LBB51_6:
	s_or_b64 exec, exec, s[18:19]
	v_cmp_gt_i32_e32 vcc, s16, v0
	v_mov_b32_e32 v1, 0xff800000
	s_waitcnt lgkmcnt(0)
	s_barrier
	s_and_saveexec_b64 s[8:9], vcc
	s_cbranch_execz .LBB51_10
; %bb.7:
	s_load_dword s2, s[4:5], 0x44
	v_lshl_add_u32 v2, v0, 2, 0
	s_mov_b64 s[18:19], 0
	v_mov_b32_e32 v1, 0xff800000
	v_mov_b32_e32 v3, v0
	s_waitcnt lgkmcnt(0)
	s_and_b32 s20, s2, 0xffff
	s_lshl_b32 s21, s20, 2
.LBB51_8:                               ; =>This Inner Loop Header: Depth=1
	ds_read_b32 v4, v2
	v_add_u32_e32 v3, s20, v3
	v_max_f32_e32 v1, v1, v1
	v_cmp_le_i32_e64 s[2:3], s16, v3
	v_add_u32_e32 v2, s21, v2
	s_waitcnt lgkmcnt(0)
	v_max_f32_e32 v4, v4, v4
	s_or_b64 s[18:19], s[2:3], s[18:19]
	v_max_f32_e32 v1, v1, v4
	s_andn2_b64 exec, exec, s[18:19]
	s_cbranch_execnz .LBB51_8
; %bb.9:
	s_or_b64 exec, exec, s[18:19]
.LBB51_10:
	s_or_b64 exec, exec, s[8:9]
	;;#ASMSTART
	v_max_f32 v2, v1, v1 quad_perm:[1,0,3,2] row_mask:0xf bank_mask:0xf bound_ctrl:1
	;;#ASMEND
	;;#ASMSTART
	v_max_f32 v1, v2, v2 quad_perm:[2,3,0,1] row_mask:0xf bank_mask:0xf bound_ctrl:1
	;;#ASMEND
	;;#ASMSTART
	v_max_f32 v2, v1, v1 row_half_mirror row_mask:0xf bank_mask:0xf bound_ctrl:1
	;;#ASMEND
	;;#ASMSTART
	v_max_f32 v1, v2, v2 row_mirror row_mask:0xf bank_mask:0xf bound_ctrl:1
	;;#ASMEND
	;;#ASMSTART
	v_max_f32 v2, v1, v1 row_ror:4 row_mask:0xf bank_mask:0xf bound_ctrl:1
	;;#ASMEND
	;;#ASMSTART
	v_max_f32 v1, v2, v2 row_ror:8 row_mask:0xf bank_mask:0xf bound_ctrl:1
	;;#ASMEND
	;;#ASMSTART
	v_max_f32 v2, v1, v1 row_bcast:15 row_mask:0xf bank_mask:0xf bound_ctrl:1
	;;#ASMEND
	v_mbcnt_lo_u32_b32 v1, -1, 0
	;;#ASMSTART
	v_max_f32 v3, v2, v2 row_bcast:31 row_mask:0xf bank_mask:0xf bound_ctrl:1
	;;#ASMEND
	v_mbcnt_hi_u32_b32 v1, -1, v1
	v_bfrev_b32_e32 v2, 0.5
	v_lshl_or_b32 v1, v1, 2, v2
	ds_bpermute_b32 v3, v1, v3
	v_mov_b32_e32 v2, 0
	s_and_saveexec_b64 s[18:19], vcc
	s_cbranch_execz .LBB51_14
; %bb.11:
	s_load_dword s2, s[4:5], 0x44
	v_lshl_add_u32 v4, v0, 2, 0
	s_mov_b64 s[20:21], 0
	v_mov_b32_e32 v2, 0
	s_mov_b32 s22, 0xc2fc0000
	s_waitcnt lgkmcnt(0)
	s_and_b32 s23, s2, 0xffff
	s_lshl_b32 s24, s23, 2
	v_mov_b32_e32 v5, 0x42800000
	v_mov_b32_e32 v6, 0x1f800000
	;; [unrolled: 1-line block ×3, first 2 shown]
.LBB51_12:                              ; =>This Inner Loop Header: Depth=1
	ds_read_b32 v8, v4
	v_add_u32_e32 v7, s23, v7
	v_cmp_le_i32_e64 s[8:9], s16, v7
	s_or_b64 s[20:21], s[8:9], s[20:21]
	s_waitcnt lgkmcnt(0)
	v_sub_f32_e32 v8, v8, v3
	v_mul_f32_e32 v9, 0x3fb8aa3b, v8
	v_cmp_gt_f32_e64 s[2:3], s22, v9
	v_cndmask_b32_e64 v9, 0, v5, s[2:3]
	v_fmac_f32_e32 v9, 0x3fb8aa3b, v8
	v_exp_f32_e32 v8, v9
	v_cndmask_b32_e64 v9, 1.0, v6, s[2:3]
	v_mul_f32_e32 v10, v8, v9
	v_fmac_f32_e32 v2, v8, v9
	ds_write_b32 v4, v10
	v_add_u32_e32 v4, s24, v4
	s_andn2_b64 exec, exec, s[20:21]
	s_cbranch_execnz .LBB51_12
; %bb.13:
	s_or_b64 exec, exec, s[20:21]
.LBB51_14:
	s_or_b64 exec, exec, s[18:19]
	s_waitcnt lgkmcnt(0)
	v_mov_b32_dpp v3, v2 quad_perm:[1,0,3,2] row_mask:0xf bank_mask:0xf
	v_add_f32_e32 v2, v2, v3
	s_nop 1
	v_mov_b32_dpp v3, v2 quad_perm:[2,3,0,1] row_mask:0xf bank_mask:0xf
	v_add_f32_e32 v2, v2, v3
	s_nop 1
	v_mov_b32_dpp v3, v2 row_half_mirror row_mask:0xf bank_mask:0xf
	v_add_f32_e32 v2, v2, v3
	s_nop 1
	v_mov_b32_dpp v3, v2 row_mirror row_mask:0xf bank_mask:0xf
	v_add_f32_e32 v2, v2, v3
	s_nop 1
	v_mov_b32_dpp v3, v2 row_bcast:15 row_mask:0xf bank_mask:0xf
	v_add_f32_e32 v2, v2, v3
	s_nop 1
	v_mov_b32_dpp v3, v2 row_bcast:31 row_mask:0xf bank_mask:0xf
	v_add_f32_e32 v2, v2, v3
	ds_bpermute_b32 v2, v1, v2
	s_and_saveexec_b64 s[8:9], vcc
	s_cbranch_execz .LBB51_19
; %bb.15:
	s_load_dword s20, s[4:5], 0x44
	s_waitcnt lgkmcnt(0)
	v_rcp_f32_e32 v4, v2
	s_cmp_lg_u64 s[10:11], 0
	s_cselect_b64 s[2:3], -1, 0
	v_cndmask_b32_e64 v2, 0, 1, s[2:3]
	s_and_b32 s20, s20, 0xffff
	s_mov_b64 s[18:19], 0
	v_lshl_add_u32 v5, v0, 2, 0
	s_lshl_b32 s21, s20, 2
	v_cmp_ne_u32_e64 s[2:3], 1, v2
	v_mov_b32_e32 v2, v0
	s_branch .LBB51_17
.LBB51_16:                              ;   in Loop: Header=BB51_17 Depth=1
	v_add_u32_e32 v2, s20, v2
	v_cmp_le_i32_e32 vcc, s16, v2
	s_or_b64 s[18:19], vcc, s[18:19]
	v_add_u32_e32 v5, s21, v5
	s_andn2_b64 exec, exec, s[18:19]
	s_cbranch_execz .LBB51_19
.LBB51_17:                              ; =>This Inner Loop Header: Depth=1
	ds_read_b32 v3, v5
	s_and_b64 vcc, exec, s[2:3]
	s_waitcnt lgkmcnt(0)
	v_mul_f32_e32 v6, v4, v3
	ds_write_b32 v5, v6
	s_cbranch_vccnz .LBB51_16
; %bb.18:                               ;   in Loop: Header=BB51_17 Depth=1
	v_ashrrev_i32_e32 v3, 31, v2
	v_lshlrev_b64 v[8:9], 1, v[2:3]
	v_mov_b32_e32 v3, s11
	v_add_co_u32_e32 v8, vcc, s10, v8
	v_addc_co_u32_e32 v9, vcc, v3, v9, vcc
	global_load_ushort v3, v[8:9], off
	s_waitcnt vmcnt(0)
	v_cvt_f32_f16_e32 v3, v3
	v_add_f32_e32 v3, v6, v3
	ds_write_b32 v5, v3
	s_branch .LBB51_16
.LBB51_19:
	s_or_b64 exec, exec, s[8:9]
	s_cmp_lt_i32 s17, 1
	v_mov_b32_e32 v3, 0
	s_waitcnt lgkmcnt(0)
	s_barrier
	s_cbranch_scc1 .LBB51_28
; %bb.20:
	s_add_u32 s2, s4, 56
	s_addc_u32 s3, s5, 0
	s_cmp_lg_u64 s[10:11], 0
	s_cselect_b64 s[8:9], -1, 0
	v_lshlrev_b32_e32 v5, 1, v0
	v_lshl_add_u32 v6, v0, 3, 0
	s_mov_b32 s16, 0
	v_mov_b32_e32 v3, 0
	v_mov_b32_e32 v7, 0
	;; [unrolled: 1-line block ×5, first 2 shown]
	s_branch .LBB51_22
.LBB51_21:                              ;   in Loop: Header=BB51_22 Depth=1
	s_lshl_b32 s19, s18, 2
	s_add_i32 s19, s19, 0
	v_mov_b32_e32 v9, s19
	ds_write_b32 v9, v8
	v_mov_b32_e32 v9, s18
	v_cmp_eq_u32_e32 vcc, s16, v0
	s_add_i32 s16, s16, 1
	v_cndmask_b32_e32 v2, v2, v9, vcc
	v_cndmask_b32_e32 v3, v3, v11, vcc
	s_cmp_eq_u32 s16, s17
	v_add_f32_e32 v4, v4, v11
	s_cbranch_scc1 .LBB51_29
.LBB51_22:                              ; =>This Loop Header: Depth=1
                                        ;     Child Loop BB51_24 Depth 2
	v_mov_b32_e32 v9, s16
	v_mov_b32_e32 v10, 0xff800000
	s_and_saveexec_b64 s[18:19], s[0:1]
	s_cbranch_execz .LBB51_26
; %bb.23:                               ;   in Loop: Header=BB51_22 Depth=1
	s_load_dword s22, s[2:3], 0xc
	s_mov_b64 s[20:21], 0
	v_mov_b32_e32 v9, s16
	v_mov_b32_e32 v10, 0xff800000
	;; [unrolled: 1-line block ×3, first 2 shown]
	s_waitcnt lgkmcnt(0)
	s_and_b32 s22, s22, 0xffff
	s_lshl_b32 s23, s22, 1
	s_lshl_b32 s24, s22, 3
	v_mov_b32_e32 v12, v5
	v_mov_b32_e32 v13, v0
.LBB51_24:                              ;   Parent Loop BB51_22 Depth=1
                                        ; =>  This Inner Loop Header: Depth=2
	ds_read_b64 v[14:15], v11
	v_add_u32_e32 v13, s22, v13
	v_cmp_le_i32_e32 vcc, s7, v13
	s_or_b64 s[20:21], vcc, s[20:21]
	v_add_u32_e32 v16, 1, v12
	s_waitcnt lgkmcnt(0)
	v_cmp_gt_f32_e32 vcc, v14, v10
	v_cndmask_b32_e32 v10, v10, v14, vcc
	v_cndmask_b32_e32 v9, v9, v12, vcc
	v_cmp_gt_f32_e32 vcc, v15, v10
	v_add_u32_e32 v11, s24, v11
	v_cndmask_b32_e32 v10, v10, v15, vcc
	v_add_u32_e32 v12, s23, v12
	v_cndmask_b32_e32 v9, v9, v16, vcc
	s_andn2_b64 exec, exec, s[20:21]
	s_cbranch_execnz .LBB51_24
; %bb.25:                               ;   in Loop: Header=BB51_22 Depth=1
	s_or_b64 exec, exec, s[20:21]
.LBB51_26:                              ;   in Loop: Header=BB51_22 Depth=1
	s_or_b64 exec, exec, s[18:19]
	;;#ASMSTART
	v_max_f32 v11, v10, v10 quad_perm:[1,0,3,2] row_mask:0xf bank_mask:0xf bound_ctrl:1
	;;#ASMEND
	;;#ASMSTART
	v_max_f32 v12, v11, v11 quad_perm:[2,3,0,1] row_mask:0xf bank_mask:0xf bound_ctrl:1
	;;#ASMEND
	;;#ASMSTART
	v_max_f32 v11, v12, v12 row_half_mirror row_mask:0xf bank_mask:0xf bound_ctrl:1
	;;#ASMEND
	;;#ASMSTART
	v_max_f32 v12, v11, v11 row_mirror row_mask:0xf bank_mask:0xf bound_ctrl:1
	;;#ASMEND
	;;#ASMSTART
	v_max_f32 v11, v12, v12 row_ror:4 row_mask:0xf bank_mask:0xf bound_ctrl:1
	;;#ASMEND
	;;#ASMSTART
	v_max_f32 v12, v11, v11 row_ror:8 row_mask:0xf bank_mask:0xf bound_ctrl:1
	;;#ASMEND
	;;#ASMSTART
	v_max_f32 v11, v12, v12 row_bcast:15 row_mask:0xf bank_mask:0xf bound_ctrl:1
	;;#ASMEND
	;;#ASMSTART
	v_max_f32 v12, v11, v11 row_bcast:31 row_mask:0xf bank_mask:0xf bound_ctrl:1
	;;#ASMEND
	ds_bpermute_b32 v11, v1, v12
	s_waitcnt lgkmcnt(0)
	v_cmp_eq_f32_e32 vcc, v10, v11
	s_ff1_i32_b64 s18, vcc
	s_cmp_lg_u64 vcc, 0
	s_cselect_b32 s18, s18, 0
	s_and_b64 vcc, exec, s[8:9]
	v_readlane_b32 s18, v9, s18
	s_cbranch_vccz .LBB51_21
; %bb.27:                               ;   in Loop: Header=BB51_22 Depth=1
	s_ashr_i32 s19, s18, 31
	s_lshl_b64 s[20:21], s[18:19], 1
	s_add_u32 s20, s10, s20
	s_addc_u32 s21, s11, s21
	global_load_ushort v9, v7, s[20:21]
	s_waitcnt vmcnt(0)
	v_cvt_f32_f16_e32 v9, v9
	v_sub_f32_e32 v11, v11, v9
	s_branch .LBB51_21
.LBB51_28:
	v_mov_b32_e32 v2, 0
	v_mov_b32_e32 v4, 0
.LBB51_29:
	v_cmp_gt_i32_e32 vcc, s17, v0
	s_and_saveexec_b64 s[0:1], vcc
	s_cbranch_execz .LBB51_32
; %bb.30:
	s_load_dword s2, s[4:5], 0x34
	v_max_f32_e32 v1, v4, v4
	v_max_f32_e32 v1, 0x1e3ce508, v1
	s_load_dword s3, s[4:5], 0x44
	s_waitcnt lgkmcnt(0)
	v_div_scale_f32 v4, s[0:1], v1, v1, s2
	s_load_dwordx2 s[0:1], s[4:5], 0x20
	v_rcp_f32_e32 v5, v4
	v_div_scale_f32 v6, vcc, s2, v1, s2
	s_and_b32 s3, s3, 0xffff
	v_fma_f32 v7, -v4, v5, 1.0
	v_fmac_f32_e32 v5, v7, v5
	v_mul_f32_e32 v7, v6, v5
	v_fma_f32 v8, -v4, v7, v6
	v_fmac_f32_e32 v7, v8, v5
	v_fma_f32 v4, -v4, v7, v6
	v_div_fmas_f32 v4, v4, v5, v7
	v_div_fixup_f32 v1, v4, v1, s2
	s_ashr_i32 s2, s6, 31
	s_waitcnt lgkmcnt(0)
	s_mul_i32 s1, s6, s1
	s_mul_hi_u32 s4, s6, s0
	s_add_i32 s1, s4, s1
	s_mul_i32 s2, s2, s0
	s_add_i32 s4, s1, s2
	v_mul_f32_e32 v1, v3, v1
	s_mul_i32 s2, s6, s0
	s_mov_b64 s[0:1], 0
	v_mov_b32_e32 v3, s4
	v_mov_b32_e32 v4, s13
	;; [unrolled: 1-line block ×3, first 2 shown]
.LBB51_31:                              ; =>This Inner Loop Header: Depth=1
	v_ashrrev_i32_e32 v7, 31, v0
	v_add_co_u32_e32 v6, vcc, s2, v0
	v_addc_co_u32_e32 v7, vcc, v3, v7, vcc
	v_add_u32_e32 v0, s3, v0
	v_cmp_le_i32_e32 vcc, s17, v0
	v_lshlrev_b64 v[6:7], 2, v[6:7]
	s_or_b64 s[0:1], vcc, s[0:1]
	v_add_co_u32_e32 v8, vcc, s12, v6
	v_addc_co_u32_e32 v9, vcc, v4, v7, vcc
	v_add_co_u32_e32 v6, vcc, s14, v6
	v_addc_co_u32_e32 v7, vcc, v5, v7, vcc
	global_store_dword v[8:9], v1, off
	global_store_dword v[6:7], v2, off
	s_andn2_b64 exec, exec, s[0:1]
	s_cbranch_execnz .LBB51_31
.LBB51_32:
	s_endpgm
	.section	.rodata,"a",@progbits
	.p2align	6, 0x0
	.amdhsa_kernel _ZN5aiter20topk_softplus_kernelIf6__halfDv2_fLb1ELi2EEEvPKT_PKT0_PfPimiiif
		.amdhsa_group_segment_fixed_size 0
		.amdhsa_private_segment_fixed_size 0
		.amdhsa_kernarg_size 312
		.amdhsa_user_sgpr_count 6
		.amdhsa_user_sgpr_private_segment_buffer 1
		.amdhsa_user_sgpr_dispatch_ptr 0
		.amdhsa_user_sgpr_queue_ptr 0
		.amdhsa_user_sgpr_kernarg_segment_ptr 1
		.amdhsa_user_sgpr_dispatch_id 0
		.amdhsa_user_sgpr_flat_scratch_init 0
		.amdhsa_user_sgpr_kernarg_preload_length 0
		.amdhsa_user_sgpr_kernarg_preload_offset 0
		.amdhsa_user_sgpr_private_segment_size 0
		.amdhsa_uses_dynamic_stack 0
		.amdhsa_system_sgpr_private_segment_wavefront_offset 0
		.amdhsa_system_sgpr_workgroup_id_x 1
		.amdhsa_system_sgpr_workgroup_id_y 0
		.amdhsa_system_sgpr_workgroup_id_z 0
		.amdhsa_system_sgpr_workgroup_info 0
		.amdhsa_system_vgpr_workitem_id 0
		.amdhsa_next_free_vgpr 17
		.amdhsa_next_free_sgpr 25
		.amdhsa_accum_offset 20
		.amdhsa_reserve_vcc 1
		.amdhsa_reserve_flat_scratch 0
		.amdhsa_float_round_mode_32 0
		.amdhsa_float_round_mode_16_64 0
		.amdhsa_float_denorm_mode_32 3
		.amdhsa_float_denorm_mode_16_64 3
		.amdhsa_dx10_clamp 1
		.amdhsa_ieee_mode 1
		.amdhsa_fp16_overflow 0
		.amdhsa_tg_split 0
		.amdhsa_exception_fp_ieee_invalid_op 0
		.amdhsa_exception_fp_denorm_src 0
		.amdhsa_exception_fp_ieee_div_zero 0
		.amdhsa_exception_fp_ieee_overflow 0
		.amdhsa_exception_fp_ieee_underflow 0
		.amdhsa_exception_fp_ieee_inexact 0
		.amdhsa_exception_int_div_zero 0
	.end_amdhsa_kernel
	.section	.text._ZN5aiter20topk_softplus_kernelIf6__halfDv2_fLb1ELi2EEEvPKT_PKT0_PfPimiiif,"axG",@progbits,_ZN5aiter20topk_softplus_kernelIf6__halfDv2_fLb1ELi2EEEvPKT_PKT0_PfPimiiif,comdat
.Lfunc_end51:
	.size	_ZN5aiter20topk_softplus_kernelIf6__halfDv2_fLb1ELi2EEEvPKT_PKT0_PfPimiiif, .Lfunc_end51-_ZN5aiter20topk_softplus_kernelIf6__halfDv2_fLb1ELi2EEEvPKT_PKT0_PfPimiiif
                                        ; -- End function
	.section	.AMDGPU.csdata,"",@progbits
; Kernel info:
; codeLenInByte = 1760
; NumSgprs: 29
; NumVgprs: 17
; NumAgprs: 0
; TotalNumVgprs: 17
; ScratchSize: 0
; MemoryBound: 0
; FloatMode: 240
; IeeeMode: 1
; LDSByteSize: 0 bytes/workgroup (compile time only)
; SGPRBlocks: 3
; VGPRBlocks: 2
; NumSGPRsForWavesPerEU: 29
; NumVGPRsForWavesPerEU: 17
; AccumOffset: 20
; Occupancy: 8
; WaveLimiterHint : 0
; COMPUTE_PGM_RSRC2:SCRATCH_EN: 0
; COMPUTE_PGM_RSRC2:USER_SGPR: 6
; COMPUTE_PGM_RSRC2:TRAP_HANDLER: 0
; COMPUTE_PGM_RSRC2:TGID_X_EN: 1
; COMPUTE_PGM_RSRC2:TGID_Y_EN: 0
; COMPUTE_PGM_RSRC2:TGID_Z_EN: 0
; COMPUTE_PGM_RSRC2:TIDIG_COMP_CNT: 0
; COMPUTE_PGM_RSRC3_GFX90A:ACCUM_OFFSET: 4
; COMPUTE_PGM_RSRC3_GFX90A:TG_SPLIT: 0
	.section	.text._ZN5aiter20topk_softplus_kernelIf6__halfDv2_fLb0ELi2EEEvPKT_PKT0_PfPimiiif,"axG",@progbits,_ZN5aiter20topk_softplus_kernelIf6__halfDv2_fLb0ELi2EEEvPKT_PKT0_PfPimiiif,comdat
	.protected	_ZN5aiter20topk_softplus_kernelIf6__halfDv2_fLb0ELi2EEEvPKT_PKT0_PfPimiiif ; -- Begin function _ZN5aiter20topk_softplus_kernelIf6__halfDv2_fLb0ELi2EEEvPKT_PKT0_PfPimiiif
	.globl	_ZN5aiter20topk_softplus_kernelIf6__halfDv2_fLb0ELi2EEEvPKT_PKT0_PfPimiiif
	.p2align	8
	.type	_ZN5aiter20topk_softplus_kernelIf6__halfDv2_fLb0ELi2EEEvPKT_PKT0_PfPimiiif,@function
_ZN5aiter20topk_softplus_kernelIf6__halfDv2_fLb0ELi2EEEvPKT_PKT0_PfPimiiif: ; @_ZN5aiter20topk_softplus_kernelIf6__halfDv2_fLb0ELi2EEEvPKT_PKT0_PfPimiiif
; %bb.0:
	s_load_dwordx2 s[16:17], s[4:5], 0x28
	s_load_dwordx8 s[8:15], s[4:5], 0x0
	s_waitcnt lgkmcnt(0)
	s_lshr_b32 s0, s16, 31
	s_add_i32 s0, s16, s0
	s_mul_i32 s2, s6, s16
	s_ashr_i32 s7, s0, 1
	s_ashr_i32 s3, s2, 31
	v_cmp_gt_i32_e64 s[0:1], s7, v0
	s_and_saveexec_b64 s[18:19], s[0:1]
	s_cbranch_execz .LBB52_3
; %bb.1:
	s_load_dword s22, s[4:5], 0x44
	s_lshl_b64 s[20:21], s[2:3], 2
	v_lshlrev_b32_e32 v1, 3, v0
	s_mov_b32 s24, 0
	v_mov_b32_e32 v4, s24
	s_waitcnt lgkmcnt(0)
	s_and_b32 s22, s22, 0xffff
	s_add_u32 s20, s8, s20
	s_addc_u32 s21, s9, s21
	v_mov_b32_e32 v3, s21
	v_add_co_u32_e32 v2, vcc, s20, v1
	v_addc_co_u32_e32 v3, vcc, 0, v3, vcc
	s_lshl_b32 s23, s22, 3
	v_add_u32_e32 v1, 0, v1
	s_mov_b64 s[20:21], 0
	v_mov_b32_e32 v5, v0
.LBB52_2:                               ; =>This Inner Loop Header: Depth=1
	global_load_dwordx2 v[6:7], v[2:3], off
	v_add_co_u32_e32 v2, vcc, s23, v2
	v_add_u32_e32 v5, s22, v5
	v_addc_co_u32_e32 v3, vcc, v3, v4, vcc
	v_cmp_le_i32_e32 vcc, s7, v5
	s_or_b64 s[20:21], vcc, s[20:21]
	s_waitcnt vmcnt(0)
	ds_write_b64 v1, v[6:7]
	v_add_u32_e32 v1, s23, v1
	s_andn2_b64 exec, exec, s[20:21]
	s_cbranch_execnz .LBB52_2
.LBB52_3:
	s_or_b64 exec, exec, s[18:19]
	v_lshl_add_u32 v2, s7, 1, v0
	v_cmp_gt_i32_e32 vcc, s16, v2
	s_and_saveexec_b64 s[18:19], vcc
	s_cbranch_execz .LBB52_6
; %bb.4:
	s_load_dword s20, s[4:5], 0x44
	s_lshl_b64 s[2:3], s[2:3], 2
	s_add_u32 s8, s8, s2
	s_addc_u32 s21, s9, s3
	s_lshl_b32 s2, s7, 3
	s_waitcnt lgkmcnt(0)
	s_and_b32 s9, s20, 0xffff
	s_add_i32 s2, s2, 0
	v_lshl_add_u32 v1, v0, 2, s2
	s_lshl_b32 s20, s9, 2
	s_mov_b64 s[2:3], 0
	v_mov_b32_e32 v4, s21
.LBB52_5:                               ; =>This Inner Loop Header: Depth=1
	v_ashrrev_i32_e32 v3, 31, v2
	v_lshlrev_b64 v[6:7], 2, v[2:3]
	v_add_co_u32_e32 v6, vcc, s8, v6
	v_addc_co_u32_e32 v7, vcc, v4, v7, vcc
	global_load_dword v3, v[6:7], off
	v_add_u32_e32 v2, s9, v2
	v_cmp_le_i32_e32 vcc, s16, v2
	s_or_b64 s[2:3], vcc, s[2:3]
	s_waitcnt vmcnt(0)
	ds_write_b32 v1, v3
	v_add_u32_e32 v1, s20, v1
	s_andn2_b64 exec, exec, s[2:3]
	s_cbranch_execnz .LBB52_5
.LBB52_6:
	s_or_b64 exec, exec, s[18:19]
	v_cmp_gt_i32_e32 vcc, s16, v0
	v_mov_b32_e32 v1, 0xff800000
	s_waitcnt lgkmcnt(0)
	s_barrier
	s_and_saveexec_b64 s[8:9], vcc
	s_cbranch_execz .LBB52_10
; %bb.7:
	s_load_dword s2, s[4:5], 0x44
	v_lshl_add_u32 v2, v0, 2, 0
	s_mov_b64 s[18:19], 0
	v_mov_b32_e32 v1, 0xff800000
	v_mov_b32_e32 v3, v0
	s_waitcnt lgkmcnt(0)
	s_and_b32 s20, s2, 0xffff
	s_lshl_b32 s21, s20, 2
.LBB52_8:                               ; =>This Inner Loop Header: Depth=1
	ds_read_b32 v4, v2
	v_add_u32_e32 v3, s20, v3
	v_max_f32_e32 v1, v1, v1
	v_cmp_le_i32_e64 s[2:3], s16, v3
	v_add_u32_e32 v2, s21, v2
	s_waitcnt lgkmcnt(0)
	v_max_f32_e32 v4, v4, v4
	s_or_b64 s[18:19], s[2:3], s[18:19]
	v_max_f32_e32 v1, v1, v4
	s_andn2_b64 exec, exec, s[18:19]
	s_cbranch_execnz .LBB52_8
; %bb.9:
	s_or_b64 exec, exec, s[18:19]
.LBB52_10:
	s_or_b64 exec, exec, s[8:9]
	;;#ASMSTART
	v_max_f32 v2, v1, v1 quad_perm:[1,0,3,2] row_mask:0xf bank_mask:0xf bound_ctrl:1
	;;#ASMEND
	;;#ASMSTART
	v_max_f32 v1, v2, v2 quad_perm:[2,3,0,1] row_mask:0xf bank_mask:0xf bound_ctrl:1
	;;#ASMEND
	;;#ASMSTART
	v_max_f32 v2, v1, v1 row_half_mirror row_mask:0xf bank_mask:0xf bound_ctrl:1
	;;#ASMEND
	;;#ASMSTART
	v_max_f32 v1, v2, v2 row_mirror row_mask:0xf bank_mask:0xf bound_ctrl:1
	;;#ASMEND
	;;#ASMSTART
	v_max_f32 v2, v1, v1 row_ror:4 row_mask:0xf bank_mask:0xf bound_ctrl:1
	;;#ASMEND
	;;#ASMSTART
	v_max_f32 v1, v2, v2 row_ror:8 row_mask:0xf bank_mask:0xf bound_ctrl:1
	;;#ASMEND
	;;#ASMSTART
	v_max_f32 v2, v1, v1 row_bcast:15 row_mask:0xf bank_mask:0xf bound_ctrl:1
	;;#ASMEND
	v_mbcnt_lo_u32_b32 v1, -1, 0
	;;#ASMSTART
	v_max_f32 v3, v2, v2 row_bcast:31 row_mask:0xf bank_mask:0xf bound_ctrl:1
	;;#ASMEND
	v_mbcnt_hi_u32_b32 v1, -1, v1
	v_bfrev_b32_e32 v2, 0.5
	v_lshl_or_b32 v1, v1, 2, v2
	ds_bpermute_b32 v3, v1, v3
	v_mov_b32_e32 v2, 0
	s_and_saveexec_b64 s[18:19], vcc
	s_cbranch_execz .LBB52_14
; %bb.11:
	s_load_dword s2, s[4:5], 0x44
	v_lshl_add_u32 v4, v0, 2, 0
	s_mov_b64 s[20:21], 0
	v_mov_b32_e32 v2, 0
	s_mov_b32 s22, 0xc2fc0000
	s_waitcnt lgkmcnt(0)
	s_and_b32 s23, s2, 0xffff
	s_lshl_b32 s24, s23, 2
	v_mov_b32_e32 v5, 0x42800000
	v_mov_b32_e32 v6, 0x1f800000
	;; [unrolled: 1-line block ×3, first 2 shown]
.LBB52_12:                              ; =>This Inner Loop Header: Depth=1
	ds_read_b32 v8, v4
	v_add_u32_e32 v7, s23, v7
	v_cmp_le_i32_e64 s[8:9], s16, v7
	s_or_b64 s[20:21], s[8:9], s[20:21]
	s_waitcnt lgkmcnt(0)
	v_sub_f32_e32 v8, v8, v3
	v_mul_f32_e32 v9, 0x3fb8aa3b, v8
	v_cmp_gt_f32_e64 s[2:3], s22, v9
	v_cndmask_b32_e64 v9, 0, v5, s[2:3]
	v_fmac_f32_e32 v9, 0x3fb8aa3b, v8
	v_exp_f32_e32 v8, v9
	v_cndmask_b32_e64 v9, 1.0, v6, s[2:3]
	v_mul_f32_e32 v10, v8, v9
	v_fmac_f32_e32 v2, v8, v9
	ds_write_b32 v4, v10
	v_add_u32_e32 v4, s24, v4
	s_andn2_b64 exec, exec, s[20:21]
	s_cbranch_execnz .LBB52_12
; %bb.13:
	s_or_b64 exec, exec, s[20:21]
.LBB52_14:
	s_or_b64 exec, exec, s[18:19]
	s_waitcnt lgkmcnt(0)
	v_mov_b32_dpp v3, v2 quad_perm:[1,0,3,2] row_mask:0xf bank_mask:0xf
	v_add_f32_e32 v2, v2, v3
	s_nop 1
	v_mov_b32_dpp v3, v2 quad_perm:[2,3,0,1] row_mask:0xf bank_mask:0xf
	v_add_f32_e32 v2, v2, v3
	s_nop 1
	v_mov_b32_dpp v3, v2 row_half_mirror row_mask:0xf bank_mask:0xf
	v_add_f32_e32 v2, v2, v3
	s_nop 1
	v_mov_b32_dpp v3, v2 row_mirror row_mask:0xf bank_mask:0xf
	v_add_f32_e32 v2, v2, v3
	s_nop 1
	v_mov_b32_dpp v3, v2 row_bcast:15 row_mask:0xf bank_mask:0xf
	v_add_f32_e32 v2, v2, v3
	s_nop 1
	v_mov_b32_dpp v3, v2 row_bcast:31 row_mask:0xf bank_mask:0xf
	v_add_f32_e32 v2, v2, v3
	ds_bpermute_b32 v2, v1, v2
	s_and_saveexec_b64 s[8:9], vcc
	s_cbranch_execz .LBB52_19
; %bb.15:
	s_load_dword s20, s[4:5], 0x44
	s_waitcnt lgkmcnt(0)
	v_rcp_f32_e32 v4, v2
	s_cmp_lg_u64 s[10:11], 0
	s_cselect_b64 s[2:3], -1, 0
	v_cndmask_b32_e64 v2, 0, 1, s[2:3]
	s_and_b32 s20, s20, 0xffff
	s_mov_b64 s[18:19], 0
	v_lshl_add_u32 v5, v0, 2, 0
	s_lshl_b32 s21, s20, 2
	v_cmp_ne_u32_e64 s[2:3], 1, v2
	v_mov_b32_e32 v2, v0
	s_branch .LBB52_17
.LBB52_16:                              ;   in Loop: Header=BB52_17 Depth=1
	v_add_u32_e32 v2, s20, v2
	v_cmp_le_i32_e32 vcc, s16, v2
	s_or_b64 s[18:19], vcc, s[18:19]
	v_add_u32_e32 v5, s21, v5
	s_andn2_b64 exec, exec, s[18:19]
	s_cbranch_execz .LBB52_19
.LBB52_17:                              ; =>This Inner Loop Header: Depth=1
	ds_read_b32 v3, v5
	s_and_b64 vcc, exec, s[2:3]
	s_waitcnt lgkmcnt(0)
	v_mul_f32_e32 v6, v4, v3
	ds_write_b32 v5, v6
	s_cbranch_vccnz .LBB52_16
; %bb.18:                               ;   in Loop: Header=BB52_17 Depth=1
	v_ashrrev_i32_e32 v3, 31, v2
	v_lshlrev_b64 v[8:9], 1, v[2:3]
	v_mov_b32_e32 v3, s11
	v_add_co_u32_e32 v8, vcc, s10, v8
	v_addc_co_u32_e32 v9, vcc, v3, v9, vcc
	global_load_ushort v3, v[8:9], off
	s_waitcnt vmcnt(0)
	v_cvt_f32_f16_e32 v3, v3
	v_add_f32_e32 v3, v6, v3
	ds_write_b32 v5, v3
	s_branch .LBB52_16
.LBB52_19:
	s_or_b64 exec, exec, s[8:9]
	s_cmp_lt_i32 s17, 1
	s_waitcnt lgkmcnt(0)
	s_barrier
	s_cbranch_scc1 .LBB52_28
; %bb.20:
	s_add_u32 s2, s4, 56
	s_addc_u32 s3, s5, 0
	s_cmp_lg_u64 s[10:11], 0
	s_cselect_b64 s[8:9], -1, 0
	v_lshlrev_b32_e32 v4, 1, v0
	s_mov_b32 s16, 0
	v_mov_b32_e32 v2, 0
	v_lshl_add_u32 v5, v0, 3, 0
	v_mov_b32_e32 v6, 0
	v_mov_b32_e32 v7, 0xff800000
	;; [unrolled: 1-line block ×3, first 2 shown]
	s_branch .LBB52_22
.LBB52_21:                              ;   in Loop: Header=BB52_22 Depth=1
	s_lshl_b32 s19, s18, 2
	s_add_i32 s19, s19, 0
	v_mov_b32_e32 v8, s19
	ds_write_b32 v8, v7
	v_mov_b32_e32 v8, s18
	v_cmp_eq_u32_e32 vcc, s16, v0
	s_add_i32 s16, s16, 1
	v_cndmask_b32_e32 v2, v2, v8, vcc
	s_cmp_eq_u32 s16, s17
	v_cndmask_b32_e32 v3, v3, v10, vcc
	s_cbranch_scc1 .LBB52_29
.LBB52_22:                              ; =>This Loop Header: Depth=1
                                        ;     Child Loop BB52_24 Depth 2
	v_mov_b32_e32 v8, s16
	v_mov_b32_e32 v9, 0xff800000
	s_and_saveexec_b64 s[18:19], s[0:1]
	s_cbranch_execz .LBB52_26
; %bb.23:                               ;   in Loop: Header=BB52_22 Depth=1
	s_load_dword s22, s[2:3], 0xc
	s_mov_b64 s[20:21], 0
	v_mov_b32_e32 v8, s16
	v_mov_b32_e32 v9, 0xff800000
	;; [unrolled: 1-line block ×3, first 2 shown]
	s_waitcnt lgkmcnt(0)
	s_and_b32 s22, s22, 0xffff
	s_lshl_b32 s23, s22, 1
	s_lshl_b32 s24, s22, 3
	v_mov_b32_e32 v11, v4
	v_mov_b32_e32 v12, v0
.LBB52_24:                              ;   Parent Loop BB52_22 Depth=1
                                        ; =>  This Inner Loop Header: Depth=2
	ds_read_b64 v[14:15], v10
	v_add_u32_e32 v12, s22, v12
	v_cmp_le_i32_e32 vcc, s7, v12
	s_or_b64 s[20:21], vcc, s[20:21]
	v_add_u32_e32 v13, 1, v11
	s_waitcnt lgkmcnt(0)
	v_cmp_gt_f32_e32 vcc, v14, v9
	v_cndmask_b32_e32 v9, v9, v14, vcc
	v_cndmask_b32_e32 v8, v8, v11, vcc
	v_cmp_gt_f32_e32 vcc, v15, v9
	v_add_u32_e32 v10, s24, v10
	v_cndmask_b32_e32 v9, v9, v15, vcc
	v_add_u32_e32 v11, s23, v11
	v_cndmask_b32_e32 v8, v8, v13, vcc
	s_andn2_b64 exec, exec, s[20:21]
	s_cbranch_execnz .LBB52_24
; %bb.25:                               ;   in Loop: Header=BB52_22 Depth=1
	s_or_b64 exec, exec, s[20:21]
.LBB52_26:                              ;   in Loop: Header=BB52_22 Depth=1
	s_or_b64 exec, exec, s[18:19]
	;;#ASMSTART
	v_max_f32 v10, v9, v9 quad_perm:[1,0,3,2] row_mask:0xf bank_mask:0xf bound_ctrl:1
	;;#ASMEND
	;;#ASMSTART
	v_max_f32 v11, v10, v10 quad_perm:[2,3,0,1] row_mask:0xf bank_mask:0xf bound_ctrl:1
	;;#ASMEND
	;;#ASMSTART
	v_max_f32 v10, v11, v11 row_half_mirror row_mask:0xf bank_mask:0xf bound_ctrl:1
	;;#ASMEND
	;;#ASMSTART
	v_max_f32 v11, v10, v10 row_mirror row_mask:0xf bank_mask:0xf bound_ctrl:1
	;;#ASMEND
	;;#ASMSTART
	v_max_f32 v10, v11, v11 row_ror:4 row_mask:0xf bank_mask:0xf bound_ctrl:1
	;;#ASMEND
	;;#ASMSTART
	v_max_f32 v11, v10, v10 row_ror:8 row_mask:0xf bank_mask:0xf bound_ctrl:1
	;;#ASMEND
	;;#ASMSTART
	v_max_f32 v10, v11, v11 row_bcast:15 row_mask:0xf bank_mask:0xf bound_ctrl:1
	;;#ASMEND
	;;#ASMSTART
	v_max_f32 v11, v10, v10 row_bcast:31 row_mask:0xf bank_mask:0xf bound_ctrl:1
	;;#ASMEND
	ds_bpermute_b32 v10, v1, v11
	s_waitcnt lgkmcnt(0)
	v_cmp_eq_f32_e32 vcc, v9, v10
	s_ff1_i32_b64 s18, vcc
	s_cmp_lg_u64 vcc, 0
	s_cselect_b32 s18, s18, 0
	s_and_b64 vcc, exec, s[8:9]
	v_readlane_b32 s18, v8, s18
	s_cbranch_vccz .LBB52_21
; %bb.27:                               ;   in Loop: Header=BB52_22 Depth=1
	s_ashr_i32 s19, s18, 31
	s_lshl_b64 s[20:21], s[18:19], 1
	s_add_u32 s20, s10, s20
	s_addc_u32 s21, s11, s21
	global_load_ushort v8, v6, s[20:21]
	s_waitcnt vmcnt(0)
	v_cvt_f32_f16_e32 v8, v8
	v_sub_f32_e32 v10, v10, v8
	s_branch .LBB52_21
.LBB52_28:
	v_mov_b32_e32 v3, 0
	v_mov_b32_e32 v2, 0
.LBB52_29:
	v_cmp_gt_i32_e32 vcc, s17, v0
	s_and_saveexec_b64 s[0:1], vcc
	s_cbranch_execz .LBB52_32
; %bb.30:
	s_load_dword s2, s[4:5], 0x34
	s_load_dwordx2 s[0:1], s[4:5], 0x20
	s_ashr_i32 s3, s6, 31
	s_load_dword s4, s[4:5], 0x44
	v_mov_b32_e32 v4, s13
	s_waitcnt lgkmcnt(0)
	v_mul_f32_e32 v1, s2, v3
	s_mul_i32 s1, s6, s1
	s_mul_hi_u32 s2, s6, s0
	s_add_i32 s1, s2, s1
	s_mul_i32 s3, s3, s0
	s_add_i32 s5, s1, s3
	s_mul_i32 s2, s6, s0
	s_and_b32 s3, s4, 0xffff
	s_mov_b64 s[0:1], 0
	v_mov_b32_e32 v3, s5
	v_mov_b32_e32 v5, s15
.LBB52_31:                              ; =>This Inner Loop Header: Depth=1
	v_ashrrev_i32_e32 v7, 31, v0
	v_add_co_u32_e32 v6, vcc, s2, v0
	v_addc_co_u32_e32 v7, vcc, v3, v7, vcc
	v_add_u32_e32 v0, s3, v0
	v_cmp_le_i32_e32 vcc, s17, v0
	v_lshlrev_b64 v[6:7], 2, v[6:7]
	s_or_b64 s[0:1], vcc, s[0:1]
	v_add_co_u32_e32 v8, vcc, s12, v6
	v_addc_co_u32_e32 v9, vcc, v4, v7, vcc
	v_add_co_u32_e32 v6, vcc, s14, v6
	v_addc_co_u32_e32 v7, vcc, v5, v7, vcc
	global_store_dword v[8:9], v1, off
	global_store_dword v[6:7], v2, off
	s_andn2_b64 exec, exec, s[0:1]
	s_cbranch_execnz .LBB52_31
.LBB52_32:
	s_endpgm
	.section	.rodata,"a",@progbits
	.p2align	6, 0x0
	.amdhsa_kernel _ZN5aiter20topk_softplus_kernelIf6__halfDv2_fLb0ELi2EEEvPKT_PKT0_PfPimiiif
		.amdhsa_group_segment_fixed_size 0
		.amdhsa_private_segment_fixed_size 0
		.amdhsa_kernarg_size 312
		.amdhsa_user_sgpr_count 6
		.amdhsa_user_sgpr_private_segment_buffer 1
		.amdhsa_user_sgpr_dispatch_ptr 0
		.amdhsa_user_sgpr_queue_ptr 0
		.amdhsa_user_sgpr_kernarg_segment_ptr 1
		.amdhsa_user_sgpr_dispatch_id 0
		.amdhsa_user_sgpr_flat_scratch_init 0
		.amdhsa_user_sgpr_kernarg_preload_length 0
		.amdhsa_user_sgpr_kernarg_preload_offset 0
		.amdhsa_user_sgpr_private_segment_size 0
		.amdhsa_uses_dynamic_stack 0
		.amdhsa_system_sgpr_private_segment_wavefront_offset 0
		.amdhsa_system_sgpr_workgroup_id_x 1
		.amdhsa_system_sgpr_workgroup_id_y 0
		.amdhsa_system_sgpr_workgroup_id_z 0
		.amdhsa_system_sgpr_workgroup_info 0
		.amdhsa_system_vgpr_workitem_id 0
		.amdhsa_next_free_vgpr 16
		.amdhsa_next_free_sgpr 25
		.amdhsa_accum_offset 16
		.amdhsa_reserve_vcc 1
		.amdhsa_reserve_flat_scratch 0
		.amdhsa_float_round_mode_32 0
		.amdhsa_float_round_mode_16_64 0
		.amdhsa_float_denorm_mode_32 3
		.amdhsa_float_denorm_mode_16_64 3
		.amdhsa_dx10_clamp 1
		.amdhsa_ieee_mode 1
		.amdhsa_fp16_overflow 0
		.amdhsa_tg_split 0
		.amdhsa_exception_fp_ieee_invalid_op 0
		.amdhsa_exception_fp_denorm_src 0
		.amdhsa_exception_fp_ieee_div_zero 0
		.amdhsa_exception_fp_ieee_overflow 0
		.amdhsa_exception_fp_ieee_underflow 0
		.amdhsa_exception_fp_ieee_inexact 0
		.amdhsa_exception_int_div_zero 0
	.end_amdhsa_kernel
	.section	.text._ZN5aiter20topk_softplus_kernelIf6__halfDv2_fLb0ELi2EEEvPKT_PKT0_PfPimiiif,"axG",@progbits,_ZN5aiter20topk_softplus_kernelIf6__halfDv2_fLb0ELi2EEEvPKT_PKT0_PfPimiiif,comdat
.Lfunc_end52:
	.size	_ZN5aiter20topk_softplus_kernelIf6__halfDv2_fLb0ELi2EEEvPKT_PKT0_PfPimiiif, .Lfunc_end52-_ZN5aiter20topk_softplus_kernelIf6__halfDv2_fLb0ELi2EEEvPKT_PKT0_PfPimiiif
                                        ; -- End function
	.section	.AMDGPU.csdata,"",@progbits
; Kernel info:
; codeLenInByte = 1660
; NumSgprs: 29
; NumVgprs: 16
; NumAgprs: 0
; TotalNumVgprs: 16
; ScratchSize: 0
; MemoryBound: 0
; FloatMode: 240
; IeeeMode: 1
; LDSByteSize: 0 bytes/workgroup (compile time only)
; SGPRBlocks: 3
; VGPRBlocks: 1
; NumSGPRsForWavesPerEU: 29
; NumVGPRsForWavesPerEU: 16
; AccumOffset: 16
; Occupancy: 8
; WaveLimiterHint : 0
; COMPUTE_PGM_RSRC2:SCRATCH_EN: 0
; COMPUTE_PGM_RSRC2:USER_SGPR: 6
; COMPUTE_PGM_RSRC2:TRAP_HANDLER: 0
; COMPUTE_PGM_RSRC2:TGID_X_EN: 1
; COMPUTE_PGM_RSRC2:TGID_Y_EN: 0
; COMPUTE_PGM_RSRC2:TGID_Z_EN: 0
; COMPUTE_PGM_RSRC2:TIDIG_COMP_CNT: 0
; COMPUTE_PGM_RSRC3_GFX90A:ACCUM_OFFSET: 3
; COMPUTE_PGM_RSRC3_GFX90A:TG_SPLIT: 0
	.section	.text._ZN5aiter20topk_softplus_kernelIf6__halfDv1_fLb1ELi2EEEvPKT_PKT0_PfPimiiif,"axG",@progbits,_ZN5aiter20topk_softplus_kernelIf6__halfDv1_fLb1ELi2EEEvPKT_PKT0_PfPimiiif,comdat
	.protected	_ZN5aiter20topk_softplus_kernelIf6__halfDv1_fLb1ELi2EEEvPKT_PKT0_PfPimiiif ; -- Begin function _ZN5aiter20topk_softplus_kernelIf6__halfDv1_fLb1ELi2EEEvPKT_PKT0_PfPimiiif
	.globl	_ZN5aiter20topk_softplus_kernelIf6__halfDv1_fLb1ELi2EEEvPKT_PKT0_PfPimiiif
	.p2align	8
	.type	_ZN5aiter20topk_softplus_kernelIf6__halfDv1_fLb1ELi2EEEvPKT_PKT0_PfPimiiif,@function
_ZN5aiter20topk_softplus_kernelIf6__halfDv1_fLb1ELi2EEEvPKT_PKT0_PfPimiiif: ; @_ZN5aiter20topk_softplus_kernelIf6__halfDv1_fLb1ELi2EEEvPKT_PKT0_PfPimiiif
; %bb.0:
	s_load_dwordx2 s[16:17], s[4:5], 0x28
	s_load_dwordx8 s[8:15], s[4:5], 0x0
	v_lshl_add_u32 v1, v0, 2, 0
	s_waitcnt lgkmcnt(0)
	s_mul_i32 s2, s6, s16
	s_ashr_i32 s3, s2, 31
	s_lshl_b64 s[2:3], s[2:3], 2
	s_add_u32 s7, s8, s2
	v_cmp_gt_i32_e64 s[0:1], s16, v0
	s_addc_u32 s18, s9, s3
	s_and_saveexec_b64 s[2:3], s[0:1]
	s_cbranch_execz .LBB53_3
; %bb.1:
	s_load_dword s19, s[4:5], 0x44
	v_lshl_add_u32 v4, v0, 2, 0
	s_mov_b64 s[8:9], 0
	v_mov_b32_e32 v5, s18
	v_mov_b32_e32 v2, v0
	s_waitcnt lgkmcnt(0)
	s_and_b32 s19, s19, 0xffff
	s_lshl_b32 s20, s19, 2
.LBB53_2:                               ; =>This Inner Loop Header: Depth=1
	v_ashrrev_i32_e32 v3, 31, v2
	v_lshlrev_b64 v[6:7], 2, v[2:3]
	v_add_co_u32_e32 v6, vcc, s7, v6
	v_addc_co_u32_e32 v7, vcc, v5, v7, vcc
	global_load_dword v3, v[6:7], off
	v_add_u32_e32 v2, s19, v2
	v_cmp_le_i32_e32 vcc, s16, v2
	s_or_b64 s[8:9], vcc, s[8:9]
	s_waitcnt vmcnt(0)
	ds_write_b32 v4, v3
	v_add_u32_e32 v4, s20, v4
	s_andn2_b64 exec, exec, s[8:9]
	s_cbranch_execnz .LBB53_2
.LBB53_3:
	s_or_b64 exec, exec, s[2:3]
	v_add_u32_e32 v2, s16, v0
	v_cmp_gt_i32_e32 vcc, s16, v2
	s_and_saveexec_b64 s[2:3], vcc
	s_cbranch_execz .LBB53_6
; %bb.4:
	s_load_dword s19, s[4:5], 0x44
	v_lshl_add_u32 v4, v2, 2, 0
	s_mov_b64 s[8:9], 0
	v_mov_b32_e32 v5, s18
	s_waitcnt lgkmcnt(0)
	s_and_b32 s19, s19, 0xffff
	s_lshl_b32 s20, s19, 2
.LBB53_5:                               ; =>This Inner Loop Header: Depth=1
	v_ashrrev_i32_e32 v3, 31, v2
	v_lshlrev_b64 v[6:7], 2, v[2:3]
	v_add_co_u32_e32 v6, vcc, s7, v6
	v_addc_co_u32_e32 v7, vcc, v5, v7, vcc
	global_load_dword v3, v[6:7], off
	v_add_u32_e32 v2, s19, v2
	v_cmp_le_i32_e32 vcc, s16, v2
	s_or_b64 s[8:9], vcc, s[8:9]
	s_waitcnt vmcnt(0)
	ds_write_b32 v4, v3
	v_add_u32_e32 v4, s20, v4
	s_andn2_b64 exec, exec, s[8:9]
	s_cbranch_execnz .LBB53_5
.LBB53_6:
	s_or_b64 exec, exec, s[2:3]
	v_mov_b32_e32 v2, 0xff800000
	s_waitcnt lgkmcnt(0)
	s_barrier
	s_and_saveexec_b64 s[2:3], s[0:1]
	s_cbranch_execz .LBB53_10
; %bb.7:
	s_load_dword s7, s[4:5], 0x44
	v_lshl_add_u32 v3, v0, 2, 0
	s_mov_b64 s[8:9], 0
	v_mov_b32_e32 v2, 0xff800000
	v_mov_b32_e32 v4, v0
	s_waitcnt lgkmcnt(0)
	s_and_b32 s7, s7, 0xffff
	s_lshl_b32 s18, s7, 2
.LBB53_8:                               ; =>This Inner Loop Header: Depth=1
	ds_read_b32 v5, v3
	v_add_u32_e32 v4, s7, v4
	v_max_f32_e32 v2, v2, v2
	v_cmp_le_i32_e32 vcc, s16, v4
	v_add_u32_e32 v3, s18, v3
	s_waitcnt lgkmcnt(0)
	v_max_f32_e32 v5, v5, v5
	s_or_b64 s[8:9], vcc, s[8:9]
	v_max_f32_e32 v2, v2, v5
	s_andn2_b64 exec, exec, s[8:9]
	s_cbranch_execnz .LBB53_8
; %bb.9:
	s_or_b64 exec, exec, s[8:9]
.LBB53_10:
	s_or_b64 exec, exec, s[2:3]
	;;#ASMSTART
	v_max_f32 v3, v2, v2 quad_perm:[1,0,3,2] row_mask:0xf bank_mask:0xf bound_ctrl:1
	;;#ASMEND
	;;#ASMSTART
	v_max_f32 v2, v3, v3 quad_perm:[2,3,0,1] row_mask:0xf bank_mask:0xf bound_ctrl:1
	;;#ASMEND
	;;#ASMSTART
	v_max_f32 v3, v2, v2 row_half_mirror row_mask:0xf bank_mask:0xf bound_ctrl:1
	;;#ASMEND
	;;#ASMSTART
	v_max_f32 v2, v3, v3 row_mirror row_mask:0xf bank_mask:0xf bound_ctrl:1
	;;#ASMEND
	;;#ASMSTART
	v_max_f32 v3, v2, v2 row_ror:4 row_mask:0xf bank_mask:0xf bound_ctrl:1
	;;#ASMEND
	;;#ASMSTART
	v_max_f32 v2, v3, v3 row_ror:8 row_mask:0xf bank_mask:0xf bound_ctrl:1
	;;#ASMEND
	;;#ASMSTART
	v_max_f32 v3, v2, v2 row_bcast:15 row_mask:0xf bank_mask:0xf bound_ctrl:1
	;;#ASMEND
	;;#ASMSTART
	v_max_f32 v2, v3, v3 row_bcast:31 row_mask:0xf bank_mask:0xf bound_ctrl:1
	;;#ASMEND
	v_mbcnt_lo_u32_b32 v3, -1, 0
	v_mbcnt_hi_u32_b32 v3, -1, v3
	v_bfrev_b32_e32 v4, 0.5
	v_lshl_or_b32 v4, v3, 2, v4
	ds_bpermute_b32 v3, v4, v2
	v_mov_b32_e32 v2, 0
	s_and_saveexec_b64 s[8:9], s[0:1]
	s_cbranch_execz .LBB53_14
; %bb.11:
	s_load_dword s2, s[4:5], 0x44
	v_lshl_add_u32 v5, v0, 2, 0
	s_mov_b64 s[18:19], 0
	v_mov_b32_e32 v2, 0
	s_mov_b32 s7, 0xc2fc0000
	s_waitcnt lgkmcnt(0)
	s_and_b32 s20, s2, 0xffff
	s_lshl_b32 s21, s20, 2
	v_mov_b32_e32 v6, 0x42800000
	v_mov_b32_e32 v7, 0x1f800000
	v_mov_b32_e32 v8, v0
.LBB53_12:                              ; =>This Inner Loop Header: Depth=1
	ds_read_b32 v9, v5
	v_add_u32_e32 v8, s20, v8
	v_cmp_le_i32_e64 s[2:3], s16, v8
	s_or_b64 s[18:19], s[2:3], s[18:19]
	s_waitcnt lgkmcnt(0)
	v_sub_f32_e32 v9, v9, v3
	v_mul_f32_e32 v10, 0x3fb8aa3b, v9
	v_cmp_gt_f32_e32 vcc, s7, v10
	v_cndmask_b32_e32 v10, 0, v6, vcc
	v_fmac_f32_e32 v10, 0x3fb8aa3b, v9
	v_exp_f32_e32 v9, v10
	v_cndmask_b32_e32 v10, 1.0, v7, vcc
	v_mul_f32_e32 v11, v9, v10
	v_fmac_f32_e32 v2, v9, v10
	ds_write_b32 v5, v11
	v_add_u32_e32 v5, s21, v5
	s_andn2_b64 exec, exec, s[18:19]
	s_cbranch_execnz .LBB53_12
; %bb.13:
	s_or_b64 exec, exec, s[18:19]
.LBB53_14:
	s_or_b64 exec, exec, s[8:9]
	s_waitcnt lgkmcnt(0)
	v_mov_b32_dpp v3, v2 quad_perm:[1,0,3,2] row_mask:0xf bank_mask:0xf
	v_add_f32_e32 v2, v2, v3
	s_nop 1
	v_mov_b32_dpp v3, v2 quad_perm:[2,3,0,1] row_mask:0xf bank_mask:0xf
	v_add_f32_e32 v2, v2, v3
	s_nop 1
	v_mov_b32_dpp v3, v2 row_half_mirror row_mask:0xf bank_mask:0xf
	v_add_f32_e32 v2, v2, v3
	s_nop 1
	v_mov_b32_dpp v3, v2 row_mirror row_mask:0xf bank_mask:0xf
	v_add_f32_e32 v2, v2, v3
	s_nop 1
	v_mov_b32_dpp v3, v2 row_bcast:15 row_mask:0xf bank_mask:0xf
	v_add_f32_e32 v2, v2, v3
	s_nop 1
	v_mov_b32_dpp v3, v2 row_bcast:31 row_mask:0xf bank_mask:0xf
	v_add_f32_e32 v2, v2, v3
	ds_bpermute_b32 v2, v4, v2
	s_and_saveexec_b64 s[8:9], s[0:1]
	s_cbranch_execz .LBB53_19
; %bb.15:
	s_load_dword s7, s[4:5], 0x44
	s_waitcnt lgkmcnt(0)
	v_rcp_f32_e32 v5, v2
	s_cmp_lg_u64 s[10:11], 0
	s_cselect_b64 s[2:3], -1, 0
	v_cndmask_b32_e64 v2, 0, 1, s[2:3]
	s_and_b32 s7, s7, 0xffff
	s_mov_b64 s[18:19], 0
	v_lshl_add_u32 v6, v0, 2, 0
	s_lshl_b32 s20, s7, 2
	v_cmp_ne_u32_e64 s[2:3], 1, v2
	v_mov_b32_e32 v2, v0
	s_branch .LBB53_17
.LBB53_16:                              ;   in Loop: Header=BB53_17 Depth=1
	v_add_u32_e32 v2, s7, v2
	v_cmp_le_i32_e32 vcc, s16, v2
	s_or_b64 s[18:19], vcc, s[18:19]
	v_add_u32_e32 v6, s20, v6
	s_andn2_b64 exec, exec, s[18:19]
	s_cbranch_execz .LBB53_19
.LBB53_17:                              ; =>This Inner Loop Header: Depth=1
	ds_read_b32 v3, v6
	s_and_b64 vcc, exec, s[2:3]
	s_waitcnt lgkmcnt(0)
	v_mul_f32_e32 v7, v5, v3
	ds_write_b32 v6, v7
	s_cbranch_vccnz .LBB53_16
; %bb.18:                               ;   in Loop: Header=BB53_17 Depth=1
	v_ashrrev_i32_e32 v3, 31, v2
	v_lshlrev_b64 v[8:9], 1, v[2:3]
	v_mov_b32_e32 v3, s11
	v_add_co_u32_e32 v8, vcc, s10, v8
	v_addc_co_u32_e32 v9, vcc, v3, v9, vcc
	global_load_ushort v3, v[8:9], off
	s_waitcnt vmcnt(0)
	v_cvt_f32_f16_e32 v3, v3
	v_add_f32_e32 v3, v7, v3
	ds_write_b32 v6, v3
	s_branch .LBB53_16
.LBB53_19:
	s_or_b64 exec, exec, s[8:9]
	s_cmp_lt_i32 s17, 1
	v_mov_b32_e32 v3, 0
	s_waitcnt lgkmcnt(0)
	s_barrier
	s_cbranch_scc1 .LBB53_28
; %bb.20:
	s_add_u32 s2, s4, 56
	s_addc_u32 s3, s5, 0
	s_cmp_lg_u64 s[10:11], 0
	s_cselect_b64 s[8:9], -1, 0
	s_mov_b32 s7, 0
	v_mov_b32_e32 v3, 0
	v_mov_b32_e32 v6, 0
	;; [unrolled: 1-line block ×5, first 2 shown]
	s_branch .LBB53_22
.LBB53_21:                              ;   in Loop: Header=BB53_22 Depth=1
	s_lshl_b32 s19, s18, 2
	s_add_i32 s19, s19, 0
	v_mov_b32_e32 v8, s19
	ds_write_b32 v8, v7
	v_mov_b32_e32 v8, s18
	v_cmp_eq_u32_e32 vcc, s7, v0
	s_add_i32 s7, s7, 1
	v_cndmask_b32_e32 v2, v2, v8, vcc
	v_cndmask_b32_e32 v3, v3, v10, vcc
	s_cmp_eq_u32 s7, s17
	v_add_f32_e32 v5, v5, v10
	s_cbranch_scc1 .LBB53_29
.LBB53_22:                              ; =>This Loop Header: Depth=1
                                        ;     Child Loop BB53_24 Depth 2
	v_mov_b32_e32 v8, s7
	v_mov_b32_e32 v9, 0xff800000
	s_and_saveexec_b64 s[18:19], s[0:1]
	s_cbranch_execz .LBB53_26
; %bb.23:                               ;   in Loop: Header=BB53_22 Depth=1
	s_load_dword s22, s[2:3], 0xc
	s_mov_b64 s[20:21], 0
	v_mov_b32_e32 v8, s7
	v_mov_b32_e32 v9, 0xff800000
	;; [unrolled: 1-line block ×3, first 2 shown]
	s_waitcnt lgkmcnt(0)
	s_and_b32 s22, s22, 0xffff
	s_lshl_b32 s23, s22, 2
	v_mov_b32_e32 v11, v0
.LBB53_24:                              ;   Parent Loop BB53_22 Depth=1
                                        ; =>  This Inner Loop Header: Depth=2
	ds_read_b32 v12, v10
	v_add_u32_e32 v10, s23, v10
	s_waitcnt lgkmcnt(0)
	v_cmp_gt_f32_e32 vcc, v12, v9
	v_cndmask_b32_e32 v8, v8, v11, vcc
	v_add_u32_e32 v11, s22, v11
	v_cndmask_b32_e32 v9, v9, v12, vcc
	v_cmp_le_i32_e32 vcc, s16, v11
	s_or_b64 s[20:21], vcc, s[20:21]
	s_andn2_b64 exec, exec, s[20:21]
	s_cbranch_execnz .LBB53_24
; %bb.25:                               ;   in Loop: Header=BB53_22 Depth=1
	s_or_b64 exec, exec, s[20:21]
.LBB53_26:                              ;   in Loop: Header=BB53_22 Depth=1
	s_or_b64 exec, exec, s[18:19]
	;;#ASMSTART
	v_max_f32 v10, v9, v9 quad_perm:[1,0,3,2] row_mask:0xf bank_mask:0xf bound_ctrl:1
	;;#ASMEND
	;;#ASMSTART
	v_max_f32 v11, v10, v10 quad_perm:[2,3,0,1] row_mask:0xf bank_mask:0xf bound_ctrl:1
	;;#ASMEND
	;;#ASMSTART
	v_max_f32 v10, v11, v11 row_half_mirror row_mask:0xf bank_mask:0xf bound_ctrl:1
	;;#ASMEND
	;;#ASMSTART
	v_max_f32 v11, v10, v10 row_mirror row_mask:0xf bank_mask:0xf bound_ctrl:1
	;;#ASMEND
	;;#ASMSTART
	v_max_f32 v10, v11, v11 row_ror:4 row_mask:0xf bank_mask:0xf bound_ctrl:1
	;;#ASMEND
	;;#ASMSTART
	v_max_f32 v11, v10, v10 row_ror:8 row_mask:0xf bank_mask:0xf bound_ctrl:1
	;;#ASMEND
	;;#ASMSTART
	v_max_f32 v10, v11, v11 row_bcast:15 row_mask:0xf bank_mask:0xf bound_ctrl:1
	;;#ASMEND
	;;#ASMSTART
	v_max_f32 v11, v10, v10 row_bcast:31 row_mask:0xf bank_mask:0xf bound_ctrl:1
	;;#ASMEND
	ds_bpermute_b32 v10, v4, v11
	s_waitcnt lgkmcnt(0)
	v_cmp_eq_f32_e32 vcc, v9, v10
	s_ff1_i32_b64 s18, vcc
	s_cmp_lg_u64 vcc, 0
	s_cselect_b32 s18, s18, 0
	s_and_b64 vcc, exec, s[8:9]
	v_readlane_b32 s18, v8, s18
	s_cbranch_vccz .LBB53_21
; %bb.27:                               ;   in Loop: Header=BB53_22 Depth=1
	s_ashr_i32 s19, s18, 31
	s_lshl_b64 s[20:21], s[18:19], 1
	s_add_u32 s20, s10, s20
	s_addc_u32 s21, s11, s21
	global_load_ushort v8, v6, s[20:21]
	s_waitcnt vmcnt(0)
	v_cvt_f32_f16_e32 v8, v8
	v_sub_f32_e32 v10, v10, v8
	s_branch .LBB53_21
.LBB53_28:
	v_mov_b32_e32 v2, 0
	v_mov_b32_e32 v5, 0
.LBB53_29:
	v_cmp_gt_i32_e32 vcc, s17, v0
	s_and_saveexec_b64 s[0:1], vcc
	s_cbranch_execz .LBB53_32
; %bb.30:
	s_load_dword s2, s[4:5], 0x34
	v_max_f32_e32 v1, v5, v5
	v_max_f32_e32 v1, 0x1e3ce508, v1
	s_load_dword s3, s[4:5], 0x44
	s_waitcnt lgkmcnt(0)
	v_div_scale_f32 v4, s[0:1], v1, v1, s2
	s_load_dwordx2 s[0:1], s[4:5], 0x20
	v_rcp_f32_e32 v5, v4
	v_div_scale_f32 v6, vcc, s2, v1, s2
	s_and_b32 s3, s3, 0xffff
	v_fma_f32 v7, -v4, v5, 1.0
	v_fmac_f32_e32 v5, v7, v5
	v_mul_f32_e32 v7, v6, v5
	v_fma_f32 v8, -v4, v7, v6
	v_fmac_f32_e32 v7, v8, v5
	v_fma_f32 v4, -v4, v7, v6
	v_div_fmas_f32 v4, v4, v5, v7
	v_div_fixup_f32 v1, v4, v1, s2
	s_ashr_i32 s2, s6, 31
	s_waitcnt lgkmcnt(0)
	s_mul_i32 s1, s6, s1
	s_mul_hi_u32 s4, s6, s0
	s_add_i32 s1, s4, s1
	s_mul_i32 s2, s2, s0
	s_add_i32 s4, s1, s2
	v_mul_f32_e32 v1, v3, v1
	s_mul_i32 s2, s6, s0
	s_mov_b64 s[0:1], 0
	v_mov_b32_e32 v3, s4
	v_mov_b32_e32 v4, s13
	;; [unrolled: 1-line block ×3, first 2 shown]
.LBB53_31:                              ; =>This Inner Loop Header: Depth=1
	v_ashrrev_i32_e32 v7, 31, v0
	v_add_co_u32_e32 v6, vcc, s2, v0
	v_addc_co_u32_e32 v7, vcc, v3, v7, vcc
	v_add_u32_e32 v0, s3, v0
	v_cmp_le_i32_e32 vcc, s17, v0
	v_lshlrev_b64 v[6:7], 2, v[6:7]
	s_or_b64 s[0:1], vcc, s[0:1]
	v_add_co_u32_e32 v8, vcc, s12, v6
	v_addc_co_u32_e32 v9, vcc, v4, v7, vcc
	v_add_co_u32_e32 v6, vcc, s14, v6
	v_addc_co_u32_e32 v7, vcc, v5, v7, vcc
	global_store_dword v[8:9], v1, off
	global_store_dword v[6:7], v2, off
	s_andn2_b64 exec, exec, s[0:1]
	s_cbranch_execnz .LBB53_31
.LBB53_32:
	s_endpgm
	.section	.rodata,"a",@progbits
	.p2align	6, 0x0
	.amdhsa_kernel _ZN5aiter20topk_softplus_kernelIf6__halfDv1_fLb1ELi2EEEvPKT_PKT0_PfPimiiif
		.amdhsa_group_segment_fixed_size 0
		.amdhsa_private_segment_fixed_size 0
		.amdhsa_kernarg_size 312
		.amdhsa_user_sgpr_count 6
		.amdhsa_user_sgpr_private_segment_buffer 1
		.amdhsa_user_sgpr_dispatch_ptr 0
		.amdhsa_user_sgpr_queue_ptr 0
		.amdhsa_user_sgpr_kernarg_segment_ptr 1
		.amdhsa_user_sgpr_dispatch_id 0
		.amdhsa_user_sgpr_flat_scratch_init 0
		.amdhsa_user_sgpr_kernarg_preload_length 0
		.amdhsa_user_sgpr_kernarg_preload_offset 0
		.amdhsa_user_sgpr_private_segment_size 0
		.amdhsa_uses_dynamic_stack 0
		.amdhsa_system_sgpr_private_segment_wavefront_offset 0
		.amdhsa_system_sgpr_workgroup_id_x 1
		.amdhsa_system_sgpr_workgroup_id_y 0
		.amdhsa_system_sgpr_workgroup_id_z 0
		.amdhsa_system_sgpr_workgroup_info 0
		.amdhsa_system_vgpr_workitem_id 0
		.amdhsa_next_free_vgpr 13
		.amdhsa_next_free_sgpr 24
		.amdhsa_accum_offset 16
		.amdhsa_reserve_vcc 1
		.amdhsa_reserve_flat_scratch 0
		.amdhsa_float_round_mode_32 0
		.amdhsa_float_round_mode_16_64 0
		.amdhsa_float_denorm_mode_32 3
		.amdhsa_float_denorm_mode_16_64 3
		.amdhsa_dx10_clamp 1
		.amdhsa_ieee_mode 1
		.amdhsa_fp16_overflow 0
		.amdhsa_tg_split 0
		.amdhsa_exception_fp_ieee_invalid_op 0
		.amdhsa_exception_fp_denorm_src 0
		.amdhsa_exception_fp_ieee_div_zero 0
		.amdhsa_exception_fp_ieee_overflow 0
		.amdhsa_exception_fp_ieee_underflow 0
		.amdhsa_exception_fp_ieee_inexact 0
		.amdhsa_exception_int_div_zero 0
	.end_amdhsa_kernel
	.section	.text._ZN5aiter20topk_softplus_kernelIf6__halfDv1_fLb1ELi2EEEvPKT_PKT0_PfPimiiif,"axG",@progbits,_ZN5aiter20topk_softplus_kernelIf6__halfDv1_fLb1ELi2EEEvPKT_PKT0_PfPimiiif,comdat
.Lfunc_end53:
	.size	_ZN5aiter20topk_softplus_kernelIf6__halfDv1_fLb1ELi2EEEvPKT_PKT0_PfPimiiif, .Lfunc_end53-_ZN5aiter20topk_softplus_kernelIf6__halfDv1_fLb1ELi2EEEvPKT_PKT0_PfPimiiif
                                        ; -- End function
	.section	.AMDGPU.csdata,"",@progbits
; Kernel info:
; codeLenInByte = 1668
; NumSgprs: 28
; NumVgprs: 13
; NumAgprs: 0
; TotalNumVgprs: 13
; ScratchSize: 0
; MemoryBound: 0
; FloatMode: 240
; IeeeMode: 1
; LDSByteSize: 0 bytes/workgroup (compile time only)
; SGPRBlocks: 3
; VGPRBlocks: 1
; NumSGPRsForWavesPerEU: 28
; NumVGPRsForWavesPerEU: 13
; AccumOffset: 16
; Occupancy: 8
; WaveLimiterHint : 0
; COMPUTE_PGM_RSRC2:SCRATCH_EN: 0
; COMPUTE_PGM_RSRC2:USER_SGPR: 6
; COMPUTE_PGM_RSRC2:TRAP_HANDLER: 0
; COMPUTE_PGM_RSRC2:TGID_X_EN: 1
; COMPUTE_PGM_RSRC2:TGID_Y_EN: 0
; COMPUTE_PGM_RSRC2:TGID_Z_EN: 0
; COMPUTE_PGM_RSRC2:TIDIG_COMP_CNT: 0
; COMPUTE_PGM_RSRC3_GFX90A:ACCUM_OFFSET: 3
; COMPUTE_PGM_RSRC3_GFX90A:TG_SPLIT: 0
	.section	.text._ZN5aiter20topk_softplus_kernelIf6__halfDv1_fLb0ELi2EEEvPKT_PKT0_PfPimiiif,"axG",@progbits,_ZN5aiter20topk_softplus_kernelIf6__halfDv1_fLb0ELi2EEEvPKT_PKT0_PfPimiiif,comdat
	.protected	_ZN5aiter20topk_softplus_kernelIf6__halfDv1_fLb0ELi2EEEvPKT_PKT0_PfPimiiif ; -- Begin function _ZN5aiter20topk_softplus_kernelIf6__halfDv1_fLb0ELi2EEEvPKT_PKT0_PfPimiiif
	.globl	_ZN5aiter20topk_softplus_kernelIf6__halfDv1_fLb0ELi2EEEvPKT_PKT0_PfPimiiif
	.p2align	8
	.type	_ZN5aiter20topk_softplus_kernelIf6__halfDv1_fLb0ELi2EEEvPKT_PKT0_PfPimiiif,@function
_ZN5aiter20topk_softplus_kernelIf6__halfDv1_fLb0ELi2EEEvPKT_PKT0_PfPimiiif: ; @_ZN5aiter20topk_softplus_kernelIf6__halfDv1_fLb0ELi2EEEvPKT_PKT0_PfPimiiif
; %bb.0:
	s_load_dwordx2 s[16:17], s[4:5], 0x28
	s_load_dwordx8 s[8:15], s[4:5], 0x0
	v_lshl_add_u32 v1, v0, 2, 0
	s_waitcnt lgkmcnt(0)
	s_mul_i32 s2, s6, s16
	s_ashr_i32 s3, s2, 31
	s_lshl_b64 s[2:3], s[2:3], 2
	s_add_u32 s7, s8, s2
	v_cmp_gt_i32_e64 s[0:1], s16, v0
	s_addc_u32 s18, s9, s3
	s_and_saveexec_b64 s[2:3], s[0:1]
	s_cbranch_execz .LBB54_3
; %bb.1:
	s_load_dword s19, s[4:5], 0x44
	v_lshl_add_u32 v4, v0, 2, 0
	s_mov_b64 s[8:9], 0
	v_mov_b32_e32 v5, s18
	v_mov_b32_e32 v2, v0
	s_waitcnt lgkmcnt(0)
	s_and_b32 s19, s19, 0xffff
	s_lshl_b32 s20, s19, 2
.LBB54_2:                               ; =>This Inner Loop Header: Depth=1
	v_ashrrev_i32_e32 v3, 31, v2
	v_lshlrev_b64 v[6:7], 2, v[2:3]
	v_add_co_u32_e32 v6, vcc, s7, v6
	v_addc_co_u32_e32 v7, vcc, v5, v7, vcc
	global_load_dword v3, v[6:7], off
	v_add_u32_e32 v2, s19, v2
	v_cmp_le_i32_e32 vcc, s16, v2
	s_or_b64 s[8:9], vcc, s[8:9]
	s_waitcnt vmcnt(0)
	ds_write_b32 v4, v3
	v_add_u32_e32 v4, s20, v4
	s_andn2_b64 exec, exec, s[8:9]
	s_cbranch_execnz .LBB54_2
.LBB54_3:
	s_or_b64 exec, exec, s[2:3]
	v_add_u32_e32 v2, s16, v0
	v_cmp_gt_i32_e32 vcc, s16, v2
	s_and_saveexec_b64 s[2:3], vcc
	s_cbranch_execz .LBB54_6
; %bb.4:
	s_load_dword s19, s[4:5], 0x44
	v_lshl_add_u32 v4, v2, 2, 0
	s_mov_b64 s[8:9], 0
	v_mov_b32_e32 v5, s18
	s_waitcnt lgkmcnt(0)
	s_and_b32 s19, s19, 0xffff
	s_lshl_b32 s20, s19, 2
.LBB54_5:                               ; =>This Inner Loop Header: Depth=1
	v_ashrrev_i32_e32 v3, 31, v2
	v_lshlrev_b64 v[6:7], 2, v[2:3]
	v_add_co_u32_e32 v6, vcc, s7, v6
	v_addc_co_u32_e32 v7, vcc, v5, v7, vcc
	global_load_dword v3, v[6:7], off
	v_add_u32_e32 v2, s19, v2
	v_cmp_le_i32_e32 vcc, s16, v2
	s_or_b64 s[8:9], vcc, s[8:9]
	s_waitcnt vmcnt(0)
	ds_write_b32 v4, v3
	v_add_u32_e32 v4, s20, v4
	s_andn2_b64 exec, exec, s[8:9]
	s_cbranch_execnz .LBB54_5
.LBB54_6:
	s_or_b64 exec, exec, s[2:3]
	v_mov_b32_e32 v2, 0xff800000
	s_waitcnt lgkmcnt(0)
	s_barrier
	s_and_saveexec_b64 s[2:3], s[0:1]
	s_cbranch_execz .LBB54_10
; %bb.7:
	s_load_dword s7, s[4:5], 0x44
	v_lshl_add_u32 v3, v0, 2, 0
	s_mov_b64 s[8:9], 0
	v_mov_b32_e32 v2, 0xff800000
	v_mov_b32_e32 v4, v0
	s_waitcnt lgkmcnt(0)
	s_and_b32 s7, s7, 0xffff
	s_lshl_b32 s18, s7, 2
.LBB54_8:                               ; =>This Inner Loop Header: Depth=1
	ds_read_b32 v5, v3
	v_add_u32_e32 v4, s7, v4
	v_max_f32_e32 v2, v2, v2
	v_cmp_le_i32_e32 vcc, s16, v4
	v_add_u32_e32 v3, s18, v3
	s_waitcnt lgkmcnt(0)
	v_max_f32_e32 v5, v5, v5
	s_or_b64 s[8:9], vcc, s[8:9]
	v_max_f32_e32 v2, v2, v5
	s_andn2_b64 exec, exec, s[8:9]
	s_cbranch_execnz .LBB54_8
; %bb.9:
	s_or_b64 exec, exec, s[8:9]
.LBB54_10:
	s_or_b64 exec, exec, s[2:3]
	;;#ASMSTART
	v_max_f32 v3, v2, v2 quad_perm:[1,0,3,2] row_mask:0xf bank_mask:0xf bound_ctrl:1
	;;#ASMEND
	;;#ASMSTART
	v_max_f32 v2, v3, v3 quad_perm:[2,3,0,1] row_mask:0xf bank_mask:0xf bound_ctrl:1
	;;#ASMEND
	;;#ASMSTART
	v_max_f32 v3, v2, v2 row_half_mirror row_mask:0xf bank_mask:0xf bound_ctrl:1
	;;#ASMEND
	;;#ASMSTART
	v_max_f32 v2, v3, v3 row_mirror row_mask:0xf bank_mask:0xf bound_ctrl:1
	;;#ASMEND
	;;#ASMSTART
	v_max_f32 v3, v2, v2 row_ror:4 row_mask:0xf bank_mask:0xf bound_ctrl:1
	;;#ASMEND
	;;#ASMSTART
	v_max_f32 v2, v3, v3 row_ror:8 row_mask:0xf bank_mask:0xf bound_ctrl:1
	;;#ASMEND
	;;#ASMSTART
	v_max_f32 v3, v2, v2 row_bcast:15 row_mask:0xf bank_mask:0xf bound_ctrl:1
	;;#ASMEND
	;;#ASMSTART
	v_max_f32 v2, v3, v3 row_bcast:31 row_mask:0xf bank_mask:0xf bound_ctrl:1
	;;#ASMEND
	v_mbcnt_lo_u32_b32 v3, -1, 0
	v_mbcnt_hi_u32_b32 v3, -1, v3
	v_bfrev_b32_e32 v4, 0.5
	v_lshl_or_b32 v4, v3, 2, v4
	ds_bpermute_b32 v3, v4, v2
	v_mov_b32_e32 v2, 0
	s_and_saveexec_b64 s[8:9], s[0:1]
	s_cbranch_execz .LBB54_14
; %bb.11:
	s_load_dword s2, s[4:5], 0x44
	v_lshl_add_u32 v5, v0, 2, 0
	s_mov_b64 s[18:19], 0
	v_mov_b32_e32 v2, 0
	s_mov_b32 s7, 0xc2fc0000
	s_waitcnt lgkmcnt(0)
	s_and_b32 s20, s2, 0xffff
	s_lshl_b32 s21, s20, 2
	v_mov_b32_e32 v6, 0x42800000
	v_mov_b32_e32 v7, 0x1f800000
	;; [unrolled: 1-line block ×3, first 2 shown]
.LBB54_12:                              ; =>This Inner Loop Header: Depth=1
	ds_read_b32 v9, v5
	v_add_u32_e32 v8, s20, v8
	v_cmp_le_i32_e64 s[2:3], s16, v8
	s_or_b64 s[18:19], s[2:3], s[18:19]
	s_waitcnt lgkmcnt(0)
	v_sub_f32_e32 v9, v9, v3
	v_mul_f32_e32 v10, 0x3fb8aa3b, v9
	v_cmp_gt_f32_e32 vcc, s7, v10
	v_cndmask_b32_e32 v10, 0, v6, vcc
	v_fmac_f32_e32 v10, 0x3fb8aa3b, v9
	v_exp_f32_e32 v9, v10
	v_cndmask_b32_e32 v10, 1.0, v7, vcc
	v_mul_f32_e32 v11, v9, v10
	v_fmac_f32_e32 v2, v9, v10
	ds_write_b32 v5, v11
	v_add_u32_e32 v5, s21, v5
	s_andn2_b64 exec, exec, s[18:19]
	s_cbranch_execnz .LBB54_12
; %bb.13:
	s_or_b64 exec, exec, s[18:19]
.LBB54_14:
	s_or_b64 exec, exec, s[8:9]
	s_waitcnt lgkmcnt(0)
	v_mov_b32_dpp v3, v2 quad_perm:[1,0,3,2] row_mask:0xf bank_mask:0xf
	v_add_f32_e32 v2, v2, v3
	s_nop 1
	v_mov_b32_dpp v3, v2 quad_perm:[2,3,0,1] row_mask:0xf bank_mask:0xf
	v_add_f32_e32 v2, v2, v3
	s_nop 1
	v_mov_b32_dpp v3, v2 row_half_mirror row_mask:0xf bank_mask:0xf
	v_add_f32_e32 v2, v2, v3
	s_nop 1
	v_mov_b32_dpp v3, v2 row_mirror row_mask:0xf bank_mask:0xf
	v_add_f32_e32 v2, v2, v3
	s_nop 1
	v_mov_b32_dpp v3, v2 row_bcast:15 row_mask:0xf bank_mask:0xf
	v_add_f32_e32 v2, v2, v3
	s_nop 1
	v_mov_b32_dpp v3, v2 row_bcast:31 row_mask:0xf bank_mask:0xf
	v_add_f32_e32 v2, v2, v3
	ds_bpermute_b32 v2, v4, v2
	s_and_saveexec_b64 s[8:9], s[0:1]
	s_cbranch_execz .LBB54_19
; %bb.15:
	s_load_dword s7, s[4:5], 0x44
	s_waitcnt lgkmcnt(0)
	v_rcp_f32_e32 v5, v2
	s_cmp_lg_u64 s[10:11], 0
	s_cselect_b64 s[2:3], -1, 0
	v_cndmask_b32_e64 v2, 0, 1, s[2:3]
	s_and_b32 s7, s7, 0xffff
	s_mov_b64 s[18:19], 0
	v_lshl_add_u32 v6, v0, 2, 0
	s_lshl_b32 s20, s7, 2
	v_cmp_ne_u32_e64 s[2:3], 1, v2
	v_mov_b32_e32 v2, v0
	s_branch .LBB54_17
.LBB54_16:                              ;   in Loop: Header=BB54_17 Depth=1
	v_add_u32_e32 v2, s7, v2
	v_cmp_le_i32_e32 vcc, s16, v2
	s_or_b64 s[18:19], vcc, s[18:19]
	v_add_u32_e32 v6, s20, v6
	s_andn2_b64 exec, exec, s[18:19]
	s_cbranch_execz .LBB54_19
.LBB54_17:                              ; =>This Inner Loop Header: Depth=1
	ds_read_b32 v3, v6
	s_and_b64 vcc, exec, s[2:3]
	s_waitcnt lgkmcnt(0)
	v_mul_f32_e32 v7, v5, v3
	ds_write_b32 v6, v7
	s_cbranch_vccnz .LBB54_16
; %bb.18:                               ;   in Loop: Header=BB54_17 Depth=1
	v_ashrrev_i32_e32 v3, 31, v2
	v_lshlrev_b64 v[8:9], 1, v[2:3]
	v_mov_b32_e32 v3, s11
	v_add_co_u32_e32 v8, vcc, s10, v8
	v_addc_co_u32_e32 v9, vcc, v3, v9, vcc
	global_load_ushort v3, v[8:9], off
	s_waitcnt vmcnt(0)
	v_cvt_f32_f16_e32 v3, v3
	v_add_f32_e32 v3, v7, v3
	ds_write_b32 v6, v3
	s_branch .LBB54_16
.LBB54_19:
	s_or_b64 exec, exec, s[8:9]
	s_cmp_lt_i32 s17, 1
	s_waitcnt lgkmcnt(0)
	s_barrier
	s_cbranch_scc1 .LBB54_28
; %bb.20:
	s_add_u32 s2, s4, 56
	s_addc_u32 s3, s5, 0
	s_cmp_lg_u64 s[10:11], 0
	s_cselect_b64 s[8:9], -1, 0
	s_mov_b32 s7, 0
	v_mov_b32_e32 v2, 0
	v_mov_b32_e32 v5, 0
	v_mov_b32_e32 v6, 0xff800000
	v_mov_b32_e32 v3, 0
	s_branch .LBB54_22
.LBB54_21:                              ;   in Loop: Header=BB54_22 Depth=1
	s_lshl_b32 s19, s18, 2
	s_add_i32 s19, s19, 0
	v_mov_b32_e32 v7, s19
	ds_write_b32 v7, v6
	v_mov_b32_e32 v7, s18
	v_cmp_eq_u32_e32 vcc, s7, v0
	s_add_i32 s7, s7, 1
	v_cndmask_b32_e32 v2, v2, v7, vcc
	s_cmp_eq_u32 s7, s17
	v_cndmask_b32_e32 v3, v3, v9, vcc
	s_cbranch_scc1 .LBB54_29
.LBB54_22:                              ; =>This Loop Header: Depth=1
                                        ;     Child Loop BB54_24 Depth 2
	v_mov_b32_e32 v7, s7
	v_mov_b32_e32 v8, 0xff800000
	s_and_saveexec_b64 s[18:19], s[0:1]
	s_cbranch_execz .LBB54_26
; %bb.23:                               ;   in Loop: Header=BB54_22 Depth=1
	s_load_dword s22, s[2:3], 0xc
	s_mov_b64 s[20:21], 0
	v_mov_b32_e32 v7, s7
	v_mov_b32_e32 v8, 0xff800000
	;; [unrolled: 1-line block ×3, first 2 shown]
	s_waitcnt lgkmcnt(0)
	s_and_b32 s22, s22, 0xffff
	s_lshl_b32 s23, s22, 2
	v_mov_b32_e32 v10, v0
.LBB54_24:                              ;   Parent Loop BB54_22 Depth=1
                                        ; =>  This Inner Loop Header: Depth=2
	ds_read_b32 v11, v9
	v_add_u32_e32 v9, s23, v9
	s_waitcnt lgkmcnt(0)
	v_cmp_gt_f32_e32 vcc, v11, v8
	v_cndmask_b32_e32 v7, v7, v10, vcc
	v_add_u32_e32 v10, s22, v10
	v_cndmask_b32_e32 v8, v8, v11, vcc
	v_cmp_le_i32_e32 vcc, s16, v10
	s_or_b64 s[20:21], vcc, s[20:21]
	s_andn2_b64 exec, exec, s[20:21]
	s_cbranch_execnz .LBB54_24
; %bb.25:                               ;   in Loop: Header=BB54_22 Depth=1
	s_or_b64 exec, exec, s[20:21]
.LBB54_26:                              ;   in Loop: Header=BB54_22 Depth=1
	s_or_b64 exec, exec, s[18:19]
	;;#ASMSTART
	v_max_f32 v9, v8, v8 quad_perm:[1,0,3,2] row_mask:0xf bank_mask:0xf bound_ctrl:1
	;;#ASMEND
	;;#ASMSTART
	v_max_f32 v10, v9, v9 quad_perm:[2,3,0,1] row_mask:0xf bank_mask:0xf bound_ctrl:1
	;;#ASMEND
	;;#ASMSTART
	v_max_f32 v9, v10, v10 row_half_mirror row_mask:0xf bank_mask:0xf bound_ctrl:1
	;;#ASMEND
	;;#ASMSTART
	v_max_f32 v10, v9, v9 row_mirror row_mask:0xf bank_mask:0xf bound_ctrl:1
	;;#ASMEND
	;;#ASMSTART
	v_max_f32 v9, v10, v10 row_ror:4 row_mask:0xf bank_mask:0xf bound_ctrl:1
	;;#ASMEND
	;;#ASMSTART
	v_max_f32 v10, v9, v9 row_ror:8 row_mask:0xf bank_mask:0xf bound_ctrl:1
	;;#ASMEND
	;;#ASMSTART
	v_max_f32 v9, v10, v10 row_bcast:15 row_mask:0xf bank_mask:0xf bound_ctrl:1
	;;#ASMEND
	;;#ASMSTART
	v_max_f32 v10, v9, v9 row_bcast:31 row_mask:0xf bank_mask:0xf bound_ctrl:1
	;;#ASMEND
	ds_bpermute_b32 v9, v4, v10
	s_waitcnt lgkmcnt(0)
	v_cmp_eq_f32_e32 vcc, v8, v9
	s_ff1_i32_b64 s18, vcc
	s_cmp_lg_u64 vcc, 0
	s_cselect_b32 s18, s18, 0
	s_and_b64 vcc, exec, s[8:9]
	v_readlane_b32 s18, v7, s18
	s_cbranch_vccz .LBB54_21
; %bb.27:                               ;   in Loop: Header=BB54_22 Depth=1
	s_ashr_i32 s19, s18, 31
	s_lshl_b64 s[20:21], s[18:19], 1
	s_add_u32 s20, s10, s20
	s_addc_u32 s21, s11, s21
	global_load_ushort v7, v5, s[20:21]
	s_waitcnt vmcnt(0)
	v_cvt_f32_f16_e32 v7, v7
	v_sub_f32_e32 v9, v9, v7
	s_branch .LBB54_21
.LBB54_28:
	v_mov_b32_e32 v3, 0
	v_mov_b32_e32 v2, 0
.LBB54_29:
	v_cmp_gt_i32_e32 vcc, s17, v0
	s_and_saveexec_b64 s[0:1], vcc
	s_cbranch_execz .LBB54_32
; %bb.30:
	s_load_dword s2, s[4:5], 0x34
	s_load_dwordx2 s[0:1], s[4:5], 0x20
	s_ashr_i32 s3, s6, 31
	s_load_dword s4, s[4:5], 0x44
	v_mov_b32_e32 v4, s13
	s_waitcnt lgkmcnt(0)
	v_mul_f32_e32 v1, s2, v3
	s_mul_i32 s1, s6, s1
	s_mul_hi_u32 s2, s6, s0
	s_add_i32 s1, s2, s1
	s_mul_i32 s3, s3, s0
	s_add_i32 s5, s1, s3
	s_mul_i32 s2, s6, s0
	s_and_b32 s3, s4, 0xffff
	s_mov_b64 s[0:1], 0
	v_mov_b32_e32 v3, s5
	v_mov_b32_e32 v5, s15
.LBB54_31:                              ; =>This Inner Loop Header: Depth=1
	v_ashrrev_i32_e32 v7, 31, v0
	v_add_co_u32_e32 v6, vcc, s2, v0
	v_addc_co_u32_e32 v7, vcc, v3, v7, vcc
	v_add_u32_e32 v0, s3, v0
	v_cmp_le_i32_e32 vcc, s17, v0
	v_lshlrev_b64 v[6:7], 2, v[6:7]
	s_or_b64 s[0:1], vcc, s[0:1]
	v_add_co_u32_e32 v8, vcc, s12, v6
	v_addc_co_u32_e32 v9, vcc, v4, v7, vcc
	v_add_co_u32_e32 v6, vcc, s14, v6
	v_addc_co_u32_e32 v7, vcc, v5, v7, vcc
	global_store_dword v[8:9], v1, off
	global_store_dword v[6:7], v2, off
	s_andn2_b64 exec, exec, s[0:1]
	s_cbranch_execnz .LBB54_31
.LBB54_32:
	s_endpgm
	.section	.rodata,"a",@progbits
	.p2align	6, 0x0
	.amdhsa_kernel _ZN5aiter20topk_softplus_kernelIf6__halfDv1_fLb0ELi2EEEvPKT_PKT0_PfPimiiif
		.amdhsa_group_segment_fixed_size 0
		.amdhsa_private_segment_fixed_size 0
		.amdhsa_kernarg_size 312
		.amdhsa_user_sgpr_count 6
		.amdhsa_user_sgpr_private_segment_buffer 1
		.amdhsa_user_sgpr_dispatch_ptr 0
		.amdhsa_user_sgpr_queue_ptr 0
		.amdhsa_user_sgpr_kernarg_segment_ptr 1
		.amdhsa_user_sgpr_dispatch_id 0
		.amdhsa_user_sgpr_flat_scratch_init 0
		.amdhsa_user_sgpr_kernarg_preload_length 0
		.amdhsa_user_sgpr_kernarg_preload_offset 0
		.amdhsa_user_sgpr_private_segment_size 0
		.amdhsa_uses_dynamic_stack 0
		.amdhsa_system_sgpr_private_segment_wavefront_offset 0
		.amdhsa_system_sgpr_workgroup_id_x 1
		.amdhsa_system_sgpr_workgroup_id_y 0
		.amdhsa_system_sgpr_workgroup_id_z 0
		.amdhsa_system_sgpr_workgroup_info 0
		.amdhsa_system_vgpr_workitem_id 0
		.amdhsa_next_free_vgpr 12
		.amdhsa_next_free_sgpr 24
		.amdhsa_accum_offset 12
		.amdhsa_reserve_vcc 1
		.amdhsa_reserve_flat_scratch 0
		.amdhsa_float_round_mode_32 0
		.amdhsa_float_round_mode_16_64 0
		.amdhsa_float_denorm_mode_32 3
		.amdhsa_float_denorm_mode_16_64 3
		.amdhsa_dx10_clamp 1
		.amdhsa_ieee_mode 1
		.amdhsa_fp16_overflow 0
		.amdhsa_tg_split 0
		.amdhsa_exception_fp_ieee_invalid_op 0
		.amdhsa_exception_fp_denorm_src 0
		.amdhsa_exception_fp_ieee_div_zero 0
		.amdhsa_exception_fp_ieee_overflow 0
		.amdhsa_exception_fp_ieee_underflow 0
		.amdhsa_exception_fp_ieee_inexact 0
		.amdhsa_exception_int_div_zero 0
	.end_amdhsa_kernel
	.section	.text._ZN5aiter20topk_softplus_kernelIf6__halfDv1_fLb0ELi2EEEvPKT_PKT0_PfPimiiif,"axG",@progbits,_ZN5aiter20topk_softplus_kernelIf6__halfDv1_fLb0ELi2EEEvPKT_PKT0_PfPimiiif,comdat
.Lfunc_end54:
	.size	_ZN5aiter20topk_softplus_kernelIf6__halfDv1_fLb0ELi2EEEvPKT_PKT0_PfPimiiif, .Lfunc_end54-_ZN5aiter20topk_softplus_kernelIf6__halfDv1_fLb0ELi2EEEvPKT_PKT0_PfPimiiif
                                        ; -- End function
	.section	.AMDGPU.csdata,"",@progbits
; Kernel info:
; codeLenInByte = 1568
; NumSgprs: 28
; NumVgprs: 12
; NumAgprs: 0
; TotalNumVgprs: 12
; ScratchSize: 0
; MemoryBound: 0
; FloatMode: 240
; IeeeMode: 1
; LDSByteSize: 0 bytes/workgroup (compile time only)
; SGPRBlocks: 3
; VGPRBlocks: 1
; NumSGPRsForWavesPerEU: 28
; NumVGPRsForWavesPerEU: 12
; AccumOffset: 12
; Occupancy: 8
; WaveLimiterHint : 0
; COMPUTE_PGM_RSRC2:SCRATCH_EN: 0
; COMPUTE_PGM_RSRC2:USER_SGPR: 6
; COMPUTE_PGM_RSRC2:TRAP_HANDLER: 0
; COMPUTE_PGM_RSRC2:TGID_X_EN: 1
; COMPUTE_PGM_RSRC2:TGID_Y_EN: 0
; COMPUTE_PGM_RSRC2:TGID_Z_EN: 0
; COMPUTE_PGM_RSRC2:TIDIG_COMP_CNT: 0
; COMPUTE_PGM_RSRC3_GFX90A:ACCUM_OFFSET: 2
; COMPUTE_PGM_RSRC3_GFX90A:TG_SPLIT: 0
	.section	.text._ZN5aiter24topk_softplus_kernel_optIf6__halfLi64ELb1ELi0EEEvPKT_PKT0_PfPimiif,"axG",@progbits,_ZN5aiter24topk_softplus_kernel_optIf6__halfLi64ELb1ELi0EEEvPKT_PKT0_PfPimiif,comdat
	.protected	_ZN5aiter24topk_softplus_kernel_optIf6__halfLi64ELb1ELi0EEEvPKT_PKT0_PfPimiif ; -- Begin function _ZN5aiter24topk_softplus_kernel_optIf6__halfLi64ELb1ELi0EEEvPKT_PKT0_PfPimiif
	.globl	_ZN5aiter24topk_softplus_kernel_optIf6__halfLi64ELb1ELi0EEEvPKT_PKT0_PfPimiif
	.p2align	8
	.type	_ZN5aiter24topk_softplus_kernel_optIf6__halfLi64ELb1ELi0EEEvPKT_PKT0_PfPimiif,@function
_ZN5aiter24topk_softplus_kernel_optIf6__halfLi64ELb1ELi0EEEvPKT_PKT0_PfPimiif: ; @_ZN5aiter24topk_softplus_kernel_optIf6__halfLi64ELb1ELi0EEEvPKT_PKT0_PfPimiif
; %bb.0:
	s_load_dwordx4 s[0:3], s[4:5], 0x0
	s_lshl_b32 s8, s6, 6
	s_ashr_i32 s9, s8, 31
	s_lshl_b64 s[8:9], s[8:9], 2
	v_lshlrev_b32_e32 v1, 2, v0
	s_waitcnt lgkmcnt(0)
	s_add_u32 s0, s0, s8
	s_addc_u32 s1, s1, s9
	global_load_dword v2, v1, s[0:1]
	s_mov_b32 s1, 0xc2fc0000
	v_mov_b32_e32 v3, 0x42800000
	v_mov_b32_e32 v4, 0x1f800000
	s_mov_b32 s0, 0x41a00000
	s_cmp_eq_u64 s[2:3], 0
	s_waitcnt vmcnt(0)
	v_mul_f32_e32 v5, 0x3fb8aa3b, v2
	v_cmp_gt_f32_e32 vcc, s1, v5
	v_cndmask_b32_e32 v3, 0, v3, vcc
	v_fmac_f32_e32 v3, 0x3fb8aa3b, v2
	v_exp_f32_e32 v3, v3
	v_cndmask_b32_e32 v4, 1.0, v4, vcc
	s_mov_b32 s1, 0x800000
	v_mov_b32_e32 v5, 0x4f800000
	v_fma_f32 v3, v3, v4, 1.0
	v_cmp_gt_f32_e32 vcc, s1, v3
	v_cndmask_b32_e32 v4, 1.0, v5, vcc
	v_mul_f32_e32 v3, v3, v4
	v_log_f32_e32 v3, v3
	v_mov_b32_e32 v4, 0x42000000
	v_cndmask_b32_e32 v4, 0, v4, vcc
	v_cmp_lt_f32_e32 vcc, s0, v2
	v_sub_f32_e32 v3, v3, v4
	v_mul_f32_e32 v3, 0x3f317218, v3
	s_mov_b32 s1, 0xf800000
	v_cndmask_b32_e32 v2, v3, v2, vcc
	v_mul_f32_e32 v3, 0x4f800000, v2
	v_cmp_gt_f32_e32 vcc, s1, v2
	v_cndmask_b32_e32 v3, v2, v3, vcc
	v_sqrt_f32_e32 v4, v3
	v_mov_b32_e32 v5, 0x260
	v_mov_b32_e32 v2, 0
	v_add_u32_e32 v6, -1, v4
	v_add_u32_e32 v7, 1, v4
	v_fma_f32 v8, -v6, v4, v3
	v_fma_f32 v9, -v7, v4, v3
	v_cmp_ge_f32_e64 s[0:1], 0, v8
	v_cndmask_b32_e64 v4, v4, v6, s[0:1]
	v_cmp_lt_f32_e64 s[0:1], 0, v9
	v_cndmask_b32_e64 v4, v4, v7, s[0:1]
	v_mul_f32_e32 v6, 0x37800000, v4
	v_cndmask_b32_e32 v4, v4, v6, vcc
	v_cmp_class_f32_e32 vcc, v3, v5
	v_cndmask_b32_e32 v4, v4, v3, vcc
	v_mov_b32_e32 v5, v4
	s_cbranch_scc1 .LBB55_2
; %bb.1:
	v_lshlrev_b32_e32 v3, 1, v0
	global_load_ushort v3, v3, s[2:3]
	s_waitcnt vmcnt(0)
	v_cvt_f32_f16_e32 v3, v3
	v_add_f32_e32 v5, v4, v3
.LBB55_2:
	s_load_dword s2, s[4:5], 0x28
	s_load_dwordx4 s[8:11], s[4:5], 0x10
	s_mov_b32 s3, 0
	v_mov_b32_e32 v6, 0
	v_mov_b32_e32 v3, 0
	s_waitcnt lgkmcnt(0)
	s_cmp_lt_i32 s2, 1
	s_cbranch_scc1 .LBB55_5
; %bb.3:
	v_mbcnt_lo_u32_b32 v2, -1, 0
	v_mbcnt_hi_u32_b32 v2, -1, v2
	v_bfrev_b32_e32 v3, 0.5
	v_mov_b32_e32 v7, 0
	v_mov_b32_e32 v8, 0xff800000
	v_lshl_or_b32 v9, v2, 2, v3
	v_mov_b32_e32 v6, 0
	v_mov_b32_e32 v2, 0
	;; [unrolled: 1-line block ×3, first 2 shown]
.LBB55_4:                               ; =>This Inner Loop Header: Depth=1
	v_cmp_eq_u32_e32 vcc, 0, v7
	v_cndmask_b32_e32 v10, v8, v5, vcc
	;;#ASMSTART
	v_max_f32 v12, v10, v10 quad_perm:[1,0,3,2] row_mask:0xf bank_mask:0xf bound_ctrl:1
	;;#ASMEND
	;;#ASMSTART
	v_max_f32 v13, v12, v12 quad_perm:[2,3,0,1] row_mask:0xf bank_mask:0xf bound_ctrl:1
	;;#ASMEND
	;;#ASMSTART
	v_max_f32 v12, v13, v13 row_half_mirror row_mask:0xf bank_mask:0xf bound_ctrl:1
	;;#ASMEND
	;;#ASMSTART
	v_max_f32 v13, v12, v12 row_mirror row_mask:0xf bank_mask:0xf bound_ctrl:1
	;;#ASMEND
	;;#ASMSTART
	v_max_f32 v12, v13, v13 row_ror:4 row_mask:0xf bank_mask:0xf bound_ctrl:1
	;;#ASMEND
	;;#ASMSTART
	v_max_f32 v13, v12, v12 row_ror:8 row_mask:0xf bank_mask:0xf bound_ctrl:1
	;;#ASMEND
	;;#ASMSTART
	v_max_f32 v12, v13, v13 row_bcast:15 row_mask:0xf bank_mask:0xf bound_ctrl:1
	;;#ASMEND
	;;#ASMSTART
	v_max_f32 v13, v12, v12 row_bcast:31 row_mask:0xf bank_mask:0xf bound_ctrl:1
	;;#ASMEND
	ds_bpermute_b32 v12, v9, v13
	v_cndmask_b32_e32 v11, 0, v0, vcc
	s_waitcnt lgkmcnt(0)
	v_cmp_eq_f32_e64 s[0:1], v10, v12
	s_ff1_i32_b64 s7, s[0:1]
	s_cmp_lg_u64 s[0:1], 0
	s_cselect_b32 s0, s7, 0
	s_nop 0
	v_readlane_b32 s7, v11, s0
	v_cmp_eq_u32_e64 s[0:1], s7, v0
	s_and_b64 vcc, vcc, s[0:1]
	s_and_b32 s12, s7, 63
	v_cndmask_b32_e32 v11, 0, v4, vcc
	v_addc_co_u32_e32 v7, vcc, 0, v7, vcc
	v_readlane_b32 s0, v11, s12
	v_mov_b32_e32 v10, s7
	v_mov_b32_e32 v11, s0
	v_cmp_eq_u32_e32 vcc, s3, v0
	s_add_i32 s3, s3, 1
	v_add_f32_e32 v6, s0, v6
	v_cndmask_b32_e32 v3, v3, v11, vcc
	s_cmp_eq_u32 s2, s3
	v_cndmask_b32_e32 v2, v2, v10, vcc
	s_cbranch_scc0 .LBB55_4
.LBB55_5:
	v_cmp_gt_i32_e32 vcc, s2, v0
	s_and_saveexec_b64 s[0:1], vcc
	s_cbranch_execz .LBB55_7
; %bb.6:
	s_load_dword s2, s[4:5], 0x30
	v_max_f32_e32 v0, v6, v6
	v_max_f32_e32 v0, 0x1e3ce508, v0
	s_waitcnt lgkmcnt(0)
	v_div_scale_f32 v4, s[0:1], v0, v0, s2
	v_rcp_f32_e32 v5, v4
	v_div_scale_f32 v6, vcc, s2, v0, s2
	s_load_dwordx2 s[0:1], s[4:5], 0x20
	v_fma_f32 v7, -v4, v5, 1.0
	v_fmac_f32_e32 v5, v7, v5
	v_mul_f32_e32 v7, v6, v5
	v_fma_f32 v8, -v4, v7, v6
	v_fmac_f32_e32 v7, v8, v5
	v_fma_f32 v4, -v4, v7, v6
	v_div_fmas_f32 v4, v4, v5, v7
	v_div_fixup_f32 v0, v4, v0, s2
	s_ashr_i32 s2, s6, 31
	s_waitcnt lgkmcnt(0)
	s_mul_i32 s1, s6, s1
	s_mul_hi_u32 s3, s6, s0
	s_add_i32 s1, s3, s1
	s_mul_i32 s2, s2, s0
	s_add_i32 s1, s1, s2
	s_mul_i32 s0, s6, s0
	s_lshl_b64 s[0:1], s[0:1], 2
	s_add_u32 s2, s8, s0
	s_addc_u32 s3, s9, s1
	s_add_u32 s0, s10, s0
	v_mul_f32_e32 v0, v3, v0
	s_addc_u32 s1, s11, s1
	global_store_dword v1, v0, s[2:3]
	global_store_dword v1, v2, s[0:1]
.LBB55_7:
	s_endpgm
	.section	.rodata,"a",@progbits
	.p2align	6, 0x0
	.amdhsa_kernel _ZN5aiter24topk_softplus_kernel_optIf6__halfLi64ELb1ELi0EEEvPKT_PKT0_PfPimiif
		.amdhsa_group_segment_fixed_size 0
		.amdhsa_private_segment_fixed_size 0
		.amdhsa_kernarg_size 52
		.amdhsa_user_sgpr_count 6
		.amdhsa_user_sgpr_private_segment_buffer 1
		.amdhsa_user_sgpr_dispatch_ptr 0
		.amdhsa_user_sgpr_queue_ptr 0
		.amdhsa_user_sgpr_kernarg_segment_ptr 1
		.amdhsa_user_sgpr_dispatch_id 0
		.amdhsa_user_sgpr_flat_scratch_init 0
		.amdhsa_user_sgpr_kernarg_preload_length 0
		.amdhsa_user_sgpr_kernarg_preload_offset 0
		.amdhsa_user_sgpr_private_segment_size 0
		.amdhsa_uses_dynamic_stack 0
		.amdhsa_system_sgpr_private_segment_wavefront_offset 0
		.amdhsa_system_sgpr_workgroup_id_x 1
		.amdhsa_system_sgpr_workgroup_id_y 0
		.amdhsa_system_sgpr_workgroup_id_z 0
		.amdhsa_system_sgpr_workgroup_info 0
		.amdhsa_system_vgpr_workitem_id 0
		.amdhsa_next_free_vgpr 14
		.amdhsa_next_free_sgpr 13
		.amdhsa_accum_offset 16
		.amdhsa_reserve_vcc 1
		.amdhsa_reserve_flat_scratch 0
		.amdhsa_float_round_mode_32 0
		.amdhsa_float_round_mode_16_64 0
		.amdhsa_float_denorm_mode_32 3
		.amdhsa_float_denorm_mode_16_64 3
		.amdhsa_dx10_clamp 1
		.amdhsa_ieee_mode 1
		.amdhsa_fp16_overflow 0
		.amdhsa_tg_split 0
		.amdhsa_exception_fp_ieee_invalid_op 0
		.amdhsa_exception_fp_denorm_src 0
		.amdhsa_exception_fp_ieee_div_zero 0
		.amdhsa_exception_fp_ieee_overflow 0
		.amdhsa_exception_fp_ieee_underflow 0
		.amdhsa_exception_fp_ieee_inexact 0
		.amdhsa_exception_int_div_zero 0
	.end_amdhsa_kernel
	.section	.text._ZN5aiter24topk_softplus_kernel_optIf6__halfLi64ELb1ELi0EEEvPKT_PKT0_PfPimiif,"axG",@progbits,_ZN5aiter24topk_softplus_kernel_optIf6__halfLi64ELb1ELi0EEEvPKT_PKT0_PfPimiif,comdat
.Lfunc_end55:
	.size	_ZN5aiter24topk_softplus_kernel_optIf6__halfLi64ELb1ELi0EEEvPKT_PKT0_PfPimiif, .Lfunc_end55-_ZN5aiter24topk_softplus_kernel_optIf6__halfLi64ELb1ELi0EEEvPKT_PKT0_PfPimiif
                                        ; -- End function
	.section	.AMDGPU.csdata,"",@progbits
; Kernel info:
; codeLenInByte = 808
; NumSgprs: 17
; NumVgprs: 14
; NumAgprs: 0
; TotalNumVgprs: 14
; ScratchSize: 0
; MemoryBound: 0
; FloatMode: 240
; IeeeMode: 1
; LDSByteSize: 0 bytes/workgroup (compile time only)
; SGPRBlocks: 2
; VGPRBlocks: 1
; NumSGPRsForWavesPerEU: 17
; NumVGPRsForWavesPerEU: 14
; AccumOffset: 16
; Occupancy: 8
; WaveLimiterHint : 0
; COMPUTE_PGM_RSRC2:SCRATCH_EN: 0
; COMPUTE_PGM_RSRC2:USER_SGPR: 6
; COMPUTE_PGM_RSRC2:TRAP_HANDLER: 0
; COMPUTE_PGM_RSRC2:TGID_X_EN: 1
; COMPUTE_PGM_RSRC2:TGID_Y_EN: 0
; COMPUTE_PGM_RSRC2:TGID_Z_EN: 0
; COMPUTE_PGM_RSRC2:TIDIG_COMP_CNT: 0
; COMPUTE_PGM_RSRC3_GFX90A:ACCUM_OFFSET: 3
; COMPUTE_PGM_RSRC3_GFX90A:TG_SPLIT: 0
	.section	.text._ZN5aiter24topk_softplus_kernel_optIf6__halfLi64ELb0ELi0EEEvPKT_PKT0_PfPimiif,"axG",@progbits,_ZN5aiter24topk_softplus_kernel_optIf6__halfLi64ELb0ELi0EEEvPKT_PKT0_PfPimiif,comdat
	.protected	_ZN5aiter24topk_softplus_kernel_optIf6__halfLi64ELb0ELi0EEEvPKT_PKT0_PfPimiif ; -- Begin function _ZN5aiter24topk_softplus_kernel_optIf6__halfLi64ELb0ELi0EEEvPKT_PKT0_PfPimiif
	.globl	_ZN5aiter24topk_softplus_kernel_optIf6__halfLi64ELb0ELi0EEEvPKT_PKT0_PfPimiif
	.p2align	8
	.type	_ZN5aiter24topk_softplus_kernel_optIf6__halfLi64ELb0ELi0EEEvPKT_PKT0_PfPimiif,@function
_ZN5aiter24topk_softplus_kernel_optIf6__halfLi64ELb0ELi0EEEvPKT_PKT0_PfPimiif: ; @_ZN5aiter24topk_softplus_kernel_optIf6__halfLi64ELb0ELi0EEEvPKT_PKT0_PfPimiif
; %bb.0:
	s_load_dwordx4 s[0:3], s[4:5], 0x0
	s_lshl_b32 s8, s6, 6
	s_ashr_i32 s9, s8, 31
	s_lshl_b64 s[8:9], s[8:9], 2
	v_lshlrev_b32_e32 v1, 2, v0
	s_waitcnt lgkmcnt(0)
	s_add_u32 s0, s0, s8
	s_addc_u32 s1, s1, s9
	global_load_dword v2, v1, s[0:1]
	s_mov_b32 s1, 0xc2fc0000
	v_mov_b32_e32 v3, 0x42800000
	v_mov_b32_e32 v4, 0x1f800000
	s_mov_b32 s0, 0x41a00000
	s_cmp_eq_u64 s[2:3], 0
	s_waitcnt vmcnt(0)
	v_mul_f32_e32 v5, 0x3fb8aa3b, v2
	v_cmp_gt_f32_e32 vcc, s1, v5
	v_cndmask_b32_e32 v3, 0, v3, vcc
	v_fmac_f32_e32 v3, 0x3fb8aa3b, v2
	v_exp_f32_e32 v3, v3
	v_cndmask_b32_e32 v4, 1.0, v4, vcc
	s_mov_b32 s1, 0x800000
	v_mov_b32_e32 v5, 0x4f800000
	v_fma_f32 v3, v3, v4, 1.0
	v_cmp_gt_f32_e32 vcc, s1, v3
	v_cndmask_b32_e32 v4, 1.0, v5, vcc
	v_mul_f32_e32 v3, v3, v4
	v_log_f32_e32 v3, v3
	v_mov_b32_e32 v4, 0x42000000
	v_cndmask_b32_e32 v4, 0, v4, vcc
	v_cmp_lt_f32_e32 vcc, s0, v2
	v_sub_f32_e32 v3, v3, v4
	v_mul_f32_e32 v3, 0x3f317218, v3
	s_mov_b32 s1, 0xf800000
	v_cndmask_b32_e32 v2, v3, v2, vcc
	v_mul_f32_e32 v3, 0x4f800000, v2
	v_cmp_gt_f32_e32 vcc, s1, v2
	v_cndmask_b32_e32 v3, v2, v3, vcc
	v_sqrt_f32_e32 v4, v3
	v_mov_b32_e32 v5, 0x260
	v_mov_b32_e32 v2, 0
	v_add_u32_e32 v6, -1, v4
	v_add_u32_e32 v7, 1, v4
	v_fma_f32 v8, -v6, v4, v3
	v_fma_f32 v9, -v7, v4, v3
	v_cmp_ge_f32_e64 s[0:1], 0, v8
	v_cndmask_b32_e64 v4, v4, v6, s[0:1]
	v_cmp_lt_f32_e64 s[0:1], 0, v9
	v_cndmask_b32_e64 v4, v4, v7, s[0:1]
	v_mul_f32_e32 v6, 0x37800000, v4
	v_cndmask_b32_e32 v4, v4, v6, vcc
	v_cmp_class_f32_e32 vcc, v3, v5
	v_cndmask_b32_e32 v4, v4, v3, vcc
	v_mov_b32_e32 v5, v4
	s_cbranch_scc1 .LBB56_2
; %bb.1:
	v_lshlrev_b32_e32 v3, 1, v0
	global_load_ushort v3, v3, s[2:3]
	s_waitcnt vmcnt(0)
	v_cvt_f32_f16_e32 v3, v3
	v_add_f32_e32 v5, v4, v3
.LBB56_2:
	s_load_dword s2, s[4:5], 0x28
	s_load_dwordx4 s[8:11], s[4:5], 0x10
	s_waitcnt lgkmcnt(0)
	s_cmp_lt_i32 s2, 1
	s_cbranch_scc1 .LBB56_8
; %bb.3:
	v_mbcnt_lo_u32_b32 v2, -1, 0
	v_mbcnt_hi_u32_b32 v2, -1, v2
	v_bfrev_b32_e32 v8, 0.5
	s_mov_b32 s3, 0
	v_mov_b32_e32 v6, 0
	v_mov_b32_e32 v3, 0
	;; [unrolled: 1-line block ×3, first 2 shown]
	v_lshl_or_b32 v8, v2, 2, v8
	v_mov_b32_e32 v2, 0
.LBB56_4:                               ; =>This Inner Loop Header: Depth=1
	v_cmp_eq_u32_e32 vcc, 0, v6
	v_cndmask_b32_e32 v9, v7, v5, vcc
	;;#ASMSTART
	v_max_f32 v11, v9, v9 quad_perm:[1,0,3,2] row_mask:0xf bank_mask:0xf bound_ctrl:1
	;;#ASMEND
	;;#ASMSTART
	v_max_f32 v12, v11, v11 quad_perm:[2,3,0,1] row_mask:0xf bank_mask:0xf bound_ctrl:1
	;;#ASMEND
	;;#ASMSTART
	v_max_f32 v11, v12, v12 row_half_mirror row_mask:0xf bank_mask:0xf bound_ctrl:1
	;;#ASMEND
	;;#ASMSTART
	v_max_f32 v12, v11, v11 row_mirror row_mask:0xf bank_mask:0xf bound_ctrl:1
	;;#ASMEND
	;;#ASMSTART
	v_max_f32 v11, v12, v12 row_ror:4 row_mask:0xf bank_mask:0xf bound_ctrl:1
	;;#ASMEND
	;;#ASMSTART
	v_max_f32 v12, v11, v11 row_ror:8 row_mask:0xf bank_mask:0xf bound_ctrl:1
	;;#ASMEND
	;;#ASMSTART
	v_max_f32 v11, v12, v12 row_bcast:15 row_mask:0xf bank_mask:0xf bound_ctrl:1
	;;#ASMEND
	;;#ASMSTART
	v_max_f32 v12, v11, v11 row_bcast:31 row_mask:0xf bank_mask:0xf bound_ctrl:1
	;;#ASMEND
	ds_bpermute_b32 v11, v8, v12
	v_cndmask_b32_e32 v10, 0, v0, vcc
	s_waitcnt lgkmcnt(0)
	v_cmp_eq_f32_e64 s[0:1], v9, v11
	s_ff1_i32_b64 s7, s[0:1]
	s_cmp_lg_u64 s[0:1], 0
	s_cselect_b32 s0, s7, 0
	s_nop 0
	v_readlane_b32 s7, v10, s0
	v_cmp_eq_u32_e64 s[0:1], s7, v0
	s_and_b64 vcc, vcc, s[0:1]
	s_and_b32 s12, s7, 63
	v_cndmask_b32_e32 v10, 0, v4, vcc
	v_addc_co_u32_e32 v6, vcc, 0, v6, vcc
	v_readlane_b32 s0, v10, s12
	v_mov_b32_e32 v9, s7
	v_mov_b32_e32 v10, s0
	v_cmp_eq_u32_e32 vcc, s3, v0
	s_add_i32 s3, s3, 1
	v_cndmask_b32_e32 v3, v3, v10, vcc
	s_cmp_eq_u32 s2, s3
	v_cndmask_b32_e32 v2, v2, v9, vcc
	s_cbranch_scc0 .LBB56_4
; %bb.5:
	v_cmp_gt_i32_e32 vcc, s2, v0
	s_and_saveexec_b64 s[0:1], vcc
	s_cbranch_execz .LBB56_7
.LBB56_6:
	s_load_dword s2, s[4:5], 0x30
	s_load_dwordx2 s[0:1], s[4:5], 0x20
	s_ashr_i32 s3, s6, 31
	s_waitcnt lgkmcnt(0)
	v_mul_f32_e32 v0, s2, v3
	s_mul_i32 s1, s6, s1
	s_mul_hi_u32 s2, s6, s0
	s_add_i32 s1, s2, s1
	s_mul_i32 s3, s3, s0
	s_add_i32 s1, s1, s3
	s_mul_i32 s0, s6, s0
	s_lshl_b64 s[0:1], s[0:1], 2
	s_add_u32 s2, s8, s0
	s_addc_u32 s3, s9, s1
	s_add_u32 s0, s10, s0
	s_addc_u32 s1, s11, s1
	global_store_dword v1, v0, s[2:3]
	global_store_dword v1, v2, s[0:1]
.LBB56_7:
	s_endpgm
.LBB56_8:
	v_mov_b32_e32 v3, 0
	v_cmp_gt_i32_e32 vcc, s2, v0
	s_and_saveexec_b64 s[0:1], vcc
	s_cbranch_execnz .LBB56_6
	s_branch .LBB56_7
	.section	.rodata,"a",@progbits
	.p2align	6, 0x0
	.amdhsa_kernel _ZN5aiter24topk_softplus_kernel_optIf6__halfLi64ELb0ELi0EEEvPKT_PKT0_PfPimiif
		.amdhsa_group_segment_fixed_size 0
		.amdhsa_private_segment_fixed_size 0
		.amdhsa_kernarg_size 52
		.amdhsa_user_sgpr_count 6
		.amdhsa_user_sgpr_private_segment_buffer 1
		.amdhsa_user_sgpr_dispatch_ptr 0
		.amdhsa_user_sgpr_queue_ptr 0
		.amdhsa_user_sgpr_kernarg_segment_ptr 1
		.amdhsa_user_sgpr_dispatch_id 0
		.amdhsa_user_sgpr_flat_scratch_init 0
		.amdhsa_user_sgpr_kernarg_preload_length 0
		.amdhsa_user_sgpr_kernarg_preload_offset 0
		.amdhsa_user_sgpr_private_segment_size 0
		.amdhsa_uses_dynamic_stack 0
		.amdhsa_system_sgpr_private_segment_wavefront_offset 0
		.amdhsa_system_sgpr_workgroup_id_x 1
		.amdhsa_system_sgpr_workgroup_id_y 0
		.amdhsa_system_sgpr_workgroup_id_z 0
		.amdhsa_system_sgpr_workgroup_info 0
		.amdhsa_system_vgpr_workitem_id 0
		.amdhsa_next_free_vgpr 13
		.amdhsa_next_free_sgpr 13
		.amdhsa_accum_offset 16
		.amdhsa_reserve_vcc 1
		.amdhsa_reserve_flat_scratch 0
		.amdhsa_float_round_mode_32 0
		.amdhsa_float_round_mode_16_64 0
		.amdhsa_float_denorm_mode_32 3
		.amdhsa_float_denorm_mode_16_64 3
		.amdhsa_dx10_clamp 1
		.amdhsa_ieee_mode 1
		.amdhsa_fp16_overflow 0
		.amdhsa_tg_split 0
		.amdhsa_exception_fp_ieee_invalid_op 0
		.amdhsa_exception_fp_denorm_src 0
		.amdhsa_exception_fp_ieee_div_zero 0
		.amdhsa_exception_fp_ieee_overflow 0
		.amdhsa_exception_fp_ieee_underflow 0
		.amdhsa_exception_fp_ieee_inexact 0
		.amdhsa_exception_int_div_zero 0
	.end_amdhsa_kernel
	.section	.text._ZN5aiter24topk_softplus_kernel_optIf6__halfLi64ELb0ELi0EEEvPKT_PKT0_PfPimiif,"axG",@progbits,_ZN5aiter24topk_softplus_kernel_optIf6__halfLi64ELb0ELi0EEEvPKT_PKT0_PfPimiif,comdat
.Lfunc_end56:
	.size	_ZN5aiter24topk_softplus_kernel_optIf6__halfLi64ELb0ELi0EEEvPKT_PKT0_PfPimiif, .Lfunc_end56-_ZN5aiter24topk_softplus_kernel_optIf6__halfLi64ELb0ELi0EEEvPKT_PKT0_PfPimiif
                                        ; -- End function
	.section	.AMDGPU.csdata,"",@progbits
; Kernel info:
; codeLenInByte = 724
; NumSgprs: 17
; NumVgprs: 13
; NumAgprs: 0
; TotalNumVgprs: 13
; ScratchSize: 0
; MemoryBound: 0
; FloatMode: 240
; IeeeMode: 1
; LDSByteSize: 0 bytes/workgroup (compile time only)
; SGPRBlocks: 2
; VGPRBlocks: 1
; NumSGPRsForWavesPerEU: 17
; NumVGPRsForWavesPerEU: 13
; AccumOffset: 16
; Occupancy: 8
; WaveLimiterHint : 0
; COMPUTE_PGM_RSRC2:SCRATCH_EN: 0
; COMPUTE_PGM_RSRC2:USER_SGPR: 6
; COMPUTE_PGM_RSRC2:TRAP_HANDLER: 0
; COMPUTE_PGM_RSRC2:TGID_X_EN: 1
; COMPUTE_PGM_RSRC2:TGID_Y_EN: 0
; COMPUTE_PGM_RSRC2:TGID_Z_EN: 0
; COMPUTE_PGM_RSRC2:TIDIG_COMP_CNT: 0
; COMPUTE_PGM_RSRC3_GFX90A:ACCUM_OFFSET: 3
; COMPUTE_PGM_RSRC3_GFX90A:TG_SPLIT: 0
	.section	.text._ZN5aiter24topk_softplus_kernel_optIf6__halfLi128ELb1ELi0EEEvPKT_PKT0_PfPimiif,"axG",@progbits,_ZN5aiter24topk_softplus_kernel_optIf6__halfLi128ELb1ELi0EEEvPKT_PKT0_PfPimiif,comdat
	.protected	_ZN5aiter24topk_softplus_kernel_optIf6__halfLi128ELb1ELi0EEEvPKT_PKT0_PfPimiif ; -- Begin function _ZN5aiter24topk_softplus_kernel_optIf6__halfLi128ELb1ELi0EEEvPKT_PKT0_PfPimiif
	.globl	_ZN5aiter24topk_softplus_kernel_optIf6__halfLi128ELb1ELi0EEEvPKT_PKT0_PfPimiif
	.p2align	8
	.type	_ZN5aiter24topk_softplus_kernel_optIf6__halfLi128ELb1ELi0EEEvPKT_PKT0_PfPimiif,@function
_ZN5aiter24topk_softplus_kernel_optIf6__halfLi128ELb1ELi0EEEvPKT_PKT0_PfPimiif: ; @_ZN5aiter24topk_softplus_kernel_optIf6__halfLi128ELb1ELi0EEEvPKT_PKT0_PfPimiif
; %bb.0:
	s_load_dwordx4 s[8:11], s[4:5], 0x0
	s_lshl_b32 s0, s6, 7
	s_ashr_i32 s1, s0, 31
	s_lshl_b64 s[0:1], s[0:1], 2
	v_lshlrev_b32_e32 v7, 2, v0
	s_waitcnt lgkmcnt(0)
	s_add_u32 s0, s8, s0
	s_addc_u32 s1, s9, s1
	global_load_dword v2, v7, s[0:1]
	s_mov_b32 s12, 0xc2fc0000
	v_mov_b32_e32 v5, 0x42800000
	v_mov_b32_e32 v10, 0x1f800000
	s_mov_b32 s13, 0x800000
	v_mov_b32_e32 v8, 0x4f800000
	v_mov_b32_e32 v9, 0x42000000
	s_mov_b32 s7, 0x41a00000
	s_mov_b32 s14, 0xf800000
	v_mov_b32_e32 v1, 0x260
	s_cmp_lg_u64 s[10:11], 0
	s_cselect_b64 s[8:9], -1, 0
	v_lshlrev_b32_e32 v4, 1, v0
	s_waitcnt vmcnt(0)
	v_mul_f32_e32 v3, 0x3fb8aa3b, v2
	v_cmp_gt_f32_e32 vcc, s12, v3
	v_cndmask_b32_e32 v3, 0, v5, vcc
	v_fmac_f32_e32 v3, 0x3fb8aa3b, v2
	v_exp_f32_e32 v3, v3
	v_cndmask_b32_e32 v6, 1.0, v10, vcc
	v_fma_f32 v3, v3, v6, 1.0
	v_cmp_gt_f32_e32 vcc, s13, v3
	v_cndmask_b32_e32 v6, 1.0, v8, vcc
	v_mul_f32_e32 v3, v3, v6
	v_log_f32_e32 v3, v3
	v_cndmask_b32_e32 v11, 0, v9, vcc
	v_cmp_lt_f32_e32 vcc, s7, v2
	v_mov_b32_e32 v6, s1
	v_sub_f32_e32 v3, v3, v11
	v_mul_f32_e32 v3, 0x3f317218, v3
	v_cndmask_b32_e32 v2, v3, v2, vcc
	v_mul_f32_e32 v3, 0x4f800000, v2
	v_cmp_gt_f32_e32 vcc, s14, v2
	v_cndmask_b32_e32 v11, v2, v3, vcc
	v_sqrt_f32_e32 v12, v11
	v_add_co_u32_e64 v2, s[0:1], s0, v7
	v_addc_co_u32_e64 v3, s[0:1], 0, v6, s[0:1]
	v_add_u32_e32 v6, -1, v12
	v_add_u32_e32 v13, 1, v12
	v_fma_f32 v14, -v6, v12, v11
	v_fma_f32 v15, -v13, v12, v11
	v_cmp_ge_f32_e64 s[2:3], 0, v14
	v_cndmask_b32_e64 v6, v12, v6, s[2:3]
	v_cmp_lt_f32_e64 s[2:3], 0, v15
	v_cndmask_b32_e64 v6, v6, v13, s[2:3]
	v_mul_f32_e32 v12, 0x37800000, v6
	v_cndmask_b32_e32 v6, v6, v12, vcc
	v_cmp_class_f32_e32 vcc, v11, v1
	s_and_b64 s[0:1], exec, s[8:9]
	v_cndmask_b32_e32 v6, v6, v11, vcc
	v_mov_b32_e32 v11, v6
	s_mov_b64 vcc, s[0:1]
	s_cbranch_vccz .LBB57_2
; %bb.1:
	global_load_ushort v11, v4, s[10:11]
	s_waitcnt vmcnt(0)
	v_cvt_f32_f16_e32 v11, v11
	v_add_f32_e32 v11, v6, v11
.LBB57_2:
	global_load_dword v2, v[2:3], off offset:256
	s_waitcnt vmcnt(0)
	v_mul_f32_e32 v3, 0x3fb8aa3b, v2
	v_cmp_gt_f32_e32 vcc, s12, v3
	v_cndmask_b32_e32 v5, 0, v5, vcc
	v_fmac_f32_e32 v5, 0x3fb8aa3b, v2
	v_exp_f32_e32 v5, v5
	v_cndmask_b32_e32 v3, 1.0, v10, vcc
	v_fma_f32 v3, v5, v3, 1.0
	v_cmp_gt_f32_e32 vcc, s13, v3
	v_cndmask_b32_e32 v5, 1.0, v8, vcc
	v_mul_f32_e32 v3, v3, v5
	v_log_f32_e32 v3, v3
	v_cndmask_b32_e32 v5, 0, v9, vcc
	v_cmp_lt_f32_e32 vcc, s7, v2
	v_sub_f32_e32 v3, v3, v5
	v_mul_f32_e32 v3, 0x3f317218, v3
	v_cndmask_b32_e32 v2, v3, v2, vcc
	v_mul_f32_e32 v3, 0x4f800000, v2
	v_cmp_gt_f32_e32 vcc, s14, v2
	v_cndmask_b32_e32 v2, v2, v3, vcc
	v_sqrt_f32_e32 v3, v2
	v_add_u32_e32 v5, -1, v3
	v_add_u32_e32 v8, 1, v3
	v_fma_f32 v9, -v5, v3, v2
	v_fma_f32 v10, -v8, v3, v2
	v_cmp_ge_f32_e64 s[0:1], 0, v9
	v_cndmask_b32_e64 v3, v3, v5, s[0:1]
	v_cmp_lt_f32_e64 s[0:1], 0, v10
	v_cndmask_b32_e64 v3, v3, v8, s[0:1]
	v_mul_f32_e32 v5, 0x37800000, v3
	v_cndmask_b32_e32 v3, v3, v5, vcc
	v_cmp_class_f32_e32 vcc, v2, v1
	v_cndmask_b32_e32 v12, v3, v2, vcc
	s_andn2_b64 vcc, exec, s[8:9]
	v_mov_b32_e32 v5, v12
	s_cbranch_vccnz .LBB57_4
; %bb.3:
	global_load_ushort v1, v4, s[10:11] offset:128
	s_waitcnt vmcnt(0)
	v_cvt_f32_f16_e32 v1, v1
	v_add_f32_e32 v5, v12, v1
.LBB57_4:
	s_load_dword s2, s[4:5], 0x28
	s_load_dwordx4 s[8:11], s[4:5], 0x10
	v_mov_b32_e32 v10, 0
	v_mov_b32_e32 v8, 0
	;; [unrolled: 1-line block ×3, first 2 shown]
	s_waitcnt lgkmcnt(0)
	s_cmp_gt_i32 s2, 0
	s_cbranch_scc0 .LBB57_7
; %bb.5:
	v_mbcnt_lo_u32_b32 v8, -1, 0
	v_add_u32_e32 v2, 64, v0
	v_cmp_lt_f32_e32 vcc, v11, v5
	v_mbcnt_hi_u32_b32 v8, -1, v8
	v_bfrev_b32_e32 v9, 0.5
	v_cndmask_b32_e32 v1, v2, v0, vcc
	v_cndmask_b32_e32 v2, v0, v2, vcc
	;; [unrolled: 1-line block ×6, first 2 shown]
	v_mov_b32_e32 v10, 0
	v_mov_b32_e32 v11, 0
	;; [unrolled: 1-line block ×3, first 2 shown]
	v_lshl_or_b32 v13, v8, 2, v9
	v_mov_b32_e32 v14, v0
	s_mov_b32 s3, s2
	v_mov_b32_e32 v8, 0
	v_mov_b32_e32 v9, 0
.LBB57_6:                               ; =>This Inner Loop Header: Depth=1
	v_cmp_eq_u32_e32 vcc, 1, v11
	v_cndmask_b32_e32 v15, v4, v3, vcc
	v_cmp_gt_u32_e64 s[0:1], 2, v11
	v_cndmask_b32_e64 v15, v12, v15, s[0:1]
	;;#ASMSTART
	v_max_f32 v19, v15, v15 quad_perm:[1,0,3,2] row_mask:0xf bank_mask:0xf bound_ctrl:1
	;;#ASMEND
	;;#ASMSTART
	v_max_f32 v20, v19, v19 quad_perm:[2,3,0,1] row_mask:0xf bank_mask:0xf bound_ctrl:1
	;;#ASMEND
	;;#ASMSTART
	v_max_f32 v19, v20, v20 row_half_mirror row_mask:0xf bank_mask:0xf bound_ctrl:1
	;;#ASMEND
	;;#ASMSTART
	v_max_f32 v20, v19, v19 row_mirror row_mask:0xf bank_mask:0xf bound_ctrl:1
	;;#ASMEND
	;;#ASMSTART
	v_max_f32 v19, v20, v20 row_ror:4 row_mask:0xf bank_mask:0xf bound_ctrl:1
	;;#ASMEND
	;;#ASMSTART
	v_max_f32 v20, v19, v19 row_ror:8 row_mask:0xf bank_mask:0xf bound_ctrl:1
	;;#ASMEND
	;;#ASMSTART
	v_max_f32 v19, v20, v20 row_bcast:15 row_mask:0xf bank_mask:0xf bound_ctrl:1
	;;#ASMEND
	;;#ASMSTART
	v_max_f32 v20, v19, v19 row_bcast:31 row_mask:0xf bank_mask:0xf bound_ctrl:1
	;;#ASMEND
	ds_bpermute_b32 v19, v13, v20
	v_cndmask_b32_e32 v16, v2, v1, vcc
	v_cndmask_b32_e32 v17, v6, v5, vcc
	v_cndmask_b32_e64 v18, 0, v16, s[0:1]
	s_waitcnt lgkmcnt(0)
	v_cmp_eq_f32_e32 vcc, v15, v19
	s_ff1_i32_b64 s7, vcc
	s_cmp_lg_u64 vcc, 0
	s_cselect_b32 s7, s7, 0
	v_readlane_b32 s7, v18, s7
	v_cmp_eq_u32_e32 vcc, s7, v16
	s_and_b64 vcc, s[0:1], vcc
	s_and_b32 s12, s7, 63
	v_cndmask_b32_e32 v16, 0, v17, vcc
	v_addc_co_u32_e32 v11, vcc, 0, v11, vcc
	v_readlane_b32 s0, v16, s12
	s_add_i32 s3, s3, -1
	v_mov_b32_e32 v15, s7
	v_mov_b32_e32 v16, s0
	v_cmp_eq_u32_e32 vcc, 0, v14
	s_cmp_eq_u32 s3, 0
	v_add_f32_e32 v10, s0, v10
	v_add_u32_e32 v14, -1, v14
	v_cndmask_b32_e32 v9, v9, v16, vcc
	v_cndmask_b32_e32 v8, v8, v15, vcc
	s_cbranch_scc0 .LBB57_6
.LBB57_7:
	v_cmp_gt_i32_e32 vcc, s2, v0
	s_and_saveexec_b64 s[0:1], vcc
	s_cbranch_execz .LBB57_9
; %bb.8:
	s_load_dword s2, s[4:5], 0x30
	v_max_f32_e32 v0, v10, v10
	v_max_f32_e32 v0, 0x1e3ce508, v0
	s_waitcnt lgkmcnt(0)
	v_div_scale_f32 v1, s[0:1], v0, v0, s2
	v_rcp_f32_e32 v2, v1
	v_div_scale_f32 v3, vcc, s2, v0, s2
	s_load_dwordx2 s[0:1], s[4:5], 0x20
	v_fma_f32 v4, -v1, v2, 1.0
	v_fmac_f32_e32 v2, v4, v2
	v_mul_f32_e32 v4, v3, v2
	v_fma_f32 v5, -v1, v4, v3
	v_fmac_f32_e32 v4, v5, v2
	v_fma_f32 v1, -v1, v4, v3
	v_div_fmas_f32 v1, v1, v2, v4
	v_div_fixup_f32 v0, v1, v0, s2
	s_ashr_i32 s2, s6, 31
	s_waitcnt lgkmcnt(0)
	s_mul_i32 s1, s6, s1
	s_mul_hi_u32 s3, s6, s0
	s_add_i32 s1, s3, s1
	s_mul_i32 s2, s2, s0
	s_add_i32 s1, s1, s2
	s_mul_i32 s0, s6, s0
	s_lshl_b64 s[0:1], s[0:1], 2
	s_add_u32 s2, s8, s0
	s_addc_u32 s3, s9, s1
	s_add_u32 s0, s10, s0
	v_mul_f32_e32 v0, v9, v0
	s_addc_u32 s1, s11, s1
	global_store_dword v7, v0, s[2:3]
	global_store_dword v7, v8, s[0:1]
.LBB57_9:
	s_endpgm
	.section	.rodata,"a",@progbits
	.p2align	6, 0x0
	.amdhsa_kernel _ZN5aiter24topk_softplus_kernel_optIf6__halfLi128ELb1ELi0EEEvPKT_PKT0_PfPimiif
		.amdhsa_group_segment_fixed_size 0
		.amdhsa_private_segment_fixed_size 0
		.amdhsa_kernarg_size 52
		.amdhsa_user_sgpr_count 6
		.amdhsa_user_sgpr_private_segment_buffer 1
		.amdhsa_user_sgpr_dispatch_ptr 0
		.amdhsa_user_sgpr_queue_ptr 0
		.amdhsa_user_sgpr_kernarg_segment_ptr 1
		.amdhsa_user_sgpr_dispatch_id 0
		.amdhsa_user_sgpr_flat_scratch_init 0
		.amdhsa_user_sgpr_kernarg_preload_length 0
		.amdhsa_user_sgpr_kernarg_preload_offset 0
		.amdhsa_user_sgpr_private_segment_size 0
		.amdhsa_uses_dynamic_stack 0
		.amdhsa_system_sgpr_private_segment_wavefront_offset 0
		.amdhsa_system_sgpr_workgroup_id_x 1
		.amdhsa_system_sgpr_workgroup_id_y 0
		.amdhsa_system_sgpr_workgroup_id_z 0
		.amdhsa_system_sgpr_workgroup_info 0
		.amdhsa_system_vgpr_workitem_id 0
		.amdhsa_next_free_vgpr 21
		.amdhsa_next_free_sgpr 15
		.amdhsa_accum_offset 24
		.amdhsa_reserve_vcc 1
		.amdhsa_reserve_flat_scratch 0
		.amdhsa_float_round_mode_32 0
		.amdhsa_float_round_mode_16_64 0
		.amdhsa_float_denorm_mode_32 3
		.amdhsa_float_denorm_mode_16_64 3
		.amdhsa_dx10_clamp 1
		.amdhsa_ieee_mode 1
		.amdhsa_fp16_overflow 0
		.amdhsa_tg_split 0
		.amdhsa_exception_fp_ieee_invalid_op 0
		.amdhsa_exception_fp_denorm_src 0
		.amdhsa_exception_fp_ieee_div_zero 0
		.amdhsa_exception_fp_ieee_overflow 0
		.amdhsa_exception_fp_ieee_underflow 0
		.amdhsa_exception_fp_ieee_inexact 0
		.amdhsa_exception_int_div_zero 0
	.end_amdhsa_kernel
	.section	.text._ZN5aiter24topk_softplus_kernel_optIf6__halfLi128ELb1ELi0EEEvPKT_PKT0_PfPimiif,"axG",@progbits,_ZN5aiter24topk_softplus_kernel_optIf6__halfLi128ELb1ELi0EEEvPKT_PKT0_PfPimiif,comdat
.Lfunc_end57:
	.size	_ZN5aiter24topk_softplus_kernel_optIf6__halfLi128ELb1ELi0EEEvPKT_PKT0_PfPimiif, .Lfunc_end57-_ZN5aiter24topk_softplus_kernel_optIf6__halfLi128ELb1ELi0EEEvPKT_PKT0_PfPimiif
                                        ; -- End function
	.section	.AMDGPU.csdata,"",@progbits
; Kernel info:
; codeLenInByte = 1116
; NumSgprs: 19
; NumVgprs: 21
; NumAgprs: 0
; TotalNumVgprs: 21
; ScratchSize: 0
; MemoryBound: 0
; FloatMode: 240
; IeeeMode: 1
; LDSByteSize: 0 bytes/workgroup (compile time only)
; SGPRBlocks: 2
; VGPRBlocks: 2
; NumSGPRsForWavesPerEU: 19
; NumVGPRsForWavesPerEU: 21
; AccumOffset: 24
; Occupancy: 8
; WaveLimiterHint : 0
; COMPUTE_PGM_RSRC2:SCRATCH_EN: 0
; COMPUTE_PGM_RSRC2:USER_SGPR: 6
; COMPUTE_PGM_RSRC2:TRAP_HANDLER: 0
; COMPUTE_PGM_RSRC2:TGID_X_EN: 1
; COMPUTE_PGM_RSRC2:TGID_Y_EN: 0
; COMPUTE_PGM_RSRC2:TGID_Z_EN: 0
; COMPUTE_PGM_RSRC2:TIDIG_COMP_CNT: 0
; COMPUTE_PGM_RSRC3_GFX90A:ACCUM_OFFSET: 5
; COMPUTE_PGM_RSRC3_GFX90A:TG_SPLIT: 0
	.section	.text._ZN5aiter24topk_softplus_kernel_optIf6__halfLi128ELb0ELi0EEEvPKT_PKT0_PfPimiif,"axG",@progbits,_ZN5aiter24topk_softplus_kernel_optIf6__halfLi128ELb0ELi0EEEvPKT_PKT0_PfPimiif,comdat
	.protected	_ZN5aiter24topk_softplus_kernel_optIf6__halfLi128ELb0ELi0EEEvPKT_PKT0_PfPimiif ; -- Begin function _ZN5aiter24topk_softplus_kernel_optIf6__halfLi128ELb0ELi0EEEvPKT_PKT0_PfPimiif
	.globl	_ZN5aiter24topk_softplus_kernel_optIf6__halfLi128ELb0ELi0EEEvPKT_PKT0_PfPimiif
	.p2align	8
	.type	_ZN5aiter24topk_softplus_kernel_optIf6__halfLi128ELb0ELi0EEEvPKT_PKT0_PfPimiif,@function
_ZN5aiter24topk_softplus_kernel_optIf6__halfLi128ELb0ELi0EEEvPKT_PKT0_PfPimiif: ; @_ZN5aiter24topk_softplus_kernel_optIf6__halfLi128ELb0ELi0EEEvPKT_PKT0_PfPimiif
; %bb.0:
	s_load_dwordx4 s[8:11], s[4:5], 0x0
	s_lshl_b32 s0, s6, 7
	s_ashr_i32 s1, s0, 31
	s_lshl_b64 s[0:1], s[0:1], 2
	v_lshlrev_b32_e32 v7, 2, v0
	s_waitcnt lgkmcnt(0)
	s_add_u32 s0, s8, s0
	s_addc_u32 s1, s9, s1
	global_load_dword v2, v7, s[0:1]
	s_mov_b32 s12, 0xc2fc0000
	v_mov_b32_e32 v5, 0x42800000
	v_mov_b32_e32 v10, 0x1f800000
	s_mov_b32 s13, 0x800000
	v_mov_b32_e32 v8, 0x4f800000
	v_mov_b32_e32 v9, 0x42000000
	s_mov_b32 s7, 0x41a00000
	s_mov_b32 s14, 0xf800000
	v_mov_b32_e32 v1, 0x260
	s_cmp_lg_u64 s[10:11], 0
	s_cselect_b64 s[8:9], -1, 0
	v_lshlrev_b32_e32 v4, 1, v0
	s_waitcnt vmcnt(0)
	v_mul_f32_e32 v3, 0x3fb8aa3b, v2
	v_cmp_gt_f32_e32 vcc, s12, v3
	v_cndmask_b32_e32 v3, 0, v5, vcc
	v_fmac_f32_e32 v3, 0x3fb8aa3b, v2
	v_exp_f32_e32 v3, v3
	v_cndmask_b32_e32 v6, 1.0, v10, vcc
	v_fma_f32 v3, v3, v6, 1.0
	v_cmp_gt_f32_e32 vcc, s13, v3
	v_cndmask_b32_e32 v6, 1.0, v8, vcc
	v_mul_f32_e32 v3, v3, v6
	v_log_f32_e32 v3, v3
	v_cndmask_b32_e32 v11, 0, v9, vcc
	v_cmp_lt_f32_e32 vcc, s7, v2
	v_mov_b32_e32 v6, s1
	v_sub_f32_e32 v3, v3, v11
	v_mul_f32_e32 v3, 0x3f317218, v3
	v_cndmask_b32_e32 v2, v3, v2, vcc
	v_mul_f32_e32 v3, 0x4f800000, v2
	v_cmp_gt_f32_e32 vcc, s14, v2
	v_cndmask_b32_e32 v11, v2, v3, vcc
	v_sqrt_f32_e32 v12, v11
	v_add_co_u32_e64 v2, s[0:1], s0, v7
	v_addc_co_u32_e64 v3, s[0:1], 0, v6, s[0:1]
	v_add_u32_e32 v6, -1, v12
	v_add_u32_e32 v13, 1, v12
	v_fma_f32 v14, -v6, v12, v11
	v_fma_f32 v15, -v13, v12, v11
	v_cmp_ge_f32_e64 s[2:3], 0, v14
	v_cndmask_b32_e64 v6, v12, v6, s[2:3]
	v_cmp_lt_f32_e64 s[2:3], 0, v15
	v_cndmask_b32_e64 v6, v6, v13, s[2:3]
	v_mul_f32_e32 v12, 0x37800000, v6
	v_cndmask_b32_e32 v6, v6, v12, vcc
	v_cmp_class_f32_e32 vcc, v11, v1
	s_and_b64 s[0:1], exec, s[8:9]
	v_cndmask_b32_e32 v6, v6, v11, vcc
	v_mov_b32_e32 v11, v6
	s_mov_b64 vcc, s[0:1]
	s_cbranch_vccz .LBB58_2
; %bb.1:
	global_load_ushort v11, v4, s[10:11]
	s_waitcnt vmcnt(0)
	v_cvt_f32_f16_e32 v11, v11
	v_add_f32_e32 v11, v6, v11
.LBB58_2:
	global_load_dword v2, v[2:3], off offset:256
	s_waitcnt vmcnt(0)
	v_mul_f32_e32 v3, 0x3fb8aa3b, v2
	v_cmp_gt_f32_e32 vcc, s12, v3
	v_cndmask_b32_e32 v5, 0, v5, vcc
	v_fmac_f32_e32 v5, 0x3fb8aa3b, v2
	v_exp_f32_e32 v5, v5
	v_cndmask_b32_e32 v3, 1.0, v10, vcc
	v_fma_f32 v3, v5, v3, 1.0
	v_cmp_gt_f32_e32 vcc, s13, v3
	v_cndmask_b32_e32 v5, 1.0, v8, vcc
	v_mul_f32_e32 v3, v3, v5
	v_log_f32_e32 v3, v3
	v_cndmask_b32_e32 v5, 0, v9, vcc
	v_cmp_lt_f32_e32 vcc, s7, v2
	v_sub_f32_e32 v3, v3, v5
	v_mul_f32_e32 v3, 0x3f317218, v3
	v_cndmask_b32_e32 v2, v3, v2, vcc
	v_mul_f32_e32 v3, 0x4f800000, v2
	v_cmp_gt_f32_e32 vcc, s14, v2
	v_cndmask_b32_e32 v2, v2, v3, vcc
	v_sqrt_f32_e32 v3, v2
	v_add_u32_e32 v5, -1, v3
	v_add_u32_e32 v8, 1, v3
	v_fma_f32 v9, -v5, v3, v2
	v_fma_f32 v10, -v8, v3, v2
	v_cmp_ge_f32_e64 s[0:1], 0, v9
	v_cndmask_b32_e64 v3, v3, v5, s[0:1]
	v_cmp_lt_f32_e64 s[0:1], 0, v10
	v_cndmask_b32_e64 v3, v3, v8, s[0:1]
	v_mul_f32_e32 v5, 0x37800000, v3
	v_cndmask_b32_e32 v3, v3, v5, vcc
	v_cmp_class_f32_e32 vcc, v2, v1
	v_cndmask_b32_e32 v9, v3, v2, vcc
	s_andn2_b64 vcc, exec, s[8:9]
	v_mov_b32_e32 v5, v9
	s_cbranch_vccnz .LBB58_4
; %bb.3:
	global_load_ushort v1, v4, s[10:11] offset:128
	s_waitcnt vmcnt(0)
	v_cvt_f32_f16_e32 v1, v1
	v_add_f32_e32 v5, v9, v1
.LBB58_4:
	s_load_dword s2, s[4:5], 0x28
	s_load_dwordx4 s[8:11], s[4:5], 0x10
	v_mov_b32_e32 v8, 0
	s_waitcnt lgkmcnt(0)
	s_cmp_gt_i32 s2, 0
	s_cbranch_scc0 .LBB58_10
; %bb.5:
	v_mbcnt_lo_u32_b32 v8, -1, 0
	v_add_u32_e32 v2, 64, v0
	v_cmp_lt_f32_e32 vcc, v11, v5
	v_mbcnt_hi_u32_b32 v8, -1, v8
	v_bfrev_b32_e32 v12, 0.5
	v_cndmask_b32_e32 v1, v2, v0, vcc
	v_cndmask_b32_e32 v2, v0, v2, vcc
	;; [unrolled: 1-line block ×6, first 2 shown]
	v_mov_b32_e32 v10, 0
	v_mov_b32_e32 v9, 0
	;; [unrolled: 1-line block ×3, first 2 shown]
	v_lshl_or_b32 v12, v8, 2, v12
	v_mov_b32_e32 v13, v0
	s_mov_b32 s3, s2
	v_mov_b32_e32 v8, 0
.LBB58_6:                               ; =>This Inner Loop Header: Depth=1
	v_cmp_eq_u32_e32 vcc, 1, v10
	v_cndmask_b32_e32 v14, v4, v3, vcc
	v_cmp_gt_u32_e64 s[0:1], 2, v10
	v_cndmask_b32_e64 v14, v11, v14, s[0:1]
	;;#ASMSTART
	v_max_f32 v18, v14, v14 quad_perm:[1,0,3,2] row_mask:0xf bank_mask:0xf bound_ctrl:1
	;;#ASMEND
	;;#ASMSTART
	v_max_f32 v19, v18, v18 quad_perm:[2,3,0,1] row_mask:0xf bank_mask:0xf bound_ctrl:1
	;;#ASMEND
	;;#ASMSTART
	v_max_f32 v18, v19, v19 row_half_mirror row_mask:0xf bank_mask:0xf bound_ctrl:1
	;;#ASMEND
	;;#ASMSTART
	v_max_f32 v19, v18, v18 row_mirror row_mask:0xf bank_mask:0xf bound_ctrl:1
	;;#ASMEND
	;;#ASMSTART
	v_max_f32 v18, v19, v19 row_ror:4 row_mask:0xf bank_mask:0xf bound_ctrl:1
	;;#ASMEND
	;;#ASMSTART
	v_max_f32 v19, v18, v18 row_ror:8 row_mask:0xf bank_mask:0xf bound_ctrl:1
	;;#ASMEND
	;;#ASMSTART
	v_max_f32 v18, v19, v19 row_bcast:15 row_mask:0xf bank_mask:0xf bound_ctrl:1
	;;#ASMEND
	;;#ASMSTART
	v_max_f32 v19, v18, v18 row_bcast:31 row_mask:0xf bank_mask:0xf bound_ctrl:1
	;;#ASMEND
	ds_bpermute_b32 v18, v12, v19
	v_cndmask_b32_e32 v15, v2, v1, vcc
	v_cndmask_b32_e32 v16, v6, v5, vcc
	v_cndmask_b32_e64 v17, 0, v15, s[0:1]
	s_waitcnt lgkmcnt(0)
	v_cmp_eq_f32_e32 vcc, v14, v18
	s_ff1_i32_b64 s7, vcc
	s_cmp_lg_u64 vcc, 0
	s_cselect_b32 s7, s7, 0
	v_readlane_b32 s7, v17, s7
	v_cmp_eq_u32_e32 vcc, s7, v15
	s_and_b64 vcc, s[0:1], vcc
	s_and_b32 s12, s7, 63
	v_cndmask_b32_e32 v15, 0, v16, vcc
	v_addc_co_u32_e32 v10, vcc, 0, v10, vcc
	v_readlane_b32 s0, v15, s12
	s_add_i32 s3, s3, -1
	v_mov_b32_e32 v14, s7
	v_mov_b32_e32 v15, s0
	v_cmp_eq_u32_e32 vcc, 0, v13
	s_cmp_eq_u32 s3, 0
	v_add_u32_e32 v13, -1, v13
	v_cndmask_b32_e32 v9, v9, v15, vcc
	v_cndmask_b32_e32 v8, v8, v14, vcc
	s_cbranch_scc0 .LBB58_6
; %bb.7:
	v_cmp_gt_i32_e32 vcc, s2, v0
	s_and_saveexec_b64 s[0:1], vcc
	s_cbranch_execz .LBB58_9
.LBB58_8:
	s_load_dword s2, s[4:5], 0x30
	s_load_dwordx2 s[0:1], s[4:5], 0x20
	s_ashr_i32 s3, s6, 31
	s_waitcnt lgkmcnt(0)
	v_mul_f32_e32 v0, s2, v9
	s_mul_i32 s1, s6, s1
	s_mul_hi_u32 s2, s6, s0
	s_add_i32 s1, s2, s1
	s_mul_i32 s3, s3, s0
	s_add_i32 s1, s1, s3
	s_mul_i32 s0, s6, s0
	s_lshl_b64 s[0:1], s[0:1], 2
	s_add_u32 s2, s8, s0
	s_addc_u32 s3, s9, s1
	s_add_u32 s0, s10, s0
	s_addc_u32 s1, s11, s1
	global_store_dword v7, v0, s[2:3]
	global_store_dword v7, v8, s[0:1]
.LBB58_9:
	s_endpgm
.LBB58_10:
	v_mov_b32_e32 v9, 0
	v_cmp_gt_i32_e32 vcc, s2, v0
	s_and_saveexec_b64 s[0:1], vcc
	s_cbranch_execnz .LBB58_8
	s_branch .LBB58_9
	.section	.rodata,"a",@progbits
	.p2align	6, 0x0
	.amdhsa_kernel _ZN5aiter24topk_softplus_kernel_optIf6__halfLi128ELb0ELi0EEEvPKT_PKT0_PfPimiif
		.amdhsa_group_segment_fixed_size 0
		.amdhsa_private_segment_fixed_size 0
		.amdhsa_kernarg_size 52
		.amdhsa_user_sgpr_count 6
		.amdhsa_user_sgpr_private_segment_buffer 1
		.amdhsa_user_sgpr_dispatch_ptr 0
		.amdhsa_user_sgpr_queue_ptr 0
		.amdhsa_user_sgpr_kernarg_segment_ptr 1
		.amdhsa_user_sgpr_dispatch_id 0
		.amdhsa_user_sgpr_flat_scratch_init 0
		.amdhsa_user_sgpr_kernarg_preload_length 0
		.amdhsa_user_sgpr_kernarg_preload_offset 0
		.amdhsa_user_sgpr_private_segment_size 0
		.amdhsa_uses_dynamic_stack 0
		.amdhsa_system_sgpr_private_segment_wavefront_offset 0
		.amdhsa_system_sgpr_workgroup_id_x 1
		.amdhsa_system_sgpr_workgroup_id_y 0
		.amdhsa_system_sgpr_workgroup_id_z 0
		.amdhsa_system_sgpr_workgroup_info 0
		.amdhsa_system_vgpr_workitem_id 0
		.amdhsa_next_free_vgpr 20
		.amdhsa_next_free_sgpr 15
		.amdhsa_accum_offset 20
		.amdhsa_reserve_vcc 1
		.amdhsa_reserve_flat_scratch 0
		.amdhsa_float_round_mode_32 0
		.amdhsa_float_round_mode_16_64 0
		.amdhsa_float_denorm_mode_32 3
		.amdhsa_float_denorm_mode_16_64 3
		.amdhsa_dx10_clamp 1
		.amdhsa_ieee_mode 1
		.amdhsa_fp16_overflow 0
		.amdhsa_tg_split 0
		.amdhsa_exception_fp_ieee_invalid_op 0
		.amdhsa_exception_fp_denorm_src 0
		.amdhsa_exception_fp_ieee_div_zero 0
		.amdhsa_exception_fp_ieee_overflow 0
		.amdhsa_exception_fp_ieee_underflow 0
		.amdhsa_exception_fp_ieee_inexact 0
		.amdhsa_exception_int_div_zero 0
	.end_amdhsa_kernel
	.section	.text._ZN5aiter24topk_softplus_kernel_optIf6__halfLi128ELb0ELi0EEEvPKT_PKT0_PfPimiif,"axG",@progbits,_ZN5aiter24topk_softplus_kernel_optIf6__halfLi128ELb0ELi0EEEvPKT_PKT0_PfPimiif,comdat
.Lfunc_end58:
	.size	_ZN5aiter24topk_softplus_kernel_optIf6__halfLi128ELb0ELi0EEEvPKT_PKT0_PfPimiif, .Lfunc_end58-_ZN5aiter24topk_softplus_kernel_optIf6__halfLi128ELb0ELi0EEEvPKT_PKT0_PfPimiif
                                        ; -- End function
	.section	.AMDGPU.csdata,"",@progbits
; Kernel info:
; codeLenInByte = 1032
; NumSgprs: 19
; NumVgprs: 20
; NumAgprs: 0
; TotalNumVgprs: 20
; ScratchSize: 0
; MemoryBound: 0
; FloatMode: 240
; IeeeMode: 1
; LDSByteSize: 0 bytes/workgroup (compile time only)
; SGPRBlocks: 2
; VGPRBlocks: 2
; NumSGPRsForWavesPerEU: 19
; NumVGPRsForWavesPerEU: 20
; AccumOffset: 20
; Occupancy: 8
; WaveLimiterHint : 0
; COMPUTE_PGM_RSRC2:SCRATCH_EN: 0
; COMPUTE_PGM_RSRC2:USER_SGPR: 6
; COMPUTE_PGM_RSRC2:TRAP_HANDLER: 0
; COMPUTE_PGM_RSRC2:TGID_X_EN: 1
; COMPUTE_PGM_RSRC2:TGID_Y_EN: 0
; COMPUTE_PGM_RSRC2:TGID_Z_EN: 0
; COMPUTE_PGM_RSRC2:TIDIG_COMP_CNT: 0
; COMPUTE_PGM_RSRC3_GFX90A:ACCUM_OFFSET: 4
; COMPUTE_PGM_RSRC3_GFX90A:TG_SPLIT: 0
	.section	.text._ZN5aiter24topk_softplus_kernel_optIf6__halfLi256ELb1ELi0EEEvPKT_PKT0_PfPimiif,"axG",@progbits,_ZN5aiter24topk_softplus_kernel_optIf6__halfLi256ELb1ELi0EEEvPKT_PKT0_PfPimiif,comdat
	.protected	_ZN5aiter24topk_softplus_kernel_optIf6__halfLi256ELb1ELi0EEEvPKT_PKT0_PfPimiif ; -- Begin function _ZN5aiter24topk_softplus_kernel_optIf6__halfLi256ELb1ELi0EEEvPKT_PKT0_PfPimiif
	.globl	_ZN5aiter24topk_softplus_kernel_optIf6__halfLi256ELb1ELi0EEEvPKT_PKT0_PfPimiif
	.p2align	8
	.type	_ZN5aiter24topk_softplus_kernel_optIf6__halfLi256ELb1ELi0EEEvPKT_PKT0_PfPimiif,@function
_ZN5aiter24topk_softplus_kernel_optIf6__halfLi256ELb1ELi0EEEvPKT_PKT0_PfPimiif: ; @_ZN5aiter24topk_softplus_kernel_optIf6__halfLi256ELb1ELi0EEEvPKT_PKT0_PfPimiif
; %bb.0:
	s_load_dwordx4 s[8:11], s[4:5], 0x0
	s_lshl_b32 s0, s6, 8
	s_ashr_i32 s1, s0, 31
	s_lshl_b64 s[0:1], s[0:1], 2
	v_lshlrev_b32_e32 v13, 2, v0
	s_waitcnt lgkmcnt(0)
	s_add_u32 s0, s8, s0
	s_addc_u32 s1, s9, s1
	global_load_dword v2, v13, s[0:1]
	s_mov_b32 s12, 0xc2fc0000
	v_mov_b32_e32 v7, 0x42800000
	v_mov_b32_e32 v10, 0x1f800000
	s_mov_b32 s13, 0x800000
	v_mov_b32_e32 v8, 0x4f800000
	v_mov_b32_e32 v9, 0x42000000
	s_mov_b32 s7, 0x41a00000
	s_mov_b32 s14, 0xf800000
	v_mov_b32_e32 v3, 0x260
	s_cmp_lg_u64 s[10:11], 0
	s_cselect_b64 s[8:9], -1, 0
	s_waitcnt vmcnt(0)
	v_mul_f32_e32 v1, 0x3fb8aa3b, v2
	v_cmp_gt_f32_e32 vcc, s12, v1
	v_cndmask_b32_e32 v1, 0, v7, vcc
	v_fmac_f32_e32 v1, 0x3fb8aa3b, v2
	v_exp_f32_e32 v4, v1
	v_cndmask_b32_e32 v5, 1.0, v10, vcc
	v_lshlrev_b32_e32 v1, 1, v0
	v_fma_f32 v4, v4, v5, 1.0
	v_cmp_gt_f32_e32 vcc, s13, v4
	v_cndmask_b32_e32 v5, 1.0, v8, vcc
	v_mul_f32_e32 v4, v4, v5
	v_log_f32_e32 v4, v4
	v_cndmask_b32_e32 v6, 0, v9, vcc
	v_cmp_lt_f32_e32 vcc, s7, v2
	v_mov_b32_e32 v5, s1
	v_sub_f32_e32 v4, v4, v6
	v_mul_f32_e32 v4, 0x3f317218, v4
	v_cndmask_b32_e32 v2, v4, v2, vcc
	v_mul_f32_e32 v4, 0x4f800000, v2
	v_cmp_gt_f32_e32 vcc, s14, v2
	v_cndmask_b32_e32 v2, v2, v4, vcc
	v_sqrt_f32_e32 v6, v2
	v_add_co_u32_e64 v4, s[0:1], s0, v13
	v_addc_co_u32_e64 v5, s[0:1], 0, v5, s[0:1]
	v_add_u32_e32 v11, -1, v6
	v_add_u32_e32 v12, 1, v6
	v_fma_f32 v14, -v11, v6, v2
	v_fma_f32 v15, -v12, v6, v2
	v_cmp_ge_f32_e64 s[2:3], 0, v14
	v_cndmask_b32_e64 v6, v6, v11, s[2:3]
	v_cmp_lt_f32_e64 s[2:3], 0, v15
	v_cndmask_b32_e64 v6, v6, v12, s[2:3]
	v_mul_f32_e32 v11, 0x37800000, v6
	v_cndmask_b32_e32 v6, v6, v11, vcc
	v_cmp_class_f32_e32 vcc, v2, v3
	s_and_b64 s[0:1], exec, s[8:9]
	v_cndmask_b32_e32 v2, v6, v2, vcc
	v_mov_b32_e32 v6, v2
	s_mov_b64 vcc, s[0:1]
	s_cbranch_vccz .LBB59_2
; %bb.1:
	global_load_ushort v6, v1, s[10:11]
	s_waitcnt vmcnt(0)
	v_cvt_f32_f16_e32 v6, v6
	v_add_f32_e32 v6, v2, v6
.LBB59_2:
	global_load_dword v11, v[4:5], off offset:256
	s_waitcnt vmcnt(0)
	v_mul_f32_e32 v12, 0x3fb8aa3b, v11
	v_cmp_gt_f32_e32 vcc, s12, v12
	v_cndmask_b32_e32 v7, 0, v7, vcc
	v_fmac_f32_e32 v7, 0x3fb8aa3b, v11
	v_exp_f32_e32 v7, v7
	v_cndmask_b32_e32 v10, 1.0, v10, vcc
	v_fma_f32 v7, v7, v10, 1.0
	v_cmp_gt_f32_e32 vcc, s13, v7
	v_cndmask_b32_e32 v8, 1.0, v8, vcc
	v_mul_f32_e32 v7, v7, v8
	v_log_f32_e32 v7, v7
	v_cndmask_b32_e32 v8, 0, v9, vcc
	v_cmp_lt_f32_e32 vcc, s7, v11
	v_cndmask_b32_e64 v9, 0, 1, s[8:9]
	v_sub_f32_e32 v7, v7, v8
	v_mul_f32_e32 v7, 0x3f317218, v7
	v_cndmask_b32_e32 v7, v7, v11, vcc
	v_mul_f32_e32 v8, 0x4f800000, v7
	v_cmp_gt_f32_e32 vcc, s14, v7
	v_cndmask_b32_e32 v7, v7, v8, vcc
	v_sqrt_f32_e32 v8, v7
	v_cmp_ne_u32_e64 s[0:1], 1, v9
	v_add_u32_e32 v9, -1, v8
	v_add_u32_e32 v10, 1, v8
	v_fma_f32 v11, -v9, v8, v7
	v_fma_f32 v12, -v10, v8, v7
	v_cmp_ge_f32_e64 s[2:3], 0, v11
	v_cndmask_b32_e64 v8, v8, v9, s[2:3]
	v_cmp_lt_f32_e64 s[2:3], 0, v12
	v_cndmask_b32_e64 v8, v8, v10, s[2:3]
	v_mul_f32_e32 v9, 0x37800000, v8
	v_cndmask_b32_e32 v8, v8, v9, vcc
	v_cmp_class_f32_e32 vcc, v7, v3
	v_cndmask_b32_e32 v9, v8, v7, vcc
	s_andn2_b64 vcc, exec, s[8:9]
	v_mov_b32_e32 v8, v9
	s_cbranch_vccnz .LBB59_4
; %bb.3:
	global_load_ushort v3, v1, s[10:11] offset:128
	s_waitcnt vmcnt(0)
	v_cvt_f32_f16_e32 v3, v3
	v_add_f32_e32 v8, v9, v3
.LBB59_4:
	global_load_dword v10, v[4:5], off offset:512
	s_mov_b32 s9, 0xc2fc0000
	v_mov_b32_e32 v11, 0x42800000
	v_mov_b32_e32 v3, 0x1f800000
	s_mov_b32 s12, 0x800000
	v_mov_b32_e32 v15, 0x4f800000
	s_mov_b32 s8, 0xf800000
	s_waitcnt vmcnt(0)
	v_mul_f32_e32 v7, 0x3fb8aa3b, v10
	v_cmp_gt_f32_e32 vcc, s9, v7
	v_cndmask_b32_e32 v12, 0, v11, vcc
	v_fmac_f32_e32 v12, 0x3fb8aa3b, v10
	v_exp_f32_e32 v12, v12
	v_cndmask_b32_e32 v7, 1.0, v3, vcc
	v_fma_f32 v7, v12, v7, 1.0
	v_cmp_gt_f32_e32 vcc, s12, v7
	v_cndmask_b32_e32 v12, 1.0, v15, vcc
	v_mul_f32_e32 v7, v7, v12
	v_log_f32_e32 v12, v7
	v_mov_b32_e32 v7, 0x42000000
	v_cndmask_b32_e32 v14, 0, v7, vcc
	v_cmp_lt_f32_e32 vcc, s7, v10
	v_sub_f32_e32 v12, v12, v14
	v_mul_f32_e32 v12, 0x3f317218, v12
	v_cndmask_b32_e32 v10, v12, v10, vcc
	v_mul_f32_e32 v12, 0x4f800000, v10
	v_cmp_gt_f32_e32 vcc, s8, v10
	v_cndmask_b32_e32 v10, v10, v12, vcc
	v_sqrt_f32_e32 v12, v10
	v_mov_b32_e32 v14, 0x260
	v_add_u32_e32 v16, -1, v12
	v_add_u32_e32 v17, 1, v12
	v_fma_f32 v18, -v16, v12, v10
	v_fma_f32 v19, -v17, v12, v10
	v_cmp_ge_f32_e64 s[2:3], 0, v18
	v_cndmask_b32_e64 v12, v12, v16, s[2:3]
	v_cmp_lt_f32_e64 s[2:3], 0, v19
	v_cndmask_b32_e64 v12, v12, v17, s[2:3]
	v_mul_f32_e32 v16, 0x37800000, v12
	v_cndmask_b32_e32 v12, v12, v16, vcc
	v_cmp_class_f32_e32 vcc, v10, v14
	v_cndmask_b32_e32 v12, v12, v10, vcc
	s_and_b64 vcc, exec, s[0:1]
	v_mov_b32_e32 v10, v12
	s_cbranch_vccnz .LBB59_6
; %bb.5:
	global_load_ushort v10, v1, s[10:11] offset:256
	s_waitcnt vmcnt(0)
	v_cvt_f32_f16_e32 v10, v10
	v_add_f32_e32 v10, v12, v10
.LBB59_6:
	global_load_dword v4, v[4:5], off offset:768
	s_waitcnt vmcnt(0)
	v_mul_f32_e32 v5, 0x3fb8aa3b, v4
	v_cmp_gt_f32_e32 vcc, s9, v5
	v_cndmask_b32_e32 v5, 0, v11, vcc
	v_fmac_f32_e32 v5, 0x3fb8aa3b, v4
	v_exp_f32_e32 v5, v5
	v_cndmask_b32_e32 v3, 1.0, v3, vcc
	v_fma_f32 v3, v5, v3, 1.0
	v_cmp_gt_f32_e32 vcc, s12, v3
	v_cndmask_b32_e32 v5, 1.0, v15, vcc
	v_mul_f32_e32 v3, v3, v5
	v_log_f32_e32 v3, v3
	v_cndmask_b32_e32 v5, 0, v7, vcc
	v_cmp_lt_f32_e32 vcc, s7, v4
	v_sub_f32_e32 v3, v3, v5
	v_mul_f32_e32 v3, 0x3f317218, v3
	v_cndmask_b32_e32 v3, v3, v4, vcc
	v_mul_f32_e32 v4, 0x4f800000, v3
	v_cmp_gt_f32_e32 vcc, s8, v3
	v_cndmask_b32_e32 v3, v3, v4, vcc
	v_sqrt_f32_e32 v4, v3
	v_add_u32_e32 v5, -1, v4
	v_add_u32_e32 v7, 1, v4
	v_fma_f32 v11, -v5, v4, v3
	v_fma_f32 v15, -v7, v4, v3
	v_cmp_ge_f32_e64 s[2:3], 0, v11
	v_cndmask_b32_e64 v4, v4, v5, s[2:3]
	v_cmp_lt_f32_e64 s[2:3], 0, v15
	v_cndmask_b32_e64 v4, v4, v7, s[2:3]
	v_mul_f32_e32 v5, 0x37800000, v4
	v_cndmask_b32_e32 v4, v4, v5, vcc
	v_cmp_class_f32_e32 vcc, v3, v14
	v_cndmask_b32_e32 v3, v4, v3, vcc
	s_and_b64 vcc, exec, s[0:1]
	v_mov_b32_e32 v5, v3
	s_cbranch_vccnz .LBB59_8
; %bb.7:
	global_load_ushort v1, v1, s[10:11] offset:384
	s_waitcnt vmcnt(0)
	v_cvt_f32_f16_e32 v1, v1
	v_add_f32_e32 v5, v3, v1
.LBB59_8:
	v_add_u32_e32 v4, 64, v0
	v_cmp_lt_f32_e32 vcc, v6, v8
	v_add_u32_e32 v16, 0x80, v0
	v_add_u32_e32 v7, 0xc0, v0
	v_cndmask_b32_e32 v11, v9, v2, vcc
	v_cndmask_b32_e32 v2, v2, v9, vcc
	;; [unrolled: 1-line block ×6, first 2 shown]
	v_cmp_lt_f32_e32 vcc, v10, v5
	v_mov_b32_e32 v8, v10
	s_and_saveexec_b64 s[0:1], vcc
	s_xor_b64 s[0:1], exec, s[0:1]
; %bb.9:
	v_mov_b32_e32 v8, v12
	v_mov_b32_e32 v15, v10
	;; [unrolled: 1-line block ×4, first 2 shown]
	v_swap_b32 v12, v3
	v_swap_b32 v16, v7
	v_mov_b32_e32 v8, v5
	v_mov_b32_e32 v5, v15
; %bb.10:
	s_or_b64 exec, exec, s[0:1]
	v_cmp_lt_f32_e32 vcc, v6, v10
	v_cndmask_b32_e32 v14, v12, v2, vcc
	v_cndmask_b32_e32 v2, v2, v12, vcc
	;; [unrolled: 1-line block ×6, first 2 shown]
	v_cmp_lt_f32_e32 vcc, v9, v5
	v_mov_b32_e32 v17, v9
	s_and_saveexec_b64 s[0:1], vcc
; %bb.11:
	v_mov_b32_e32 v16, v9
	v_mov_b32_e32 v8, v11
	;; [unrolled: 1-line block ×4, first 2 shown]
	v_swap_b32 v11, v3
	v_swap_b32 v1, v7
	v_mov_b32_e32 v17, v5
	v_mov_b32_e32 v5, v16
; %bb.12:
	s_or_b64 exec, exec, s[0:1]
	s_load_dword s2, s[4:5], 0x28
	s_load_dwordx4 s[8:11], s[4:5], 0x10
	v_mov_b32_e32 v16, 0
	s_waitcnt lgkmcnt(0)
	s_cmp_lt_i32 s2, 1
	s_cbranch_scc1 .LBB59_18
; %bb.13:
	v_cmp_lt_f32_e32 vcc, v9, v12
	v_cndmask_b32_e32 v10, v12, v9, vcc
	v_cndmask_b32_e32 v9, v17, v12, vcc
	;; [unrolled: 1-line block ×4, first 2 shown]
	v_mbcnt_lo_u32_b32 v14, -1, 0
	v_cndmask_b32_e32 v8, v15, v1, vcc
	v_cndmask_b32_e32 v1, v1, v15, vcc
	v_mbcnt_hi_u32_b32 v14, -1, v14
	v_bfrev_b32_e32 v15, 0.5
	v_mov_b32_e32 v16, 0
	v_mov_b32_e32 v17, 0
	;; [unrolled: 1-line block ×3, first 2 shown]
	v_lshl_or_b32 v19, v14, 2, v15
	v_mov_b32_e32 v20, v0
	s_mov_b32 s3, s2
	v_mov_b32_e32 v14, 0
	v_mov_b32_e32 v15, 0
.LBB59_14:                              ; =>This Inner Loop Header: Depth=1
	v_cmp_eq_u32_e32 vcc, 1, v17
	v_cndmask_b32_e32 v21, v6, v9, vcc
	v_cmp_eq_u32_e64 s[0:1], 2, v17
	v_cndmask_b32_e64 v21, v21, v10, s[0:1]
	v_cndmask_b32_e32 v22, v4, v1, vcc
	v_cndmask_b32_e32 v23, v2, v11, vcc
	v_cmp_eq_u32_e32 vcc, 3, v17
	v_cndmask_b32_e32 v21, v21, v5, vcc
	v_cndmask_b32_e64 v22, v22, v8, s[0:1]
	v_cndmask_b32_e64 v23, v23, v12, s[0:1]
	v_cmp_gt_u32_e64 s[0:1], 4, v17
	v_cndmask_b32_e64 v21, v18, v21, s[0:1]
	;;#ASMSTART
	v_max_f32 v25, v21, v21 quad_perm:[1,0,3,2] row_mask:0xf bank_mask:0xf bound_ctrl:1
	;;#ASMEND
	;;#ASMSTART
	v_max_f32 v26, v25, v25 quad_perm:[2,3,0,1] row_mask:0xf bank_mask:0xf bound_ctrl:1
	;;#ASMEND
	;;#ASMSTART
	v_max_f32 v25, v26, v26 row_half_mirror row_mask:0xf bank_mask:0xf bound_ctrl:1
	;;#ASMEND
	;;#ASMSTART
	v_max_f32 v26, v25, v25 row_mirror row_mask:0xf bank_mask:0xf bound_ctrl:1
	;;#ASMEND
	;;#ASMSTART
	v_max_f32 v25, v26, v26 row_ror:4 row_mask:0xf bank_mask:0xf bound_ctrl:1
	;;#ASMEND
	;;#ASMSTART
	v_max_f32 v26, v25, v25 row_ror:8 row_mask:0xf bank_mask:0xf bound_ctrl:1
	;;#ASMEND
	;;#ASMSTART
	v_max_f32 v25, v26, v26 row_bcast:15 row_mask:0xf bank_mask:0xf bound_ctrl:1
	;;#ASMEND
	;;#ASMSTART
	v_max_f32 v26, v25, v25 row_bcast:31 row_mask:0xf bank_mask:0xf bound_ctrl:1
	;;#ASMEND
	ds_bpermute_b32 v25, v19, v26
	v_cndmask_b32_e32 v22, v22, v7, vcc
	v_cndmask_b32_e32 v23, v23, v3, vcc
	v_cndmask_b32_e64 v24, 0, v22, s[0:1]
	s_waitcnt lgkmcnt(0)
	v_cmp_eq_f32_e32 vcc, v21, v25
	s_ff1_i32_b64 s7, vcc
	s_cmp_lg_u64 vcc, 0
	s_cselect_b32 s7, s7, 0
	v_readlane_b32 s7, v24, s7
	v_cmp_eq_u32_e32 vcc, s7, v22
	s_and_b64 vcc, s[0:1], vcc
	s_and_b32 s12, s7, 63
	v_cndmask_b32_e32 v22, 0, v23, vcc
	v_addc_co_u32_e32 v17, vcc, 0, v17, vcc
	v_readlane_b32 s0, v22, s12
	s_add_i32 s3, s3, -1
	v_mov_b32_e32 v21, s7
	v_mov_b32_e32 v22, s0
	v_cmp_eq_u32_e32 vcc, 0, v20
	s_cmp_eq_u32 s3, 0
	v_add_f32_e32 v16, s0, v16
	v_add_u32_e32 v20, -1, v20
	v_cndmask_b32_e32 v15, v15, v22, vcc
	v_cndmask_b32_e32 v14, v14, v21, vcc
	s_cbranch_scc0 .LBB59_14
; %bb.15:
	v_cmp_gt_i32_e32 vcc, s2, v0
	s_and_saveexec_b64 s[0:1], vcc
	s_cbranch_execz .LBB59_17
.LBB59_16:
	s_load_dword s2, s[4:5], 0x30
	v_max_f32_e32 v0, v16, v16
	v_max_f32_e32 v0, 0x1e3ce508, v0
	s_waitcnt lgkmcnt(0)
	v_div_scale_f32 v1, s[0:1], v0, v0, s2
	v_rcp_f32_e32 v2, v1
	v_div_scale_f32 v3, vcc, s2, v0, s2
	s_load_dwordx2 s[0:1], s[4:5], 0x20
	v_fma_f32 v4, -v1, v2, 1.0
	v_fmac_f32_e32 v2, v4, v2
	v_mul_f32_e32 v4, v3, v2
	v_fma_f32 v5, -v1, v4, v3
	v_fmac_f32_e32 v4, v5, v2
	v_fma_f32 v1, -v1, v4, v3
	v_div_fmas_f32 v1, v1, v2, v4
	v_div_fixup_f32 v0, v1, v0, s2
	s_ashr_i32 s2, s6, 31
	s_waitcnt lgkmcnt(0)
	s_mul_i32 s1, s6, s1
	s_mul_hi_u32 s3, s6, s0
	s_add_i32 s1, s3, s1
	s_mul_i32 s2, s2, s0
	s_add_i32 s1, s1, s2
	s_mul_i32 s0, s6, s0
	s_lshl_b64 s[0:1], s[0:1], 2
	s_add_u32 s2, s8, s0
	s_addc_u32 s3, s9, s1
	s_add_u32 s0, s10, s0
	v_mul_f32_e32 v0, v15, v0
	s_addc_u32 s1, s11, s1
	global_store_dword v13, v0, s[2:3]
	global_store_dword v13, v14, s[0:1]
.LBB59_17:
	s_endpgm
.LBB59_18:
	v_mov_b32_e32 v14, 0
	v_mov_b32_e32 v15, 0
	v_cmp_gt_i32_e32 vcc, s2, v0
	s_and_saveexec_b64 s[0:1], vcc
	s_cbranch_execnz .LBB59_16
	s_branch .LBB59_17
	.section	.rodata,"a",@progbits
	.p2align	6, 0x0
	.amdhsa_kernel _ZN5aiter24topk_softplus_kernel_optIf6__halfLi256ELb1ELi0EEEvPKT_PKT0_PfPimiif
		.amdhsa_group_segment_fixed_size 0
		.amdhsa_private_segment_fixed_size 0
		.amdhsa_kernarg_size 52
		.amdhsa_user_sgpr_count 6
		.amdhsa_user_sgpr_private_segment_buffer 1
		.amdhsa_user_sgpr_dispatch_ptr 0
		.amdhsa_user_sgpr_queue_ptr 0
		.amdhsa_user_sgpr_kernarg_segment_ptr 1
		.amdhsa_user_sgpr_dispatch_id 0
		.amdhsa_user_sgpr_flat_scratch_init 0
		.amdhsa_user_sgpr_kernarg_preload_length 0
		.amdhsa_user_sgpr_kernarg_preload_offset 0
		.amdhsa_user_sgpr_private_segment_size 0
		.amdhsa_uses_dynamic_stack 0
		.amdhsa_system_sgpr_private_segment_wavefront_offset 0
		.amdhsa_system_sgpr_workgroup_id_x 1
		.amdhsa_system_sgpr_workgroup_id_y 0
		.amdhsa_system_sgpr_workgroup_id_z 0
		.amdhsa_system_sgpr_workgroup_info 0
		.amdhsa_system_vgpr_workitem_id 0
		.amdhsa_next_free_vgpr 27
		.amdhsa_next_free_sgpr 15
		.amdhsa_accum_offset 28
		.amdhsa_reserve_vcc 1
		.amdhsa_reserve_flat_scratch 0
		.amdhsa_float_round_mode_32 0
		.amdhsa_float_round_mode_16_64 0
		.amdhsa_float_denorm_mode_32 3
		.amdhsa_float_denorm_mode_16_64 3
		.amdhsa_dx10_clamp 1
		.amdhsa_ieee_mode 1
		.amdhsa_fp16_overflow 0
		.amdhsa_tg_split 0
		.amdhsa_exception_fp_ieee_invalid_op 0
		.amdhsa_exception_fp_denorm_src 0
		.amdhsa_exception_fp_ieee_div_zero 0
		.amdhsa_exception_fp_ieee_overflow 0
		.amdhsa_exception_fp_ieee_underflow 0
		.amdhsa_exception_fp_ieee_inexact 0
		.amdhsa_exception_int_div_zero 0
	.end_amdhsa_kernel
	.section	.text._ZN5aiter24topk_softplus_kernel_optIf6__halfLi256ELb1ELi0EEEvPKT_PKT0_PfPimiif,"axG",@progbits,_ZN5aiter24topk_softplus_kernel_optIf6__halfLi256ELb1ELi0EEEvPKT_PKT0_PfPimiif,comdat
.Lfunc_end59:
	.size	_ZN5aiter24topk_softplus_kernel_optIf6__halfLi256ELb1ELi0EEEvPKT_PKT0_PfPimiif, .Lfunc_end59-_ZN5aiter24topk_softplus_kernel_optIf6__halfLi256ELb1ELi0EEEvPKT_PKT0_PfPimiif
                                        ; -- End function
	.section	.AMDGPU.csdata,"",@progbits
; Kernel info:
; codeLenInByte = 1872
; NumSgprs: 19
; NumVgprs: 27
; NumAgprs: 0
; TotalNumVgprs: 27
; ScratchSize: 0
; MemoryBound: 0
; FloatMode: 240
; IeeeMode: 1
; LDSByteSize: 0 bytes/workgroup (compile time only)
; SGPRBlocks: 2
; VGPRBlocks: 3
; NumSGPRsForWavesPerEU: 19
; NumVGPRsForWavesPerEU: 27
; AccumOffset: 28
; Occupancy: 8
; WaveLimiterHint : 0
; COMPUTE_PGM_RSRC2:SCRATCH_EN: 0
; COMPUTE_PGM_RSRC2:USER_SGPR: 6
; COMPUTE_PGM_RSRC2:TRAP_HANDLER: 0
; COMPUTE_PGM_RSRC2:TGID_X_EN: 1
; COMPUTE_PGM_RSRC2:TGID_Y_EN: 0
; COMPUTE_PGM_RSRC2:TGID_Z_EN: 0
; COMPUTE_PGM_RSRC2:TIDIG_COMP_CNT: 0
; COMPUTE_PGM_RSRC3_GFX90A:ACCUM_OFFSET: 6
; COMPUTE_PGM_RSRC3_GFX90A:TG_SPLIT: 0
	.section	.text._ZN5aiter24topk_softplus_kernel_optIf6__halfLi256ELb0ELi0EEEvPKT_PKT0_PfPimiif,"axG",@progbits,_ZN5aiter24topk_softplus_kernel_optIf6__halfLi256ELb0ELi0EEEvPKT_PKT0_PfPimiif,comdat
	.protected	_ZN5aiter24topk_softplus_kernel_optIf6__halfLi256ELb0ELi0EEEvPKT_PKT0_PfPimiif ; -- Begin function _ZN5aiter24topk_softplus_kernel_optIf6__halfLi256ELb0ELi0EEEvPKT_PKT0_PfPimiif
	.globl	_ZN5aiter24topk_softplus_kernel_optIf6__halfLi256ELb0ELi0EEEvPKT_PKT0_PfPimiif
	.p2align	8
	.type	_ZN5aiter24topk_softplus_kernel_optIf6__halfLi256ELb0ELi0EEEvPKT_PKT0_PfPimiif,@function
_ZN5aiter24topk_softplus_kernel_optIf6__halfLi256ELb0ELi0EEEvPKT_PKT0_PfPimiif: ; @_ZN5aiter24topk_softplus_kernel_optIf6__halfLi256ELb0ELi0EEEvPKT_PKT0_PfPimiif
; %bb.0:
	s_load_dwordx4 s[8:11], s[4:5], 0x0
	s_lshl_b32 s0, s6, 8
	s_ashr_i32 s1, s0, 31
	s_lshl_b64 s[0:1], s[0:1], 2
	v_lshlrev_b32_e32 v13, 2, v0
	s_waitcnt lgkmcnt(0)
	s_add_u32 s0, s8, s0
	s_addc_u32 s1, s9, s1
	global_load_dword v2, v13, s[0:1]
	s_mov_b32 s12, 0xc2fc0000
	v_mov_b32_e32 v7, 0x42800000
	v_mov_b32_e32 v10, 0x1f800000
	s_mov_b32 s13, 0x800000
	v_mov_b32_e32 v8, 0x4f800000
	v_mov_b32_e32 v9, 0x42000000
	s_mov_b32 s7, 0x41a00000
	s_mov_b32 s14, 0xf800000
	v_mov_b32_e32 v3, 0x260
	s_cmp_lg_u64 s[10:11], 0
	s_cselect_b64 s[8:9], -1, 0
	s_waitcnt vmcnt(0)
	v_mul_f32_e32 v1, 0x3fb8aa3b, v2
	v_cmp_gt_f32_e32 vcc, s12, v1
	v_cndmask_b32_e32 v1, 0, v7, vcc
	v_fmac_f32_e32 v1, 0x3fb8aa3b, v2
	v_exp_f32_e32 v4, v1
	v_cndmask_b32_e32 v5, 1.0, v10, vcc
	v_lshlrev_b32_e32 v1, 1, v0
	v_fma_f32 v4, v4, v5, 1.0
	v_cmp_gt_f32_e32 vcc, s13, v4
	v_cndmask_b32_e32 v5, 1.0, v8, vcc
	v_mul_f32_e32 v4, v4, v5
	v_log_f32_e32 v4, v4
	v_cndmask_b32_e32 v6, 0, v9, vcc
	v_cmp_lt_f32_e32 vcc, s7, v2
	v_mov_b32_e32 v5, s1
	v_sub_f32_e32 v4, v4, v6
	v_mul_f32_e32 v4, 0x3f317218, v4
	v_cndmask_b32_e32 v2, v4, v2, vcc
	v_mul_f32_e32 v4, 0x4f800000, v2
	v_cmp_gt_f32_e32 vcc, s14, v2
	v_cndmask_b32_e32 v2, v2, v4, vcc
	v_sqrt_f32_e32 v6, v2
	v_add_co_u32_e64 v4, s[0:1], s0, v13
	v_addc_co_u32_e64 v5, s[0:1], 0, v5, s[0:1]
	v_add_u32_e32 v11, -1, v6
	v_add_u32_e32 v12, 1, v6
	v_fma_f32 v14, -v11, v6, v2
	v_fma_f32 v15, -v12, v6, v2
	v_cmp_ge_f32_e64 s[2:3], 0, v14
	v_cndmask_b32_e64 v6, v6, v11, s[2:3]
	v_cmp_lt_f32_e64 s[2:3], 0, v15
	v_cndmask_b32_e64 v6, v6, v12, s[2:3]
	v_mul_f32_e32 v11, 0x37800000, v6
	v_cndmask_b32_e32 v6, v6, v11, vcc
	v_cmp_class_f32_e32 vcc, v2, v3
	s_and_b64 s[0:1], exec, s[8:9]
	v_cndmask_b32_e32 v2, v6, v2, vcc
	v_mov_b32_e32 v6, v2
	s_mov_b64 vcc, s[0:1]
	s_cbranch_vccz .LBB60_2
; %bb.1:
	global_load_ushort v6, v1, s[10:11]
	s_waitcnt vmcnt(0)
	v_cvt_f32_f16_e32 v6, v6
	v_add_f32_e32 v6, v2, v6
.LBB60_2:
	global_load_dword v11, v[4:5], off offset:256
	s_waitcnt vmcnt(0)
	v_mul_f32_e32 v12, 0x3fb8aa3b, v11
	v_cmp_gt_f32_e32 vcc, s12, v12
	v_cndmask_b32_e32 v7, 0, v7, vcc
	v_fmac_f32_e32 v7, 0x3fb8aa3b, v11
	v_exp_f32_e32 v7, v7
	v_cndmask_b32_e32 v10, 1.0, v10, vcc
	v_fma_f32 v7, v7, v10, 1.0
	v_cmp_gt_f32_e32 vcc, s13, v7
	v_cndmask_b32_e32 v8, 1.0, v8, vcc
	v_mul_f32_e32 v7, v7, v8
	v_log_f32_e32 v7, v7
	v_cndmask_b32_e32 v8, 0, v9, vcc
	v_cmp_lt_f32_e32 vcc, s7, v11
	v_cndmask_b32_e64 v9, 0, 1, s[8:9]
	v_sub_f32_e32 v7, v7, v8
	v_mul_f32_e32 v7, 0x3f317218, v7
	v_cndmask_b32_e32 v7, v7, v11, vcc
	v_mul_f32_e32 v8, 0x4f800000, v7
	v_cmp_gt_f32_e32 vcc, s14, v7
	v_cndmask_b32_e32 v7, v7, v8, vcc
	v_sqrt_f32_e32 v8, v7
	v_cmp_ne_u32_e64 s[0:1], 1, v9
	v_add_u32_e32 v9, -1, v8
	v_add_u32_e32 v10, 1, v8
	v_fma_f32 v11, -v9, v8, v7
	v_fma_f32 v12, -v10, v8, v7
	v_cmp_ge_f32_e64 s[2:3], 0, v11
	v_cndmask_b32_e64 v8, v8, v9, s[2:3]
	v_cmp_lt_f32_e64 s[2:3], 0, v12
	v_cndmask_b32_e64 v8, v8, v10, s[2:3]
	v_mul_f32_e32 v9, 0x37800000, v8
	v_cndmask_b32_e32 v8, v8, v9, vcc
	v_cmp_class_f32_e32 vcc, v7, v3
	v_cndmask_b32_e32 v9, v8, v7, vcc
	s_andn2_b64 vcc, exec, s[8:9]
	v_mov_b32_e32 v8, v9
	s_cbranch_vccnz .LBB60_4
; %bb.3:
	global_load_ushort v3, v1, s[10:11] offset:128
	s_waitcnt vmcnt(0)
	v_cvt_f32_f16_e32 v3, v3
	v_add_f32_e32 v8, v9, v3
.LBB60_4:
	global_load_dword v10, v[4:5], off offset:512
	s_mov_b32 s9, 0xc2fc0000
	v_mov_b32_e32 v11, 0x42800000
	v_mov_b32_e32 v3, 0x1f800000
	s_mov_b32 s12, 0x800000
	v_mov_b32_e32 v15, 0x4f800000
	s_mov_b32 s8, 0xf800000
	s_waitcnt vmcnt(0)
	v_mul_f32_e32 v7, 0x3fb8aa3b, v10
	v_cmp_gt_f32_e32 vcc, s9, v7
	v_cndmask_b32_e32 v12, 0, v11, vcc
	v_fmac_f32_e32 v12, 0x3fb8aa3b, v10
	v_exp_f32_e32 v12, v12
	v_cndmask_b32_e32 v7, 1.0, v3, vcc
	v_fma_f32 v7, v12, v7, 1.0
	v_cmp_gt_f32_e32 vcc, s12, v7
	v_cndmask_b32_e32 v12, 1.0, v15, vcc
	v_mul_f32_e32 v7, v7, v12
	v_log_f32_e32 v12, v7
	v_mov_b32_e32 v7, 0x42000000
	v_cndmask_b32_e32 v14, 0, v7, vcc
	v_cmp_lt_f32_e32 vcc, s7, v10
	v_sub_f32_e32 v12, v12, v14
	v_mul_f32_e32 v12, 0x3f317218, v12
	v_cndmask_b32_e32 v10, v12, v10, vcc
	v_mul_f32_e32 v12, 0x4f800000, v10
	v_cmp_gt_f32_e32 vcc, s8, v10
	v_cndmask_b32_e32 v10, v10, v12, vcc
	v_sqrt_f32_e32 v12, v10
	v_mov_b32_e32 v14, 0x260
	v_add_u32_e32 v16, -1, v12
	v_add_u32_e32 v17, 1, v12
	v_fma_f32 v18, -v16, v12, v10
	v_fma_f32 v19, -v17, v12, v10
	v_cmp_ge_f32_e64 s[2:3], 0, v18
	v_cndmask_b32_e64 v12, v12, v16, s[2:3]
	v_cmp_lt_f32_e64 s[2:3], 0, v19
	v_cndmask_b32_e64 v12, v12, v17, s[2:3]
	v_mul_f32_e32 v16, 0x37800000, v12
	v_cndmask_b32_e32 v12, v12, v16, vcc
	v_cmp_class_f32_e32 vcc, v10, v14
	v_cndmask_b32_e32 v12, v12, v10, vcc
	s_and_b64 vcc, exec, s[0:1]
	v_mov_b32_e32 v10, v12
	s_cbranch_vccnz .LBB60_6
; %bb.5:
	global_load_ushort v10, v1, s[10:11] offset:256
	s_waitcnt vmcnt(0)
	v_cvt_f32_f16_e32 v10, v10
	v_add_f32_e32 v10, v12, v10
.LBB60_6:
	global_load_dword v4, v[4:5], off offset:768
	s_waitcnt vmcnt(0)
	v_mul_f32_e32 v5, 0x3fb8aa3b, v4
	v_cmp_gt_f32_e32 vcc, s9, v5
	v_cndmask_b32_e32 v5, 0, v11, vcc
	v_fmac_f32_e32 v5, 0x3fb8aa3b, v4
	v_exp_f32_e32 v5, v5
	v_cndmask_b32_e32 v3, 1.0, v3, vcc
	v_fma_f32 v3, v5, v3, 1.0
	v_cmp_gt_f32_e32 vcc, s12, v3
	v_cndmask_b32_e32 v5, 1.0, v15, vcc
	v_mul_f32_e32 v3, v3, v5
	v_log_f32_e32 v3, v3
	v_cndmask_b32_e32 v5, 0, v7, vcc
	v_cmp_lt_f32_e32 vcc, s7, v4
	v_sub_f32_e32 v3, v3, v5
	v_mul_f32_e32 v3, 0x3f317218, v3
	v_cndmask_b32_e32 v3, v3, v4, vcc
	v_mul_f32_e32 v4, 0x4f800000, v3
	v_cmp_gt_f32_e32 vcc, s8, v3
	v_cndmask_b32_e32 v3, v3, v4, vcc
	v_sqrt_f32_e32 v4, v3
	v_add_u32_e32 v5, -1, v4
	v_add_u32_e32 v7, 1, v4
	v_fma_f32 v11, -v5, v4, v3
	v_fma_f32 v15, -v7, v4, v3
	v_cmp_ge_f32_e64 s[2:3], 0, v11
	v_cndmask_b32_e64 v4, v4, v5, s[2:3]
	v_cmp_lt_f32_e64 s[2:3], 0, v15
	v_cndmask_b32_e64 v4, v4, v7, s[2:3]
	v_mul_f32_e32 v5, 0x37800000, v4
	v_cndmask_b32_e32 v4, v4, v5, vcc
	v_cmp_class_f32_e32 vcc, v3, v14
	v_cndmask_b32_e32 v3, v4, v3, vcc
	s_and_b64 vcc, exec, s[0:1]
	v_mov_b32_e32 v5, v3
	s_cbranch_vccnz .LBB60_8
; %bb.7:
	global_load_ushort v1, v1, s[10:11] offset:384
	s_waitcnt vmcnt(0)
	v_cvt_f32_f16_e32 v1, v1
	v_add_f32_e32 v5, v3, v1
.LBB60_8:
	v_add_u32_e32 v4, 64, v0
	v_cmp_lt_f32_e32 vcc, v6, v8
	v_add_u32_e32 v16, 0x80, v0
	v_add_u32_e32 v7, 0xc0, v0
	v_cndmask_b32_e32 v11, v9, v2, vcc
	v_cndmask_b32_e32 v2, v2, v9, vcc
	;; [unrolled: 1-line block ×6, first 2 shown]
	v_cmp_lt_f32_e32 vcc, v10, v5
	v_mov_b32_e32 v8, v10
	s_and_saveexec_b64 s[0:1], vcc
	s_xor_b64 s[0:1], exec, s[0:1]
; %bb.9:
	v_mov_b32_e32 v8, v12
	v_mov_b32_e32 v15, v10
	;; [unrolled: 1-line block ×4, first 2 shown]
	v_swap_b32 v12, v3
	v_swap_b32 v16, v7
	v_mov_b32_e32 v8, v5
	v_mov_b32_e32 v5, v15
; %bb.10:
	s_or_b64 exec, exec, s[0:1]
	v_cmp_lt_f32_e32 vcc, v6, v10
	v_cndmask_b32_e32 v14, v12, v2, vcc
	v_cndmask_b32_e32 v2, v2, v12, vcc
	;; [unrolled: 1-line block ×6, first 2 shown]
	v_cmp_lt_f32_e32 vcc, v9, v5
	v_mov_b32_e32 v16, v9
	s_and_saveexec_b64 s[0:1], vcc
; %bb.11:
	v_mov_b32_e32 v17, v9
	v_mov_b32_e32 v8, v11
	;; [unrolled: 1-line block ×4, first 2 shown]
	v_swap_b32 v11, v3
	v_swap_b32 v1, v7
	v_mov_b32_e32 v16, v5
	v_mov_b32_e32 v5, v17
; %bb.12:
	s_or_b64 exec, exec, s[0:1]
	s_load_dword s2, s[4:5], 0x28
	s_load_dwordx4 s[8:11], s[4:5], 0x10
	s_waitcnt lgkmcnt(0)
	s_cmp_lt_i32 s2, 1
	s_cbranch_scc1 .LBB60_18
; %bb.13:
	v_cmp_lt_f32_e32 vcc, v9, v12
	v_cndmask_b32_e32 v10, v12, v9, vcc
	v_cndmask_b32_e32 v9, v16, v12, vcc
	;; [unrolled: 1-line block ×4, first 2 shown]
	v_mbcnt_lo_u32_b32 v14, -1, 0
	v_mbcnt_hi_u32_b32 v14, -1, v14
	v_bfrev_b32_e32 v18, 0.5
	v_cndmask_b32_e32 v8, v15, v1, vcc
	v_cndmask_b32_e32 v1, v1, v15, vcc
	v_mov_b32_e32 v16, 0
	v_mov_b32_e32 v15, 0
	;; [unrolled: 1-line block ×3, first 2 shown]
	v_lshl_or_b32 v18, v14, 2, v18
	v_mov_b32_e32 v19, v0
	s_mov_b32 s3, s2
	v_mov_b32_e32 v14, 0
.LBB60_14:                              ; =>This Inner Loop Header: Depth=1
	v_cmp_eq_u32_e32 vcc, 1, v16
	v_cndmask_b32_e32 v20, v6, v9, vcc
	v_cmp_eq_u32_e64 s[0:1], 2, v16
	v_cndmask_b32_e64 v20, v20, v10, s[0:1]
	v_cndmask_b32_e32 v21, v4, v1, vcc
	v_cndmask_b32_e32 v22, v2, v11, vcc
	v_cmp_eq_u32_e32 vcc, 3, v16
	v_cndmask_b32_e32 v20, v20, v5, vcc
	v_cndmask_b32_e64 v21, v21, v8, s[0:1]
	v_cndmask_b32_e64 v22, v22, v12, s[0:1]
	v_cmp_gt_u32_e64 s[0:1], 4, v16
	v_cndmask_b32_e64 v20, v17, v20, s[0:1]
	;;#ASMSTART
	v_max_f32 v24, v20, v20 quad_perm:[1,0,3,2] row_mask:0xf bank_mask:0xf bound_ctrl:1
	;;#ASMEND
	;;#ASMSTART
	v_max_f32 v25, v24, v24 quad_perm:[2,3,0,1] row_mask:0xf bank_mask:0xf bound_ctrl:1
	;;#ASMEND
	;;#ASMSTART
	v_max_f32 v24, v25, v25 row_half_mirror row_mask:0xf bank_mask:0xf bound_ctrl:1
	;;#ASMEND
	;;#ASMSTART
	v_max_f32 v25, v24, v24 row_mirror row_mask:0xf bank_mask:0xf bound_ctrl:1
	;;#ASMEND
	;;#ASMSTART
	v_max_f32 v24, v25, v25 row_ror:4 row_mask:0xf bank_mask:0xf bound_ctrl:1
	;;#ASMEND
	;;#ASMSTART
	v_max_f32 v25, v24, v24 row_ror:8 row_mask:0xf bank_mask:0xf bound_ctrl:1
	;;#ASMEND
	;;#ASMSTART
	v_max_f32 v24, v25, v25 row_bcast:15 row_mask:0xf bank_mask:0xf bound_ctrl:1
	;;#ASMEND
	;;#ASMSTART
	v_max_f32 v25, v24, v24 row_bcast:31 row_mask:0xf bank_mask:0xf bound_ctrl:1
	;;#ASMEND
	ds_bpermute_b32 v24, v18, v25
	v_cndmask_b32_e32 v21, v21, v7, vcc
	v_cndmask_b32_e32 v22, v22, v3, vcc
	v_cndmask_b32_e64 v23, 0, v21, s[0:1]
	s_waitcnt lgkmcnt(0)
	v_cmp_eq_f32_e32 vcc, v20, v24
	s_ff1_i32_b64 s7, vcc
	s_cmp_lg_u64 vcc, 0
	s_cselect_b32 s7, s7, 0
	v_readlane_b32 s7, v23, s7
	v_cmp_eq_u32_e32 vcc, s7, v21
	s_and_b64 vcc, s[0:1], vcc
	s_and_b32 s12, s7, 63
	v_cndmask_b32_e32 v21, 0, v22, vcc
	v_addc_co_u32_e32 v16, vcc, 0, v16, vcc
	v_readlane_b32 s0, v21, s12
	s_add_i32 s3, s3, -1
	v_mov_b32_e32 v20, s7
	v_mov_b32_e32 v21, s0
	v_cmp_eq_u32_e32 vcc, 0, v19
	s_cmp_eq_u32 s3, 0
	v_add_u32_e32 v19, -1, v19
	v_cndmask_b32_e32 v15, v15, v21, vcc
	v_cndmask_b32_e32 v14, v14, v20, vcc
	s_cbranch_scc0 .LBB60_14
; %bb.15:
	v_cmp_gt_i32_e32 vcc, s2, v0
	s_and_saveexec_b64 s[0:1], vcc
	s_cbranch_execz .LBB60_17
.LBB60_16:
	s_load_dword s2, s[4:5], 0x30
	s_load_dwordx2 s[0:1], s[4:5], 0x20
	s_ashr_i32 s3, s6, 31
	s_waitcnt lgkmcnt(0)
	v_mul_f32_e32 v0, s2, v15
	s_mul_i32 s1, s6, s1
	s_mul_hi_u32 s2, s6, s0
	s_add_i32 s1, s2, s1
	s_mul_i32 s3, s3, s0
	s_add_i32 s1, s1, s3
	s_mul_i32 s0, s6, s0
	s_lshl_b64 s[0:1], s[0:1], 2
	s_add_u32 s2, s8, s0
	s_addc_u32 s3, s9, s1
	s_add_u32 s0, s10, s0
	s_addc_u32 s1, s11, s1
	global_store_dword v13, v0, s[2:3]
	global_store_dword v13, v14, s[0:1]
.LBB60_17:
	s_endpgm
.LBB60_18:
	v_mov_b32_e32 v14, 0
	v_mov_b32_e32 v15, 0
	v_cmp_gt_i32_e32 vcc, s2, v0
	s_and_saveexec_b64 s[0:1], vcc
	s_cbranch_execnz .LBB60_16
	s_branch .LBB60_17
	.section	.rodata,"a",@progbits
	.p2align	6, 0x0
	.amdhsa_kernel _ZN5aiter24topk_softplus_kernel_optIf6__halfLi256ELb0ELi0EEEvPKT_PKT0_PfPimiif
		.amdhsa_group_segment_fixed_size 0
		.amdhsa_private_segment_fixed_size 0
		.amdhsa_kernarg_size 52
		.amdhsa_user_sgpr_count 6
		.amdhsa_user_sgpr_private_segment_buffer 1
		.amdhsa_user_sgpr_dispatch_ptr 0
		.amdhsa_user_sgpr_queue_ptr 0
		.amdhsa_user_sgpr_kernarg_segment_ptr 1
		.amdhsa_user_sgpr_dispatch_id 0
		.amdhsa_user_sgpr_flat_scratch_init 0
		.amdhsa_user_sgpr_kernarg_preload_length 0
		.amdhsa_user_sgpr_kernarg_preload_offset 0
		.amdhsa_user_sgpr_private_segment_size 0
		.amdhsa_uses_dynamic_stack 0
		.amdhsa_system_sgpr_private_segment_wavefront_offset 0
		.amdhsa_system_sgpr_workgroup_id_x 1
		.amdhsa_system_sgpr_workgroup_id_y 0
		.amdhsa_system_sgpr_workgroup_id_z 0
		.amdhsa_system_sgpr_workgroup_info 0
		.amdhsa_system_vgpr_workitem_id 0
		.amdhsa_next_free_vgpr 26
		.amdhsa_next_free_sgpr 15
		.amdhsa_accum_offset 28
		.amdhsa_reserve_vcc 1
		.amdhsa_reserve_flat_scratch 0
		.amdhsa_float_round_mode_32 0
		.amdhsa_float_round_mode_16_64 0
		.amdhsa_float_denorm_mode_32 3
		.amdhsa_float_denorm_mode_16_64 3
		.amdhsa_dx10_clamp 1
		.amdhsa_ieee_mode 1
		.amdhsa_fp16_overflow 0
		.amdhsa_tg_split 0
		.amdhsa_exception_fp_ieee_invalid_op 0
		.amdhsa_exception_fp_denorm_src 0
		.amdhsa_exception_fp_ieee_div_zero 0
		.amdhsa_exception_fp_ieee_overflow 0
		.amdhsa_exception_fp_ieee_underflow 0
		.amdhsa_exception_fp_ieee_inexact 0
		.amdhsa_exception_int_div_zero 0
	.end_amdhsa_kernel
	.section	.text._ZN5aiter24topk_softplus_kernel_optIf6__halfLi256ELb0ELi0EEEvPKT_PKT0_PfPimiif,"axG",@progbits,_ZN5aiter24topk_softplus_kernel_optIf6__halfLi256ELb0ELi0EEEvPKT_PKT0_PfPimiif,comdat
.Lfunc_end60:
	.size	_ZN5aiter24topk_softplus_kernel_optIf6__halfLi256ELb0ELi0EEEvPKT_PKT0_PfPimiif, .Lfunc_end60-_ZN5aiter24topk_softplus_kernel_optIf6__halfLi256ELb0ELi0EEEvPKT_PKT0_PfPimiif
                                        ; -- End function
	.section	.AMDGPU.csdata,"",@progbits
; Kernel info:
; codeLenInByte = 1772
; NumSgprs: 19
; NumVgprs: 26
; NumAgprs: 0
; TotalNumVgprs: 26
; ScratchSize: 0
; MemoryBound: 0
; FloatMode: 240
; IeeeMode: 1
; LDSByteSize: 0 bytes/workgroup (compile time only)
; SGPRBlocks: 2
; VGPRBlocks: 3
; NumSGPRsForWavesPerEU: 19
; NumVGPRsForWavesPerEU: 26
; AccumOffset: 28
; Occupancy: 8
; WaveLimiterHint : 0
; COMPUTE_PGM_RSRC2:SCRATCH_EN: 0
; COMPUTE_PGM_RSRC2:USER_SGPR: 6
; COMPUTE_PGM_RSRC2:TRAP_HANDLER: 0
; COMPUTE_PGM_RSRC2:TGID_X_EN: 1
; COMPUTE_PGM_RSRC2:TGID_Y_EN: 0
; COMPUTE_PGM_RSRC2:TGID_Z_EN: 0
; COMPUTE_PGM_RSRC2:TIDIG_COMP_CNT: 0
; COMPUTE_PGM_RSRC3_GFX90A:ACCUM_OFFSET: 6
; COMPUTE_PGM_RSRC3_GFX90A:TG_SPLIT: 0
	.section	.text._ZN5aiter24topk_softplus_kernel_optIf6__halfLi384ELb1ELi0EEEvPKT_PKT0_PfPimiif,"axG",@progbits,_ZN5aiter24topk_softplus_kernel_optIf6__halfLi384ELb1ELi0EEEvPKT_PKT0_PfPimiif,comdat
	.protected	_ZN5aiter24topk_softplus_kernel_optIf6__halfLi384ELb1ELi0EEEvPKT_PKT0_PfPimiif ; -- Begin function _ZN5aiter24topk_softplus_kernel_optIf6__halfLi384ELb1ELi0EEEvPKT_PKT0_PfPimiif
	.globl	_ZN5aiter24topk_softplus_kernel_optIf6__halfLi384ELb1ELi0EEEvPKT_PKT0_PfPimiif
	.p2align	8
	.type	_ZN5aiter24topk_softplus_kernel_optIf6__halfLi384ELb1ELi0EEEvPKT_PKT0_PfPimiif,@function
_ZN5aiter24topk_softplus_kernel_optIf6__halfLi384ELb1ELi0EEEvPKT_PKT0_PfPimiif: ; @_ZN5aiter24topk_softplus_kernel_optIf6__halfLi384ELb1ELi0EEEvPKT_PKT0_PfPimiif
; %bb.0:
	s_load_dwordx4 s[8:11], s[4:5], 0x0
	s_mul_i32 s0, s6, 0x180
	s_ashr_i32 s1, s0, 31
	s_lshl_b64 s[0:1], s[0:1], 2
	v_lshlrev_b32_e32 v19, 2, v0
	s_waitcnt lgkmcnt(0)
	s_add_u32 s0, s8, s0
	s_addc_u32 s1, s9, s1
	global_load_dword v2, v19, s[0:1]
	s_mov_b32 s12, 0xc2fc0000
	v_mov_b32_e32 v7, 0x42800000
	v_mov_b32_e32 v10, 0x1f800000
	s_mov_b32 s13, 0x800000
	v_mov_b32_e32 v8, 0x4f800000
	v_mov_b32_e32 v9, 0x42000000
	s_mov_b32 s7, 0x41a00000
	s_mov_b32 s14, 0xf800000
	v_mov_b32_e32 v6, 0x260
	s_cmp_lg_u64 s[10:11], 0
	s_cselect_b64 s[8:9], -1, 0
	s_waitcnt vmcnt(0)
	v_mul_f32_e32 v1, 0x3fb8aa3b, v2
	v_cmp_gt_f32_e32 vcc, s12, v1
	v_cndmask_b32_e32 v1, 0, v7, vcc
	v_fmac_f32_e32 v1, 0x3fb8aa3b, v2
	v_exp_f32_e32 v3, v1
	v_cndmask_b32_e32 v4, 1.0, v10, vcc
	v_lshlrev_b32_e32 v1, 1, v0
	v_fma_f32 v3, v3, v4, 1.0
	v_cmp_gt_f32_e32 vcc, s13, v3
	v_cndmask_b32_e32 v4, 1.0, v8, vcc
	v_mul_f32_e32 v3, v3, v4
	v_log_f32_e32 v3, v3
	v_cndmask_b32_e32 v5, 0, v9, vcc
	v_cmp_lt_f32_e32 vcc, s7, v2
	v_mov_b32_e32 v4, s1
	v_sub_f32_e32 v3, v3, v5
	v_mul_f32_e32 v3, 0x3f317218, v3
	v_cndmask_b32_e32 v2, v3, v2, vcc
	v_mul_f32_e32 v3, 0x4f800000, v2
	v_cmp_gt_f32_e32 vcc, s14, v2
	v_cndmask_b32_e32 v5, v2, v3, vcc
	v_sqrt_f32_e32 v11, v5
	v_add_co_u32_e64 v2, s[0:1], s0, v19
	v_addc_co_u32_e64 v3, s[0:1], 0, v4, s[0:1]
	v_add_u32_e32 v4, -1, v11
	v_add_u32_e32 v12, 1, v11
	v_fma_f32 v13, -v4, v11, v5
	v_fma_f32 v14, -v12, v11, v5
	v_cmp_ge_f32_e64 s[2:3], 0, v13
	v_cndmask_b32_e64 v4, v11, v4, s[2:3]
	v_cmp_lt_f32_e64 s[2:3], 0, v14
	v_cndmask_b32_e64 v4, v4, v12, s[2:3]
	v_mul_f32_e32 v11, 0x37800000, v4
	v_cndmask_b32_e32 v4, v4, v11, vcc
	v_cmp_class_f32_e32 vcc, v5, v6
	s_and_b64 s[0:1], exec, s[8:9]
	v_cndmask_b32_e32 v4, v4, v5, vcc
	v_mov_b32_e32 v5, v4
	s_mov_b64 vcc, s[0:1]
	s_cbranch_vccz .LBB61_2
; %bb.1:
	global_load_ushort v5, v1, s[10:11]
	s_waitcnt vmcnt(0)
	v_cvt_f32_f16_e32 v5, v5
	v_add_f32_e32 v5, v4, v5
.LBB61_2:
	global_load_dword v11, v[2:3], off offset:256
	s_waitcnt vmcnt(0)
	v_mul_f32_e32 v12, 0x3fb8aa3b, v11
	v_cmp_gt_f32_e32 vcc, s12, v12
	v_cndmask_b32_e32 v7, 0, v7, vcc
	v_fmac_f32_e32 v7, 0x3fb8aa3b, v11
	v_exp_f32_e32 v7, v7
	v_cndmask_b32_e32 v10, 1.0, v10, vcc
	v_fma_f32 v7, v7, v10, 1.0
	v_cmp_gt_f32_e32 vcc, s13, v7
	v_cndmask_b32_e32 v8, 1.0, v8, vcc
	v_mul_f32_e32 v7, v7, v8
	v_log_f32_e32 v7, v7
	v_cndmask_b32_e32 v8, 0, v9, vcc
	v_cmp_lt_f32_e32 vcc, s7, v11
	v_cndmask_b32_e64 v9, 0, 1, s[8:9]
	v_sub_f32_e32 v7, v7, v8
	v_mul_f32_e32 v7, 0x3f317218, v7
	v_cndmask_b32_e32 v7, v7, v11, vcc
	v_mul_f32_e32 v8, 0x4f800000, v7
	v_cmp_gt_f32_e32 vcc, s14, v7
	v_cndmask_b32_e32 v7, v7, v8, vcc
	v_sqrt_f32_e32 v8, v7
	v_cmp_ne_u32_e64 s[0:1], 1, v9
	v_add_u32_e32 v9, -1, v8
	v_add_u32_e32 v10, 1, v8
	v_fma_f32 v11, -v9, v8, v7
	v_fma_f32 v12, -v10, v8, v7
	v_cmp_ge_f32_e64 s[2:3], 0, v11
	v_cndmask_b32_e64 v8, v8, v9, s[2:3]
	v_cmp_lt_f32_e64 s[2:3], 0, v12
	v_cndmask_b32_e64 v8, v8, v10, s[2:3]
	v_mul_f32_e32 v9, 0x37800000, v8
	v_cndmask_b32_e32 v8, v8, v9, vcc
	v_cmp_class_f32_e32 vcc, v7, v6
	v_cndmask_b32_e32 v6, v8, v7, vcc
	s_andn2_b64 vcc, exec, s[8:9]
	v_mov_b32_e32 v7, v6
	s_cbranch_vccnz .LBB61_4
; %bb.3:
	global_load_ushort v7, v1, s[10:11] offset:128
	s_waitcnt vmcnt(0)
	v_cvt_f32_f16_e32 v7, v7
	v_add_f32_e32 v7, v6, v7
.LBB61_4:
	global_load_dword v8, v[2:3], off offset:512
	s_mov_b32 s9, 0xc2fc0000
	v_mov_b32_e32 v12, 0x42800000
	v_mov_b32_e32 v10, 0x1f800000
	s_mov_b32 s12, 0x800000
	v_mov_b32_e32 v14, 0x4f800000
	s_mov_b32 s8, 0xf800000
	s_waitcnt vmcnt(0)
	v_mul_f32_e32 v9, 0x3fb8aa3b, v8
	v_cmp_gt_f32_e32 vcc, s9, v9
	v_cndmask_b32_e32 v11, 0, v12, vcc
	v_fmac_f32_e32 v11, 0x3fb8aa3b, v8
	v_exp_f32_e32 v11, v11
	v_cndmask_b32_e32 v9, 1.0, v10, vcc
	v_fma_f32 v9, v11, v9, 1.0
	v_cmp_gt_f32_e32 vcc, s12, v9
	v_cndmask_b32_e32 v11, 1.0, v14, vcc
	v_mul_f32_e32 v9, v9, v11
	v_log_f32_e32 v9, v9
	v_mov_b32_e32 v11, 0x42000000
	v_cndmask_b32_e32 v13, 0, v11, vcc
	v_cmp_lt_f32_e32 vcc, s7, v8
	v_sub_f32_e32 v9, v9, v13
	v_mul_f32_e32 v9, 0x3f317218, v9
	v_cndmask_b32_e32 v8, v9, v8, vcc
	v_mul_f32_e32 v9, 0x4f800000, v8
	v_cmp_gt_f32_e32 vcc, s8, v8
	v_cndmask_b32_e32 v8, v8, v9, vcc
	v_sqrt_f32_e32 v9, v8
	v_mov_b32_e32 v13, 0x260
	v_add_u32_e32 v15, -1, v9
	v_add_u32_e32 v16, 1, v9
	v_fma_f32 v17, -v15, v9, v8
	v_fma_f32 v18, -v16, v9, v8
	v_cmp_ge_f32_e64 s[2:3], 0, v17
	v_cndmask_b32_e64 v9, v9, v15, s[2:3]
	v_cmp_lt_f32_e64 s[2:3], 0, v18
	v_cndmask_b32_e64 v9, v9, v16, s[2:3]
	v_mul_f32_e32 v15, 0x37800000, v9
	v_cndmask_b32_e32 v9, v9, v15, vcc
	v_cmp_class_f32_e32 vcc, v8, v13
	v_cndmask_b32_e32 v8, v9, v8, vcc
	s_and_b64 vcc, exec, s[0:1]
	v_mov_b32_e32 v9, v8
	s_cbranch_vccnz .LBB61_6
; %bb.5:
	global_load_ushort v9, v1, s[10:11] offset:256
	s_waitcnt vmcnt(0)
	v_cvt_f32_f16_e32 v9, v9
	v_add_f32_e32 v9, v8, v9
.LBB61_6:
	global_load_dword v15, v[2:3], off offset:768
	s_waitcnt vmcnt(0)
	v_mul_f32_e32 v16, 0x3fb8aa3b, v15
	v_cmp_gt_f32_e32 vcc, s9, v16
	v_cndmask_b32_e32 v12, 0, v12, vcc
	v_fmac_f32_e32 v12, 0x3fb8aa3b, v15
	v_exp_f32_e32 v12, v12
	v_cndmask_b32_e32 v10, 1.0, v10, vcc
	v_fma_f32 v10, v12, v10, 1.0
	v_cmp_gt_f32_e32 vcc, s12, v10
	v_cndmask_b32_e32 v12, 1.0, v14, vcc
	v_mul_f32_e32 v10, v10, v12
	v_log_f32_e32 v10, v10
	v_cndmask_b32_e32 v11, 0, v11, vcc
	v_cmp_lt_f32_e32 vcc, s7, v15
	v_sub_f32_e32 v10, v10, v11
	v_mul_f32_e32 v10, 0x3f317218, v10
	v_cndmask_b32_e32 v10, v10, v15, vcc
	v_mul_f32_e32 v11, 0x4f800000, v10
	v_cmp_gt_f32_e32 vcc, s8, v10
	v_cndmask_b32_e32 v10, v10, v11, vcc
	v_sqrt_f32_e32 v11, v10
	v_add_u32_e32 v12, -1, v11
	v_add_u32_e32 v14, 1, v11
	v_fma_f32 v15, -v12, v11, v10
	v_fma_f32 v16, -v14, v11, v10
	v_cmp_ge_f32_e64 s[2:3], 0, v15
	v_cndmask_b32_e64 v11, v11, v12, s[2:3]
	v_cmp_lt_f32_e64 s[2:3], 0, v16
	v_cndmask_b32_e64 v11, v11, v14, s[2:3]
	v_mul_f32_e32 v12, 0x37800000, v11
	v_cndmask_b32_e32 v11, v11, v12, vcc
	v_cmp_class_f32_e32 vcc, v10, v13
	v_cndmask_b32_e32 v10, v11, v10, vcc
	s_and_b64 vcc, exec, s[0:1]
	v_mov_b32_e32 v11, v10
	s_cbranch_vccnz .LBB61_8
; %bb.7:
	global_load_ushort v11, v1, s[10:11] offset:384
	s_waitcnt vmcnt(0)
	v_cvt_f32_f16_e32 v11, v11
	v_add_f32_e32 v11, v10, v11
.LBB61_8:
	global_load_dword v12, v[2:3], off offset:1024
	v_mov_b32_e32 v16, 0x42800000
	v_mov_b32_e32 v14, 0x1f800000
	;; [unrolled: 1-line block ×3, first 2 shown]
	s_waitcnt vmcnt(0)
	v_mul_f32_e32 v13, 0x3fb8aa3b, v12
	v_cmp_gt_f32_e32 vcc, s9, v13
	v_cndmask_b32_e32 v15, 0, v16, vcc
	v_fmac_f32_e32 v15, 0x3fb8aa3b, v12
	v_exp_f32_e32 v15, v15
	v_cndmask_b32_e32 v13, 1.0, v14, vcc
	v_fma_f32 v13, v15, v13, 1.0
	v_cmp_gt_f32_e32 vcc, s12, v13
	v_cndmask_b32_e32 v15, 1.0, v18, vcc
	v_mul_f32_e32 v13, v13, v15
	v_log_f32_e32 v13, v13
	v_mov_b32_e32 v15, 0x42000000
	v_cndmask_b32_e32 v17, 0, v15, vcc
	v_cmp_lt_f32_e32 vcc, s7, v12
	v_sub_f32_e32 v13, v13, v17
	v_mul_f32_e32 v13, 0x3f317218, v13
	v_cndmask_b32_e32 v12, v13, v12, vcc
	v_mul_f32_e32 v13, 0x4f800000, v12
	v_cmp_gt_f32_e32 vcc, s8, v12
	v_cndmask_b32_e32 v12, v12, v13, vcc
	v_sqrt_f32_e32 v13, v12
	v_mov_b32_e32 v17, 0x260
	v_add_u32_e32 v20, -1, v13
	v_add_u32_e32 v21, 1, v13
	v_fma_f32 v22, -v20, v13, v12
	v_fma_f32 v23, -v21, v13, v12
	v_cmp_ge_f32_e64 s[2:3], 0, v22
	v_cndmask_b32_e64 v13, v13, v20, s[2:3]
	v_cmp_lt_f32_e64 s[2:3], 0, v23
	v_cndmask_b32_e64 v13, v13, v21, s[2:3]
	v_mul_f32_e32 v20, 0x37800000, v13
	v_cndmask_b32_e32 v13, v13, v20, vcc
	v_cmp_class_f32_e32 vcc, v12, v17
	v_cndmask_b32_e32 v12, v13, v12, vcc
	s_and_b64 vcc, exec, s[0:1]
	v_mov_b32_e32 v13, v12
	s_cbranch_vccnz .LBB61_10
; %bb.9:
	global_load_ushort v13, v1, s[10:11] offset:512
	s_waitcnt vmcnt(0)
	v_cvt_f32_f16_e32 v13, v13
	v_add_f32_e32 v13, v12, v13
.LBB61_10:
	global_load_dword v2, v[2:3], off offset:1280
	s_waitcnt vmcnt(0)
	v_mul_f32_e32 v3, 0x3fb8aa3b, v2
	v_cmp_gt_f32_e32 vcc, s9, v3
	v_cndmask_b32_e32 v3, 1.0, v14, vcc
	v_cndmask_b32_e32 v14, 0, v16, vcc
	v_fmac_f32_e32 v14, 0x3fb8aa3b, v2
	v_exp_f32_e32 v14, v14
	v_fma_f32 v3, v14, v3, 1.0
	v_cmp_gt_f32_e32 vcc, s12, v3
	v_cndmask_b32_e32 v14, 1.0, v18, vcc
	v_mul_f32_e32 v3, v3, v14
	v_log_f32_e32 v3, v3
	v_cndmask_b32_e32 v14, 0, v15, vcc
	v_cmp_lt_f32_e32 vcc, s7, v2
	v_sub_f32_e32 v3, v3, v14
	v_mul_f32_e32 v3, 0x3f317218, v3
	v_cndmask_b32_e32 v2, v3, v2, vcc
	v_mul_f32_e32 v3, 0x4f800000, v2
	v_cmp_gt_f32_e32 vcc, s8, v2
	v_cndmask_b32_e32 v2, v2, v3, vcc
	v_sqrt_f32_e32 v3, v2
	v_add_u32_e32 v14, -1, v3
	v_add_u32_e32 v15, 1, v3
	v_fma_f32 v16, -v14, v3, v2
	v_fma_f32 v18, -v15, v3, v2
	v_cmp_ge_f32_e64 s[2:3], 0, v16
	v_cndmask_b32_e64 v3, v3, v14, s[2:3]
	v_cmp_lt_f32_e64 s[2:3], 0, v18
	v_cndmask_b32_e64 v3, v3, v15, s[2:3]
	v_mul_f32_e32 v14, 0x37800000, v3
	v_cndmask_b32_e32 v3, v3, v14, vcc
	v_cmp_class_f32_e32 vcc, v2, v17
	v_cndmask_b32_e32 v2, v3, v2, vcc
	s_and_b64 vcc, exec, s[0:1]
	v_mov_b32_e32 v3, v2
	s_cbranch_vccnz .LBB61_12
; %bb.11:
	global_load_ushort v1, v1, s[10:11] offset:640
	s_waitcnt vmcnt(0)
	v_cvt_f32_f16_e32 v1, v1
	v_add_f32_e32 v3, v2, v1
.LBB61_12:
	v_add_u32_e32 v1, 64, v0
	v_cmp_lt_f32_e32 vcc, v5, v7
	v_add_u32_e32 v14, 0x80, v0
	v_add_u32_e32 v15, 0xc0, v0
	v_cndmask_b32_e32 v18, v6, v4, vcc
	v_cndmask_b32_e32 v4, v4, v6, vcc
	v_cndmask_b32_e32 v6, v1, v0, vcc
	v_cndmask_b32_e32 v1, v0, v1, vcc
	v_cndmask_b32_e32 v20, v7, v5, vcc
	v_cndmask_b32_e32 v5, v5, v7, vcc
	v_cmp_lt_f32_e32 vcc, v9, v11
	v_add_u32_e32 v16, 0x100, v0
	v_add_u32_e32 v17, 0x140, v0
	v_cndmask_b32_e32 v7, v10, v8, vcc
	v_cndmask_b32_e32 v8, v8, v10, vcc
	v_cndmask_b32_e32 v10, v15, v14, vcc
	v_cndmask_b32_e32 v14, v14, v15, vcc
	v_cndmask_b32_e32 v15, v11, v9, vcc
	v_cndmask_b32_e32 v9, v9, v11, vcc
	v_cmp_lt_f32_e32 vcc, v13, v3
	v_cndmask_b32_e32 v11, v2, v12, vcc
	v_cndmask_b32_e32 v2, v12, v2, vcc
	v_cndmask_b32_e32 v12, v17, v16, vcc
	v_cndmask_b32_e32 v16, v16, v17, vcc
	v_cndmask_b32_e32 v17, v3, v13, vcc
	v_cndmask_b32_e32 v3, v13, v3, vcc
	v_cmp_lt_f32_e32 vcc, v5, v9
	;; [unrolled: 7-line block ×7, first 2 shown]
	v_cndmask_b32_e32 v12, v22, v24, vcc
	v_cmp_lt_f32_e64 s[0:1], v27, v13
	v_cndmask_b32_e32 v5, v23, v9, vcc
	v_cndmask_b32_e32 v8, v9, v23, vcc
	;; [unrolled: 1-line block ×3, first 2 shown]
	v_cndmask_b32_e64 v18, v1, v25, s[0:1]
	v_cndmask_b32_e64 v14, v3, v26, s[0:1]
	;; [unrolled: 1-line block ×3, first 2 shown]
	v_cmp_lt_f32_e64 s[2:3], v16, v12
	v_cndmask_b32_e32 v10, v21, v11, vcc
	v_cndmask_b32_e32 v9, v24, v22, vcc
	v_cndmask_b32_e64 v1, v25, v1, s[0:1]
	v_cndmask_b32_e64 v3, v26, v3, s[0:1]
	;; [unrolled: 1-line block ×3, first 2 shown]
	s_and_saveexec_b64 s[0:1], s[2:3]
	s_xor_b64 s[0:1], exec, s[0:1]
; %bb.13:
	v_mov_b32_e32 v13, v20
	v_mov_b32_e32 v21, v15
	;; [unrolled: 1-line block ×3, first 2 shown]
	v_swap_b32 v16, v12
	v_swap_b32 v20, v8
	;; [unrolled: 1-line block ×3, first 2 shown]
; %bb.14:
	s_or_b64 exec, exec, s[0:1]
	s_load_dword s7, s[4:5], 0x28
	s_load_dwordx4 s[16:19], s[4:5], 0x10
	v_mov_b32_e32 v22, 0
	s_waitcnt lgkmcnt(0)
	s_cmp_lt_i32 s7, 1
	s_cbranch_scc1 .LBB61_20
; %bb.15:
	v_cmp_lt_f32_e32 vcc, v17, v16
	v_cndmask_b32_e32 v13, v15, v14, vcc
	v_cndmask_b32_e32 v14, v14, v15, vcc
	;; [unrolled: 1-line block ×6, first 2 shown]
	v_mbcnt_lo_u32_b32 v20, -1, 0
	v_mbcnt_hi_u32_b32 v20, -1, v20
	v_bfrev_b32_e32 v21, 0.5
	v_mov_b32_e32 v22, 0
	v_mov_b32_e32 v23, 0
	;; [unrolled: 1-line block ×3, first 2 shown]
	v_lshl_or_b32 v25, v20, 2, v21
	v_mov_b32_e32 v26, v0
	s_mov_b32 s20, s7
	v_mov_b32_e32 v20, 0
	v_mov_b32_e32 v21, 0
.LBB61_16:                              ; =>This Inner Loop Header: Depth=1
	v_cmp_eq_u32_e32 vcc, 1, v23
	v_cndmask_b32_e32 v27, v6, v11, vcc
	v_cmp_eq_u32_e64 s[0:1], 2, v23
	v_cndmask_b32_e64 v27, v27, v16, s[0:1]
	v_cmp_eq_u32_e64 s[2:3], 3, v23
	v_cndmask_b32_e64 v27, v27, v15, s[2:3]
	;; [unrolled: 2-line block ×4, first 2 shown]
	v_cmp_gt_u32_e64 s[12:13], 6, v23
	v_cndmask_b32_e64 v27, v24, v27, s[12:13]
	;;#ASMSTART
	v_max_f32 v28, v27, v27 quad_perm:[1,0,3,2] row_mask:0xf bank_mask:0xf bound_ctrl:1
	;;#ASMEND
	;;#ASMSTART
	v_max_f32 v29, v28, v28 quad_perm:[2,3,0,1] row_mask:0xf bank_mask:0xf bound_ctrl:1
	;;#ASMEND
	;;#ASMSTART
	v_max_f32 v28, v29, v29 row_half_mirror row_mask:0xf bank_mask:0xf bound_ctrl:1
	;;#ASMEND
	;;#ASMSTART
	v_max_f32 v29, v28, v28 row_mirror row_mask:0xf bank_mask:0xf bound_ctrl:1
	;;#ASMEND
	;;#ASMSTART
	v_max_f32 v28, v29, v29 row_ror:4 row_mask:0xf bank_mask:0xf bound_ctrl:1
	;;#ASMEND
	;;#ASMSTART
	v_max_f32 v29, v28, v28 row_ror:8 row_mask:0xf bank_mask:0xf bound_ctrl:1
	;;#ASMEND
	;;#ASMSTART
	v_max_f32 v28, v29, v29 row_bcast:15 row_mask:0xf bank_mask:0xf bound_ctrl:1
	;;#ASMEND
	;;#ASMSTART
	v_max_f32 v29, v28, v28 row_bcast:31 row_mask:0xf bank_mask:0xf bound_ctrl:1
	;;#ASMEND
	ds_bpermute_b32 v28, v25, v29
	s_waitcnt lgkmcnt(0)
	v_cmp_eq_f32_e64 s[14:15], v27, v28
	v_cndmask_b32_e32 v27, v4, v3, vcc
	v_cndmask_b32_e64 v27, v27, v14, s[0:1]
	v_cndmask_b32_e64 v27, v27, v13, s[2:3]
	;; [unrolled: 1-line block ×4, first 2 shown]
	s_ff1_i32_b64 s21, s[14:15]
	s_cmp_lg_u64 s[14:15], 0
	s_cselect_b32 s14, s21, 0
	v_cndmask_b32_e64 v28, 0, v27, s[12:13]
	v_readlane_b32 s21, v28, s14
	v_cmp_eq_u32_e64 s[14:15], s21, v27
	v_cndmask_b32_e32 v27, v2, v1, vcc
	v_cndmask_b32_e64 v27, v27, v18, s[0:1]
	v_cndmask_b32_e64 v27, v27, v17, s[2:3]
	;; [unrolled: 1-line block ×4, first 2 shown]
	s_and_b64 vcc, s[12:13], s[14:15]
	s_and_b32 s0, s21, 63
	v_cndmask_b32_e32 v27, 0, v27, vcc
	v_readlane_b32 s2, v27, s0
	v_mov_b32_e32 v27, s2
	v_cmp_eq_u32_e64 s[0:1], 0, v26
	v_cndmask_b32_e64 v21, v21, v27, s[0:1]
	v_mov_b32_e32 v27, s21
	s_add_i32 s20, s20, -1
	v_cndmask_b32_e64 v20, v20, v27, s[0:1]
	v_addc_co_u32_e32 v23, vcc, 0, v23, vcc
	s_cmp_eq_u32 s20, 0
	v_add_f32_e32 v22, s2, v22
	v_add_u32_e32 v26, -1, v26
	s_cbranch_scc0 .LBB61_16
; %bb.17:
	v_cmp_gt_i32_e32 vcc, s7, v0
	s_and_saveexec_b64 s[0:1], vcc
	s_cbranch_execz .LBB61_19
.LBB61_18:
	s_load_dword s2, s[4:5], 0x30
	v_max_f32_e32 v0, v22, v22
	v_max_f32_e32 v0, 0x1e3ce508, v0
	s_waitcnt lgkmcnt(0)
	v_div_scale_f32 v1, s[0:1], v0, v0, s2
	v_rcp_f32_e32 v2, v1
	v_div_scale_f32 v3, vcc, s2, v0, s2
	s_load_dwordx2 s[0:1], s[4:5], 0x20
	v_fma_f32 v4, -v1, v2, 1.0
	v_fmac_f32_e32 v2, v4, v2
	v_mul_f32_e32 v4, v3, v2
	v_fma_f32 v5, -v1, v4, v3
	v_fmac_f32_e32 v4, v5, v2
	v_fma_f32 v1, -v1, v4, v3
	v_div_fmas_f32 v1, v1, v2, v4
	v_div_fixup_f32 v0, v1, v0, s2
	s_ashr_i32 s2, s6, 31
	s_waitcnt lgkmcnt(0)
	s_mul_i32 s1, s6, s1
	s_mul_hi_u32 s3, s6, s0
	s_add_i32 s1, s3, s1
	s_mul_i32 s2, s2, s0
	s_add_i32 s1, s1, s2
	s_mul_i32 s0, s6, s0
	s_lshl_b64 s[0:1], s[0:1], 2
	s_add_u32 s2, s16, s0
	s_addc_u32 s3, s17, s1
	s_add_u32 s0, s18, s0
	v_mul_f32_e32 v0, v21, v0
	s_addc_u32 s1, s19, s1
	global_store_dword v19, v0, s[2:3]
	global_store_dword v19, v20, s[0:1]
.LBB61_19:
	s_endpgm
.LBB61_20:
	v_mov_b32_e32 v20, 0
	v_mov_b32_e32 v21, 0
	v_cmp_gt_i32_e32 vcc, s7, v0
	s_and_saveexec_b64 s[0:1], vcc
	s_cbranch_execnz .LBB61_18
	s_branch .LBB61_19
	.section	.rodata,"a",@progbits
	.p2align	6, 0x0
	.amdhsa_kernel _ZN5aiter24topk_softplus_kernel_optIf6__halfLi384ELb1ELi0EEEvPKT_PKT0_PfPimiif
		.amdhsa_group_segment_fixed_size 0
		.amdhsa_private_segment_fixed_size 0
		.amdhsa_kernarg_size 52
		.amdhsa_user_sgpr_count 6
		.amdhsa_user_sgpr_private_segment_buffer 1
		.amdhsa_user_sgpr_dispatch_ptr 0
		.amdhsa_user_sgpr_queue_ptr 0
		.amdhsa_user_sgpr_kernarg_segment_ptr 1
		.amdhsa_user_sgpr_dispatch_id 0
		.amdhsa_user_sgpr_flat_scratch_init 0
		.amdhsa_user_sgpr_kernarg_preload_length 0
		.amdhsa_user_sgpr_kernarg_preload_offset 0
		.amdhsa_user_sgpr_private_segment_size 0
		.amdhsa_uses_dynamic_stack 0
		.amdhsa_system_sgpr_private_segment_wavefront_offset 0
		.amdhsa_system_sgpr_workgroup_id_x 1
		.amdhsa_system_sgpr_workgroup_id_y 0
		.amdhsa_system_sgpr_workgroup_id_z 0
		.amdhsa_system_sgpr_workgroup_info 0
		.amdhsa_system_vgpr_workitem_id 0
		.amdhsa_next_free_vgpr 30
		.amdhsa_next_free_sgpr 22
		.amdhsa_accum_offset 32
		.amdhsa_reserve_vcc 1
		.amdhsa_reserve_flat_scratch 0
		.amdhsa_float_round_mode_32 0
		.amdhsa_float_round_mode_16_64 0
		.amdhsa_float_denorm_mode_32 3
		.amdhsa_float_denorm_mode_16_64 3
		.amdhsa_dx10_clamp 1
		.amdhsa_ieee_mode 1
		.amdhsa_fp16_overflow 0
		.amdhsa_tg_split 0
		.amdhsa_exception_fp_ieee_invalid_op 0
		.amdhsa_exception_fp_denorm_src 0
		.amdhsa_exception_fp_ieee_div_zero 0
		.amdhsa_exception_fp_ieee_overflow 0
		.amdhsa_exception_fp_ieee_underflow 0
		.amdhsa_exception_fp_ieee_inexact 0
		.amdhsa_exception_int_div_zero 0
	.end_amdhsa_kernel
	.section	.text._ZN5aiter24topk_softplus_kernel_optIf6__halfLi384ELb1ELi0EEEvPKT_PKT0_PfPimiif,"axG",@progbits,_ZN5aiter24topk_softplus_kernel_optIf6__halfLi384ELb1ELi0EEEvPKT_PKT0_PfPimiif,comdat
.Lfunc_end61:
	.size	_ZN5aiter24topk_softplus_kernel_optIf6__halfLi384ELb1ELi0EEEvPKT_PKT0_PfPimiif, .Lfunc_end61-_ZN5aiter24topk_softplus_kernel_optIf6__halfLi384ELb1ELi0EEEvPKT_PKT0_PfPimiif
                                        ; -- End function
	.section	.AMDGPU.csdata,"",@progbits
; Kernel info:
; codeLenInByte = 2668
; NumSgprs: 26
; NumVgprs: 30
; NumAgprs: 0
; TotalNumVgprs: 30
; ScratchSize: 0
; MemoryBound: 0
; FloatMode: 240
; IeeeMode: 1
; LDSByteSize: 0 bytes/workgroup (compile time only)
; SGPRBlocks: 3
; VGPRBlocks: 3
; NumSGPRsForWavesPerEU: 26
; NumVGPRsForWavesPerEU: 30
; AccumOffset: 32
; Occupancy: 8
; WaveLimiterHint : 0
; COMPUTE_PGM_RSRC2:SCRATCH_EN: 0
; COMPUTE_PGM_RSRC2:USER_SGPR: 6
; COMPUTE_PGM_RSRC2:TRAP_HANDLER: 0
; COMPUTE_PGM_RSRC2:TGID_X_EN: 1
; COMPUTE_PGM_RSRC2:TGID_Y_EN: 0
; COMPUTE_PGM_RSRC2:TGID_Z_EN: 0
; COMPUTE_PGM_RSRC2:TIDIG_COMP_CNT: 0
; COMPUTE_PGM_RSRC3_GFX90A:ACCUM_OFFSET: 7
; COMPUTE_PGM_RSRC3_GFX90A:TG_SPLIT: 0
	.section	.text._ZN5aiter24topk_softplus_kernel_optIf6__halfLi384ELb0ELi0EEEvPKT_PKT0_PfPimiif,"axG",@progbits,_ZN5aiter24topk_softplus_kernel_optIf6__halfLi384ELb0ELi0EEEvPKT_PKT0_PfPimiif,comdat
	.protected	_ZN5aiter24topk_softplus_kernel_optIf6__halfLi384ELb0ELi0EEEvPKT_PKT0_PfPimiif ; -- Begin function _ZN5aiter24topk_softplus_kernel_optIf6__halfLi384ELb0ELi0EEEvPKT_PKT0_PfPimiif
	.globl	_ZN5aiter24topk_softplus_kernel_optIf6__halfLi384ELb0ELi0EEEvPKT_PKT0_PfPimiif
	.p2align	8
	.type	_ZN5aiter24topk_softplus_kernel_optIf6__halfLi384ELb0ELi0EEEvPKT_PKT0_PfPimiif,@function
_ZN5aiter24topk_softplus_kernel_optIf6__halfLi384ELb0ELi0EEEvPKT_PKT0_PfPimiif: ; @_ZN5aiter24topk_softplus_kernel_optIf6__halfLi384ELb0ELi0EEEvPKT_PKT0_PfPimiif
; %bb.0:
	s_load_dwordx4 s[8:11], s[4:5], 0x0
	s_mul_i32 s0, s6, 0x180
	s_ashr_i32 s1, s0, 31
	s_lshl_b64 s[0:1], s[0:1], 2
	v_lshlrev_b32_e32 v19, 2, v0
	s_waitcnt lgkmcnt(0)
	s_add_u32 s0, s8, s0
	s_addc_u32 s1, s9, s1
	global_load_dword v2, v19, s[0:1]
	s_mov_b32 s12, 0xc2fc0000
	v_mov_b32_e32 v7, 0x42800000
	v_mov_b32_e32 v10, 0x1f800000
	s_mov_b32 s13, 0x800000
	v_mov_b32_e32 v8, 0x4f800000
	v_mov_b32_e32 v9, 0x42000000
	s_mov_b32 s7, 0x41a00000
	s_mov_b32 s14, 0xf800000
	v_mov_b32_e32 v6, 0x260
	s_cmp_lg_u64 s[10:11], 0
	s_cselect_b64 s[8:9], -1, 0
	s_waitcnt vmcnt(0)
	v_mul_f32_e32 v1, 0x3fb8aa3b, v2
	v_cmp_gt_f32_e32 vcc, s12, v1
	v_cndmask_b32_e32 v1, 0, v7, vcc
	v_fmac_f32_e32 v1, 0x3fb8aa3b, v2
	v_exp_f32_e32 v3, v1
	v_cndmask_b32_e32 v4, 1.0, v10, vcc
	v_lshlrev_b32_e32 v1, 1, v0
	v_fma_f32 v3, v3, v4, 1.0
	v_cmp_gt_f32_e32 vcc, s13, v3
	v_cndmask_b32_e32 v4, 1.0, v8, vcc
	v_mul_f32_e32 v3, v3, v4
	v_log_f32_e32 v3, v3
	v_cndmask_b32_e32 v5, 0, v9, vcc
	v_cmp_lt_f32_e32 vcc, s7, v2
	v_mov_b32_e32 v4, s1
	v_sub_f32_e32 v3, v3, v5
	v_mul_f32_e32 v3, 0x3f317218, v3
	v_cndmask_b32_e32 v2, v3, v2, vcc
	v_mul_f32_e32 v3, 0x4f800000, v2
	v_cmp_gt_f32_e32 vcc, s14, v2
	v_cndmask_b32_e32 v5, v2, v3, vcc
	v_sqrt_f32_e32 v11, v5
	v_add_co_u32_e64 v2, s[0:1], s0, v19
	v_addc_co_u32_e64 v3, s[0:1], 0, v4, s[0:1]
	v_add_u32_e32 v4, -1, v11
	v_add_u32_e32 v12, 1, v11
	v_fma_f32 v13, -v4, v11, v5
	v_fma_f32 v14, -v12, v11, v5
	v_cmp_ge_f32_e64 s[2:3], 0, v13
	v_cndmask_b32_e64 v4, v11, v4, s[2:3]
	v_cmp_lt_f32_e64 s[2:3], 0, v14
	v_cndmask_b32_e64 v4, v4, v12, s[2:3]
	v_mul_f32_e32 v11, 0x37800000, v4
	v_cndmask_b32_e32 v4, v4, v11, vcc
	v_cmp_class_f32_e32 vcc, v5, v6
	s_and_b64 s[0:1], exec, s[8:9]
	v_cndmask_b32_e32 v4, v4, v5, vcc
	v_mov_b32_e32 v5, v4
	s_mov_b64 vcc, s[0:1]
	s_cbranch_vccz .LBB62_2
; %bb.1:
	global_load_ushort v5, v1, s[10:11]
	s_waitcnt vmcnt(0)
	v_cvt_f32_f16_e32 v5, v5
	v_add_f32_e32 v5, v4, v5
.LBB62_2:
	global_load_dword v11, v[2:3], off offset:256
	s_waitcnt vmcnt(0)
	v_mul_f32_e32 v12, 0x3fb8aa3b, v11
	v_cmp_gt_f32_e32 vcc, s12, v12
	v_cndmask_b32_e32 v7, 0, v7, vcc
	v_fmac_f32_e32 v7, 0x3fb8aa3b, v11
	v_exp_f32_e32 v7, v7
	v_cndmask_b32_e32 v10, 1.0, v10, vcc
	v_fma_f32 v7, v7, v10, 1.0
	v_cmp_gt_f32_e32 vcc, s13, v7
	v_cndmask_b32_e32 v8, 1.0, v8, vcc
	v_mul_f32_e32 v7, v7, v8
	v_log_f32_e32 v7, v7
	v_cndmask_b32_e32 v8, 0, v9, vcc
	v_cmp_lt_f32_e32 vcc, s7, v11
	v_cndmask_b32_e64 v9, 0, 1, s[8:9]
	v_sub_f32_e32 v7, v7, v8
	v_mul_f32_e32 v7, 0x3f317218, v7
	v_cndmask_b32_e32 v7, v7, v11, vcc
	v_mul_f32_e32 v8, 0x4f800000, v7
	v_cmp_gt_f32_e32 vcc, s14, v7
	v_cndmask_b32_e32 v7, v7, v8, vcc
	v_sqrt_f32_e32 v8, v7
	v_cmp_ne_u32_e64 s[0:1], 1, v9
	v_add_u32_e32 v9, -1, v8
	v_add_u32_e32 v10, 1, v8
	v_fma_f32 v11, -v9, v8, v7
	v_fma_f32 v12, -v10, v8, v7
	v_cmp_ge_f32_e64 s[2:3], 0, v11
	v_cndmask_b32_e64 v8, v8, v9, s[2:3]
	v_cmp_lt_f32_e64 s[2:3], 0, v12
	v_cndmask_b32_e64 v8, v8, v10, s[2:3]
	v_mul_f32_e32 v9, 0x37800000, v8
	v_cndmask_b32_e32 v8, v8, v9, vcc
	v_cmp_class_f32_e32 vcc, v7, v6
	v_cndmask_b32_e32 v6, v8, v7, vcc
	s_andn2_b64 vcc, exec, s[8:9]
	v_mov_b32_e32 v7, v6
	s_cbranch_vccnz .LBB62_4
; %bb.3:
	global_load_ushort v7, v1, s[10:11] offset:128
	s_waitcnt vmcnt(0)
	v_cvt_f32_f16_e32 v7, v7
	v_add_f32_e32 v7, v6, v7
.LBB62_4:
	global_load_dword v8, v[2:3], off offset:512
	s_mov_b32 s9, 0xc2fc0000
	v_mov_b32_e32 v12, 0x42800000
	v_mov_b32_e32 v10, 0x1f800000
	s_mov_b32 s12, 0x800000
	v_mov_b32_e32 v14, 0x4f800000
	s_mov_b32 s8, 0xf800000
	s_waitcnt vmcnt(0)
	v_mul_f32_e32 v9, 0x3fb8aa3b, v8
	v_cmp_gt_f32_e32 vcc, s9, v9
	v_cndmask_b32_e32 v11, 0, v12, vcc
	v_fmac_f32_e32 v11, 0x3fb8aa3b, v8
	v_exp_f32_e32 v11, v11
	v_cndmask_b32_e32 v9, 1.0, v10, vcc
	v_fma_f32 v9, v11, v9, 1.0
	v_cmp_gt_f32_e32 vcc, s12, v9
	v_cndmask_b32_e32 v11, 1.0, v14, vcc
	v_mul_f32_e32 v9, v9, v11
	v_log_f32_e32 v9, v9
	v_mov_b32_e32 v11, 0x42000000
	v_cndmask_b32_e32 v13, 0, v11, vcc
	v_cmp_lt_f32_e32 vcc, s7, v8
	v_sub_f32_e32 v9, v9, v13
	v_mul_f32_e32 v9, 0x3f317218, v9
	v_cndmask_b32_e32 v8, v9, v8, vcc
	v_mul_f32_e32 v9, 0x4f800000, v8
	v_cmp_gt_f32_e32 vcc, s8, v8
	v_cndmask_b32_e32 v8, v8, v9, vcc
	v_sqrt_f32_e32 v9, v8
	v_mov_b32_e32 v13, 0x260
	v_add_u32_e32 v15, -1, v9
	v_add_u32_e32 v16, 1, v9
	v_fma_f32 v17, -v15, v9, v8
	v_fma_f32 v18, -v16, v9, v8
	v_cmp_ge_f32_e64 s[2:3], 0, v17
	v_cndmask_b32_e64 v9, v9, v15, s[2:3]
	v_cmp_lt_f32_e64 s[2:3], 0, v18
	v_cndmask_b32_e64 v9, v9, v16, s[2:3]
	v_mul_f32_e32 v15, 0x37800000, v9
	v_cndmask_b32_e32 v9, v9, v15, vcc
	v_cmp_class_f32_e32 vcc, v8, v13
	v_cndmask_b32_e32 v8, v9, v8, vcc
	s_and_b64 vcc, exec, s[0:1]
	v_mov_b32_e32 v9, v8
	s_cbranch_vccnz .LBB62_6
; %bb.5:
	global_load_ushort v9, v1, s[10:11] offset:256
	s_waitcnt vmcnt(0)
	v_cvt_f32_f16_e32 v9, v9
	v_add_f32_e32 v9, v8, v9
.LBB62_6:
	global_load_dword v15, v[2:3], off offset:768
	s_waitcnt vmcnt(0)
	v_mul_f32_e32 v16, 0x3fb8aa3b, v15
	v_cmp_gt_f32_e32 vcc, s9, v16
	v_cndmask_b32_e32 v12, 0, v12, vcc
	v_fmac_f32_e32 v12, 0x3fb8aa3b, v15
	v_exp_f32_e32 v12, v12
	v_cndmask_b32_e32 v10, 1.0, v10, vcc
	v_fma_f32 v10, v12, v10, 1.0
	v_cmp_gt_f32_e32 vcc, s12, v10
	v_cndmask_b32_e32 v12, 1.0, v14, vcc
	v_mul_f32_e32 v10, v10, v12
	v_log_f32_e32 v10, v10
	v_cndmask_b32_e32 v11, 0, v11, vcc
	v_cmp_lt_f32_e32 vcc, s7, v15
	v_sub_f32_e32 v10, v10, v11
	v_mul_f32_e32 v10, 0x3f317218, v10
	v_cndmask_b32_e32 v10, v10, v15, vcc
	v_mul_f32_e32 v11, 0x4f800000, v10
	v_cmp_gt_f32_e32 vcc, s8, v10
	v_cndmask_b32_e32 v10, v10, v11, vcc
	v_sqrt_f32_e32 v11, v10
	v_add_u32_e32 v12, -1, v11
	v_add_u32_e32 v14, 1, v11
	v_fma_f32 v15, -v12, v11, v10
	v_fma_f32 v16, -v14, v11, v10
	v_cmp_ge_f32_e64 s[2:3], 0, v15
	v_cndmask_b32_e64 v11, v11, v12, s[2:3]
	v_cmp_lt_f32_e64 s[2:3], 0, v16
	v_cndmask_b32_e64 v11, v11, v14, s[2:3]
	v_mul_f32_e32 v12, 0x37800000, v11
	v_cndmask_b32_e32 v11, v11, v12, vcc
	v_cmp_class_f32_e32 vcc, v10, v13
	v_cndmask_b32_e32 v10, v11, v10, vcc
	s_and_b64 vcc, exec, s[0:1]
	v_mov_b32_e32 v11, v10
	s_cbranch_vccnz .LBB62_8
; %bb.7:
	global_load_ushort v11, v1, s[10:11] offset:384
	s_waitcnt vmcnt(0)
	v_cvt_f32_f16_e32 v11, v11
	v_add_f32_e32 v11, v10, v11
.LBB62_8:
	global_load_dword v12, v[2:3], off offset:1024
	v_mov_b32_e32 v16, 0x42800000
	v_mov_b32_e32 v14, 0x1f800000
	;; [unrolled: 1-line block ×3, first 2 shown]
	s_waitcnt vmcnt(0)
	v_mul_f32_e32 v13, 0x3fb8aa3b, v12
	v_cmp_gt_f32_e32 vcc, s9, v13
	v_cndmask_b32_e32 v15, 0, v16, vcc
	v_fmac_f32_e32 v15, 0x3fb8aa3b, v12
	v_exp_f32_e32 v15, v15
	v_cndmask_b32_e32 v13, 1.0, v14, vcc
	v_fma_f32 v13, v15, v13, 1.0
	v_cmp_gt_f32_e32 vcc, s12, v13
	v_cndmask_b32_e32 v15, 1.0, v18, vcc
	v_mul_f32_e32 v13, v13, v15
	v_log_f32_e32 v13, v13
	v_mov_b32_e32 v15, 0x42000000
	v_cndmask_b32_e32 v17, 0, v15, vcc
	v_cmp_lt_f32_e32 vcc, s7, v12
	v_sub_f32_e32 v13, v13, v17
	v_mul_f32_e32 v13, 0x3f317218, v13
	v_cndmask_b32_e32 v12, v13, v12, vcc
	v_mul_f32_e32 v13, 0x4f800000, v12
	v_cmp_gt_f32_e32 vcc, s8, v12
	v_cndmask_b32_e32 v12, v12, v13, vcc
	v_sqrt_f32_e32 v13, v12
	v_mov_b32_e32 v17, 0x260
	v_add_u32_e32 v20, -1, v13
	v_add_u32_e32 v21, 1, v13
	v_fma_f32 v22, -v20, v13, v12
	v_fma_f32 v23, -v21, v13, v12
	v_cmp_ge_f32_e64 s[2:3], 0, v22
	v_cndmask_b32_e64 v13, v13, v20, s[2:3]
	v_cmp_lt_f32_e64 s[2:3], 0, v23
	v_cndmask_b32_e64 v13, v13, v21, s[2:3]
	v_mul_f32_e32 v20, 0x37800000, v13
	v_cndmask_b32_e32 v13, v13, v20, vcc
	v_cmp_class_f32_e32 vcc, v12, v17
	v_cndmask_b32_e32 v12, v13, v12, vcc
	s_and_b64 vcc, exec, s[0:1]
	v_mov_b32_e32 v13, v12
	s_cbranch_vccnz .LBB62_10
; %bb.9:
	global_load_ushort v13, v1, s[10:11] offset:512
	s_waitcnt vmcnt(0)
	v_cvt_f32_f16_e32 v13, v13
	v_add_f32_e32 v13, v12, v13
.LBB62_10:
	global_load_dword v2, v[2:3], off offset:1280
	s_waitcnt vmcnt(0)
	v_mul_f32_e32 v3, 0x3fb8aa3b, v2
	v_cmp_gt_f32_e32 vcc, s9, v3
	v_cndmask_b32_e32 v3, 1.0, v14, vcc
	v_cndmask_b32_e32 v14, 0, v16, vcc
	v_fmac_f32_e32 v14, 0x3fb8aa3b, v2
	v_exp_f32_e32 v14, v14
	v_fma_f32 v3, v14, v3, 1.0
	v_cmp_gt_f32_e32 vcc, s12, v3
	v_cndmask_b32_e32 v14, 1.0, v18, vcc
	v_mul_f32_e32 v3, v3, v14
	v_log_f32_e32 v3, v3
	v_cndmask_b32_e32 v14, 0, v15, vcc
	v_cmp_lt_f32_e32 vcc, s7, v2
	v_sub_f32_e32 v3, v3, v14
	v_mul_f32_e32 v3, 0x3f317218, v3
	v_cndmask_b32_e32 v2, v3, v2, vcc
	v_mul_f32_e32 v3, 0x4f800000, v2
	v_cmp_gt_f32_e32 vcc, s8, v2
	v_cndmask_b32_e32 v2, v2, v3, vcc
	v_sqrt_f32_e32 v3, v2
	v_add_u32_e32 v14, -1, v3
	v_add_u32_e32 v15, 1, v3
	v_fma_f32 v16, -v14, v3, v2
	v_fma_f32 v18, -v15, v3, v2
	v_cmp_ge_f32_e64 s[2:3], 0, v16
	v_cndmask_b32_e64 v3, v3, v14, s[2:3]
	v_cmp_lt_f32_e64 s[2:3], 0, v18
	v_cndmask_b32_e64 v3, v3, v15, s[2:3]
	v_mul_f32_e32 v14, 0x37800000, v3
	v_cndmask_b32_e32 v3, v3, v14, vcc
	v_cmp_class_f32_e32 vcc, v2, v17
	v_cndmask_b32_e32 v2, v3, v2, vcc
	s_and_b64 vcc, exec, s[0:1]
	v_mov_b32_e32 v3, v2
	s_cbranch_vccnz .LBB62_12
; %bb.11:
	global_load_ushort v1, v1, s[10:11] offset:640
	s_waitcnt vmcnt(0)
	v_cvt_f32_f16_e32 v1, v1
	v_add_f32_e32 v3, v2, v1
.LBB62_12:
	v_add_u32_e32 v1, 64, v0
	v_cmp_lt_f32_e32 vcc, v5, v7
	v_add_u32_e32 v14, 0x80, v0
	v_add_u32_e32 v15, 0xc0, v0
	v_cndmask_b32_e32 v18, v6, v4, vcc
	v_cndmask_b32_e32 v4, v4, v6, vcc
	;; [unrolled: 1-line block ×6, first 2 shown]
	v_cmp_lt_f32_e32 vcc, v9, v11
	v_add_u32_e32 v16, 0x100, v0
	v_add_u32_e32 v17, 0x140, v0
	v_cndmask_b32_e32 v7, v10, v8, vcc
	v_cndmask_b32_e32 v8, v8, v10, vcc
	v_cndmask_b32_e32 v10, v15, v14, vcc
	v_cndmask_b32_e32 v14, v14, v15, vcc
	v_cndmask_b32_e32 v15, v11, v9, vcc
	v_cndmask_b32_e32 v9, v9, v11, vcc
	v_cmp_lt_f32_e32 vcc, v13, v3
	v_cndmask_b32_e32 v11, v2, v12, vcc
	v_cndmask_b32_e32 v2, v12, v2, vcc
	v_cndmask_b32_e32 v12, v17, v16, vcc
	v_cndmask_b32_e32 v16, v16, v17, vcc
	v_cndmask_b32_e32 v17, v3, v13, vcc
	v_cndmask_b32_e32 v3, v13, v3, vcc
	v_cmp_lt_f32_e32 vcc, v5, v9
	;; [unrolled: 7-line block ×7, first 2 shown]
	v_cndmask_b32_e32 v12, v22, v24, vcc
	v_cmp_lt_f32_e64 s[0:1], v27, v13
	v_cndmask_b32_e32 v5, v23, v9, vcc
	v_cndmask_b32_e32 v8, v9, v23, vcc
	;; [unrolled: 1-line block ×3, first 2 shown]
	v_cndmask_b32_e64 v18, v1, v25, s[0:1]
	v_cndmask_b32_e64 v14, v3, v26, s[0:1]
	;; [unrolled: 1-line block ×3, first 2 shown]
	v_cmp_lt_f32_e64 s[2:3], v16, v12
	v_cndmask_b32_e32 v10, v21, v11, vcc
	v_cndmask_b32_e32 v9, v24, v22, vcc
	v_cndmask_b32_e64 v1, v25, v1, s[0:1]
	v_cndmask_b32_e64 v3, v26, v3, s[0:1]
	;; [unrolled: 1-line block ×3, first 2 shown]
	s_and_saveexec_b64 s[0:1], s[2:3]
	s_xor_b64 s[0:1], exec, s[0:1]
; %bb.13:
	v_mov_b32_e32 v13, v20
	v_mov_b32_e32 v21, v15
	;; [unrolled: 1-line block ×3, first 2 shown]
	v_swap_b32 v16, v12
	v_swap_b32 v20, v8
	;; [unrolled: 1-line block ×3, first 2 shown]
; %bb.14:
	s_or_b64 exec, exec, s[0:1]
	s_load_dword s7, s[4:5], 0x28
	s_load_dwordx4 s[16:19], s[4:5], 0x10
	s_waitcnt lgkmcnt(0)
	s_cmp_lt_i32 s7, 1
	s_cbranch_scc1 .LBB62_20
; %bb.15:
	v_cmp_lt_f32_e32 vcc, v17, v16
	v_cndmask_b32_e32 v13, v15, v14, vcc
	v_cndmask_b32_e32 v14, v14, v15, vcc
	;; [unrolled: 1-line block ×6, first 2 shown]
	v_mbcnt_lo_u32_b32 v20, -1, 0
	v_mbcnt_hi_u32_b32 v20, -1, v20
	v_bfrev_b32_e32 v24, 0.5
	v_mov_b32_e32 v22, 0
	v_mov_b32_e32 v21, 0
	;; [unrolled: 1-line block ×3, first 2 shown]
	v_lshl_or_b32 v24, v20, 2, v24
	v_mov_b32_e32 v25, v0
	s_mov_b32 s20, s7
	v_mov_b32_e32 v20, 0
.LBB62_16:                              ; =>This Inner Loop Header: Depth=1
	v_cmp_eq_u32_e32 vcc, 1, v22
	v_cndmask_b32_e32 v26, v6, v11, vcc
	v_cmp_eq_u32_e64 s[0:1], 2, v22
	v_cndmask_b32_e64 v26, v26, v16, s[0:1]
	v_cmp_eq_u32_e64 s[2:3], 3, v22
	v_cndmask_b32_e64 v26, v26, v15, s[2:3]
	;; [unrolled: 2-line block ×4, first 2 shown]
	v_cmp_gt_u32_e64 s[12:13], 6, v22
	v_cndmask_b32_e64 v26, v23, v26, s[12:13]
	;;#ASMSTART
	v_max_f32 v27, v26, v26 quad_perm:[1,0,3,2] row_mask:0xf bank_mask:0xf bound_ctrl:1
	;;#ASMEND
	;;#ASMSTART
	v_max_f32 v28, v27, v27 quad_perm:[2,3,0,1] row_mask:0xf bank_mask:0xf bound_ctrl:1
	;;#ASMEND
	;;#ASMSTART
	v_max_f32 v27, v28, v28 row_half_mirror row_mask:0xf bank_mask:0xf bound_ctrl:1
	;;#ASMEND
	;;#ASMSTART
	v_max_f32 v28, v27, v27 row_mirror row_mask:0xf bank_mask:0xf bound_ctrl:1
	;;#ASMEND
	;;#ASMSTART
	v_max_f32 v27, v28, v28 row_ror:4 row_mask:0xf bank_mask:0xf bound_ctrl:1
	;;#ASMEND
	;;#ASMSTART
	v_max_f32 v28, v27, v27 row_ror:8 row_mask:0xf bank_mask:0xf bound_ctrl:1
	;;#ASMEND
	;;#ASMSTART
	v_max_f32 v27, v28, v28 row_bcast:15 row_mask:0xf bank_mask:0xf bound_ctrl:1
	;;#ASMEND
	;;#ASMSTART
	v_max_f32 v28, v27, v27 row_bcast:31 row_mask:0xf bank_mask:0xf bound_ctrl:1
	;;#ASMEND
	ds_bpermute_b32 v27, v24, v28
	s_waitcnt lgkmcnt(0)
	v_cmp_eq_f32_e64 s[14:15], v26, v27
	v_cndmask_b32_e32 v26, v4, v3, vcc
	v_cndmask_b32_e64 v26, v26, v14, s[0:1]
	v_cndmask_b32_e64 v26, v26, v13, s[2:3]
	v_cndmask_b32_e64 v26, v26, v10, s[8:9]
	v_cndmask_b32_e64 v26, v26, v7, s[10:11]
	s_ff1_i32_b64 s21, s[14:15]
	s_cmp_lg_u64 s[14:15], 0
	s_cselect_b32 s14, s21, 0
	v_cndmask_b32_e64 v27, 0, v26, s[12:13]
	v_readlane_b32 s21, v27, s14
	v_cmp_eq_u32_e64 s[14:15], s21, v26
	v_cndmask_b32_e32 v26, v2, v1, vcc
	v_cndmask_b32_e64 v26, v26, v18, s[0:1]
	v_cndmask_b32_e64 v26, v26, v17, s[2:3]
	;; [unrolled: 1-line block ×4, first 2 shown]
	s_and_b64 vcc, s[12:13], s[14:15]
	s_and_b32 s0, s21, 63
	v_cndmask_b32_e32 v26, 0, v26, vcc
	v_readlane_b32 s0, v26, s0
	v_mov_b32_e32 v26, s0
	v_cmp_eq_u32_e64 s[0:1], 0, v25
	v_cndmask_b32_e64 v21, v21, v26, s[0:1]
	v_mov_b32_e32 v26, s21
	s_add_i32 s20, s20, -1
	v_cndmask_b32_e64 v20, v20, v26, s[0:1]
	v_addc_co_u32_e32 v22, vcc, 0, v22, vcc
	s_cmp_eq_u32 s20, 0
	v_add_u32_e32 v25, -1, v25
	s_cbranch_scc0 .LBB62_16
; %bb.17:
	v_cmp_gt_i32_e32 vcc, s7, v0
	s_and_saveexec_b64 s[0:1], vcc
	s_cbranch_execz .LBB62_19
.LBB62_18:
	s_load_dword s2, s[4:5], 0x30
	s_load_dwordx2 s[0:1], s[4:5], 0x20
	s_ashr_i32 s3, s6, 31
	s_waitcnt lgkmcnt(0)
	v_mul_f32_e32 v0, s2, v21
	s_mul_i32 s1, s6, s1
	s_mul_hi_u32 s2, s6, s0
	s_add_i32 s1, s2, s1
	s_mul_i32 s3, s3, s0
	s_add_i32 s1, s1, s3
	s_mul_i32 s0, s6, s0
	s_lshl_b64 s[0:1], s[0:1], 2
	s_add_u32 s2, s16, s0
	s_addc_u32 s3, s17, s1
	s_add_u32 s0, s18, s0
	s_addc_u32 s1, s19, s1
	global_store_dword v19, v0, s[2:3]
	global_store_dword v19, v20, s[0:1]
.LBB62_19:
	s_endpgm
.LBB62_20:
	v_mov_b32_e32 v20, 0
	v_mov_b32_e32 v21, 0
	v_cmp_gt_i32_e32 vcc, s7, v0
	s_and_saveexec_b64 s[0:1], vcc
	s_cbranch_execnz .LBB62_18
	s_branch .LBB62_19
	.section	.rodata,"a",@progbits
	.p2align	6, 0x0
	.amdhsa_kernel _ZN5aiter24topk_softplus_kernel_optIf6__halfLi384ELb0ELi0EEEvPKT_PKT0_PfPimiif
		.amdhsa_group_segment_fixed_size 0
		.amdhsa_private_segment_fixed_size 0
		.amdhsa_kernarg_size 52
		.amdhsa_user_sgpr_count 6
		.amdhsa_user_sgpr_private_segment_buffer 1
		.amdhsa_user_sgpr_dispatch_ptr 0
		.amdhsa_user_sgpr_queue_ptr 0
		.amdhsa_user_sgpr_kernarg_segment_ptr 1
		.amdhsa_user_sgpr_dispatch_id 0
		.amdhsa_user_sgpr_flat_scratch_init 0
		.amdhsa_user_sgpr_kernarg_preload_length 0
		.amdhsa_user_sgpr_kernarg_preload_offset 0
		.amdhsa_user_sgpr_private_segment_size 0
		.amdhsa_uses_dynamic_stack 0
		.amdhsa_system_sgpr_private_segment_wavefront_offset 0
		.amdhsa_system_sgpr_workgroup_id_x 1
		.amdhsa_system_sgpr_workgroup_id_y 0
		.amdhsa_system_sgpr_workgroup_id_z 0
		.amdhsa_system_sgpr_workgroup_info 0
		.amdhsa_system_vgpr_workitem_id 0
		.amdhsa_next_free_vgpr 29
		.amdhsa_next_free_sgpr 22
		.amdhsa_accum_offset 32
		.amdhsa_reserve_vcc 1
		.amdhsa_reserve_flat_scratch 0
		.amdhsa_float_round_mode_32 0
		.amdhsa_float_round_mode_16_64 0
		.amdhsa_float_denorm_mode_32 3
		.amdhsa_float_denorm_mode_16_64 3
		.amdhsa_dx10_clamp 1
		.amdhsa_ieee_mode 1
		.amdhsa_fp16_overflow 0
		.amdhsa_tg_split 0
		.amdhsa_exception_fp_ieee_invalid_op 0
		.amdhsa_exception_fp_denorm_src 0
		.amdhsa_exception_fp_ieee_div_zero 0
		.amdhsa_exception_fp_ieee_overflow 0
		.amdhsa_exception_fp_ieee_underflow 0
		.amdhsa_exception_fp_ieee_inexact 0
		.amdhsa_exception_int_div_zero 0
	.end_amdhsa_kernel
	.section	.text._ZN5aiter24topk_softplus_kernel_optIf6__halfLi384ELb0ELi0EEEvPKT_PKT0_PfPimiif,"axG",@progbits,_ZN5aiter24topk_softplus_kernel_optIf6__halfLi384ELb0ELi0EEEvPKT_PKT0_PfPimiif,comdat
.Lfunc_end62:
	.size	_ZN5aiter24topk_softplus_kernel_optIf6__halfLi384ELb0ELi0EEEvPKT_PKT0_PfPimiif, .Lfunc_end62-_ZN5aiter24topk_softplus_kernel_optIf6__halfLi384ELb0ELi0EEEvPKT_PKT0_PfPimiif
                                        ; -- End function
	.section	.AMDGPU.csdata,"",@progbits
; Kernel info:
; codeLenInByte = 2568
; NumSgprs: 26
; NumVgprs: 29
; NumAgprs: 0
; TotalNumVgprs: 29
; ScratchSize: 0
; MemoryBound: 0
; FloatMode: 240
; IeeeMode: 1
; LDSByteSize: 0 bytes/workgroup (compile time only)
; SGPRBlocks: 3
; VGPRBlocks: 3
; NumSGPRsForWavesPerEU: 26
; NumVGPRsForWavesPerEU: 29
; AccumOffset: 32
; Occupancy: 8
; WaveLimiterHint : 0
; COMPUTE_PGM_RSRC2:SCRATCH_EN: 0
; COMPUTE_PGM_RSRC2:USER_SGPR: 6
; COMPUTE_PGM_RSRC2:TRAP_HANDLER: 0
; COMPUTE_PGM_RSRC2:TGID_X_EN: 1
; COMPUTE_PGM_RSRC2:TGID_Y_EN: 0
; COMPUTE_PGM_RSRC2:TGID_Z_EN: 0
; COMPUTE_PGM_RSRC2:TIDIG_COMP_CNT: 0
; COMPUTE_PGM_RSRC3_GFX90A:ACCUM_OFFSET: 7
; COMPUTE_PGM_RSRC3_GFX90A:TG_SPLIT: 0
	.section	.text._ZN5aiter20topk_softplus_kernelIf6__halfDv4_fLb1ELi0EEEvPKT_PKT0_PfPimiiif,"axG",@progbits,_ZN5aiter20topk_softplus_kernelIf6__halfDv4_fLb1ELi0EEEvPKT_PKT0_PfPimiiif,comdat
	.protected	_ZN5aiter20topk_softplus_kernelIf6__halfDv4_fLb1ELi0EEEvPKT_PKT0_PfPimiiif ; -- Begin function _ZN5aiter20topk_softplus_kernelIf6__halfDv4_fLb1ELi0EEEvPKT_PKT0_PfPimiiif
	.globl	_ZN5aiter20topk_softplus_kernelIf6__halfDv4_fLb1ELi0EEEvPKT_PKT0_PfPimiiif
	.p2align	8
	.type	_ZN5aiter20topk_softplus_kernelIf6__halfDv4_fLb1ELi0EEEvPKT_PKT0_PfPimiiif,@function
_ZN5aiter20topk_softplus_kernelIf6__halfDv4_fLb1ELi0EEEvPKT_PKT0_PfPimiiif: ; @_ZN5aiter20topk_softplus_kernelIf6__halfDv4_fLb1ELi0EEEvPKT_PKT0_PfPimiiif
; %bb.0:
	s_load_dwordx2 s[20:21], s[4:5], 0x28
	s_load_dwordx8 s[12:19], s[4:5], 0x0
	v_lshlrev_b32_e32 v1, 2, v0
	s_waitcnt lgkmcnt(0)
	s_ashr_i32 s0, s20, 31
	s_lshr_b32 s0, s0, 30
	s_add_i32 s0, s20, s0
	s_mul_i32 s22, s6, s20
	s_ashr_i32 s7, s0, 2
	s_ashr_i32 s23, s22, 31
	v_cmp_gt_i32_e64 s[0:1], s7, v0
	s_and_saveexec_b64 s[24:25], s[0:1]
	s_cbranch_execz .LBB63_11
; %bb.1:
	s_load_dword s8, s[4:5], 0x44
	s_cmp_lg_u64 s[14:15], 0
	s_cselect_b64 s[2:3], -1, 0
	v_lshlrev_b32_e32 v2, 4, v0
	v_add_u32_e32 v12, 0, v2
	s_waitcnt lgkmcnt(0)
	s_and_b32 s29, s8, 0xffff
	s_add_u32 s30, s14, 2
	s_addc_u32 s31, s15, 0
	s_add_u32 s33, s14, 4
	s_addc_u32 s34, s15, 0
	;; [unrolled: 2-line block ×3, first 2 shown]
	s_lshl_b64 s[8:9], s[22:23], 2
	s_add_u32 s8, s12, s8
	s_addc_u32 s9, s13, s9
	v_mov_b32_e32 v3, s9
	v_add_co_u32_e32 v6, vcc, s8, v2
	v_cndmask_b32_e64 v2, 0, 1, s[2:3]
	s_mov_b64 s[26:27], 0
	s_mov_b32 s28, 0
	v_addc_co_u32_e32 v7, vcc, 0, v3, vcc
	s_lshl_b32 s37, s29, 4
	v_lshlrev_b32_e32 v8, 2, v0
	s_lshl_b32 s38, s29, 2
	v_mov_b32_e32 v9, 0
	s_mov_b32 s39, 0x41a00000
	s_mov_b32 s40, 0xc2fc0000
	v_mov_b32_e32 v13, 0x1f800000
	v_mov_b32_e32 v14, 0x42800000
	s_mov_b32 s41, 0x800000
	v_mov_b32_e32 v15, 0x4f800000
	v_mov_b32_e32 v16, 0x42000000
	s_mov_b32 s42, 0xf800000
	v_mov_b32_e32 v17, 0x260
	v_cmp_ne_u32_e64 s[2:3], 1, v2
	v_mov_b32_e32 v18, v0
	s_branch .LBB63_3
.LBB63_2:                               ;   in Loop: Header=BB63_3 Depth=1
	ds_write_b128 v12, v[2:5]
	v_mov_b32_e32 v2, s28
	v_add_co_u32_e32 v6, vcc, s37, v6
	v_add_u32_e32 v18, s29, v18
	v_addc_co_u32_e32 v7, vcc, v7, v2, vcc
	v_cmp_le_i32_e32 vcc, s7, v18
	v_add_u32_e32 v8, s38, v8
	s_or_b64 s[26:27], vcc, s[26:27]
	v_add_u32_e32 v12, s37, v12
	s_andn2_b64 exec, exec, s[26:27]
	s_cbranch_execz .LBB63_11
.LBB63_3:                               ; =>This Inner Loop Header: Depth=1
	global_load_dwordx4 v[2:5], v[6:7], off
	s_waitcnt vmcnt(0)
	v_mul_f32_e32 v10, 0x3fb8aa3b, v2
	v_cmp_gt_f32_e32 vcc, s40, v10
	v_cndmask_b32_e32 v11, 0, v14, vcc
	v_fmac_f32_e32 v11, 0x3fb8aa3b, v2
	v_exp_f32_e32 v11, v11
	v_cndmask_b32_e32 v10, 1.0, v13, vcc
	v_fma_f32 v10, v11, v10, 1.0
	v_cmp_gt_f32_e32 vcc, s41, v10
	v_cndmask_b32_e32 v11, 1.0, v15, vcc
	v_mul_f32_e32 v10, v10, v11
	v_log_f32_e32 v10, v10
	v_cndmask_b32_e32 v11, 0, v16, vcc
	v_cmp_lt_f32_e32 vcc, s39, v2
	v_sub_f32_e32 v10, v10, v11
	v_mul_f32_e32 v10, 0x3f317218, v10
	v_cndmask_b32_e32 v2, v10, v2, vcc
	v_mul_f32_e32 v10, 0x4f800000, v2
	v_cmp_gt_f32_e64 s[8:9], s42, v2
	v_cndmask_b32_e64 v2, v2, v10, s[8:9]
	v_sqrt_f32_e32 v10, v2
	s_and_b64 vcc, exec, s[2:3]
	v_add_u32_e32 v11, -1, v10
	v_add_u32_e32 v19, 1, v10
	v_fma_f32 v20, -v11, v10, v2
	v_fma_f32 v21, -v19, v10, v2
	v_cmp_ge_f32_e64 s[10:11], 0, v20
	v_cndmask_b32_e64 v10, v10, v11, s[10:11]
	v_cmp_lt_f32_e64 s[10:11], 0, v21
	v_cndmask_b32_e64 v10, v10, v19, s[10:11]
	v_mul_f32_e32 v11, 0x37800000, v10
	v_cndmask_b32_e64 v10, v10, v11, s[8:9]
	v_cmp_class_f32_e64 s[8:9], v2, v17
	v_cndmask_b32_e64 v2, v10, v2, s[8:9]
	v_lshlrev_b64 v[10:11], 1, v[8:9]
	s_cbranch_vccnz .LBB63_5
; %bb.4:                                ;   in Loop: Header=BB63_3 Depth=1
	v_mov_b32_e32 v19, s15
	v_add_co_u32_e32 v20, vcc, s14, v10
	v_addc_co_u32_e32 v21, vcc, v19, v11, vcc
	global_load_ushort v19, v[20:21], off
	s_waitcnt vmcnt(0)
	v_cvt_f32_f16_e32 v19, v19
	v_add_f32_e32 v2, v2, v19
.LBB63_5:                               ;   in Loop: Header=BB63_3 Depth=1
	v_mul_f32_e32 v19, 0x3fb8aa3b, v3
	v_cmp_gt_f32_e32 vcc, s40, v19
	v_cndmask_b32_e32 v20, 0, v14, vcc
	v_fmac_f32_e32 v20, 0x3fb8aa3b, v3
	v_exp_f32_e32 v20, v20
	v_cndmask_b32_e32 v19, 1.0, v13, vcc
	v_fma_f32 v19, v20, v19, 1.0
	v_cmp_gt_f32_e32 vcc, s41, v19
	v_cndmask_b32_e32 v20, 1.0, v15, vcc
	v_mul_f32_e32 v19, v19, v20
	v_log_f32_e32 v19, v19
	v_cndmask_b32_e32 v20, 0, v16, vcc
	v_cmp_lt_f32_e32 vcc, s39, v3
	v_sub_f32_e32 v19, v19, v20
	v_mul_f32_e32 v19, 0x3f317218, v19
	v_cndmask_b32_e32 v3, v19, v3, vcc
	v_mul_f32_e32 v19, 0x4f800000, v3
	v_cmp_gt_f32_e32 vcc, s42, v3
	v_cndmask_b32_e32 v3, v3, v19, vcc
	v_sqrt_f32_e32 v19, v3
	v_add_u32_e32 v20, -1, v19
	v_add_u32_e32 v21, 1, v19
	v_fma_f32 v22, -v20, v19, v3
	v_fma_f32 v23, -v21, v19, v3
	v_cmp_ge_f32_e64 s[8:9], 0, v22
	v_cndmask_b32_e64 v19, v19, v20, s[8:9]
	v_cmp_lt_f32_e64 s[8:9], 0, v23
	v_cndmask_b32_e64 v19, v19, v21, s[8:9]
	v_mul_f32_e32 v20, 0x37800000, v19
	v_cndmask_b32_e32 v19, v19, v20, vcc
	v_cmp_class_f32_e64 s[8:9], v3, v17
	s_and_b64 vcc, exec, s[2:3]
	v_cndmask_b32_e64 v3, v19, v3, s[8:9]
	s_cbranch_vccnz .LBB63_7
; %bb.6:                                ;   in Loop: Header=BB63_3 Depth=1
	v_mov_b32_e32 v19, s31
	v_add_co_u32_e32 v20, vcc, s30, v10
	v_addc_co_u32_e32 v21, vcc, v19, v11, vcc
	global_load_ushort v19, v[20:21], off
	s_waitcnt vmcnt(0)
	v_cvt_f32_f16_e32 v19, v19
	v_add_f32_e32 v3, v3, v19
.LBB63_7:                               ;   in Loop: Header=BB63_3 Depth=1
	v_mul_f32_e32 v19, 0x3fb8aa3b, v4
	v_cmp_gt_f32_e32 vcc, s40, v19
	v_cndmask_b32_e32 v20, 0, v14, vcc
	v_fmac_f32_e32 v20, 0x3fb8aa3b, v4
	v_exp_f32_e32 v20, v20
	v_cndmask_b32_e32 v19, 1.0, v13, vcc
	v_fma_f32 v19, v20, v19, 1.0
	v_cmp_gt_f32_e32 vcc, s41, v19
	v_cndmask_b32_e32 v20, 1.0, v15, vcc
	v_mul_f32_e32 v19, v19, v20
	v_log_f32_e32 v19, v19
	v_cndmask_b32_e32 v20, 0, v16, vcc
	v_cmp_lt_f32_e32 vcc, s39, v4
	v_sub_f32_e32 v19, v19, v20
	v_mul_f32_e32 v19, 0x3f317218, v19
	v_cndmask_b32_e32 v4, v19, v4, vcc
	v_mul_f32_e32 v19, 0x4f800000, v4
	v_cmp_gt_f32_e32 vcc, s42, v4
	v_cndmask_b32_e32 v4, v4, v19, vcc
	v_sqrt_f32_e32 v19, v4
	v_add_u32_e32 v20, -1, v19
	v_add_u32_e32 v21, 1, v19
	v_fma_f32 v22, -v20, v19, v4
	v_fma_f32 v23, -v21, v19, v4
	v_cmp_ge_f32_e64 s[8:9], 0, v22
	v_cndmask_b32_e64 v19, v19, v20, s[8:9]
	v_cmp_lt_f32_e64 s[8:9], 0, v23
	v_cndmask_b32_e64 v19, v19, v21, s[8:9]
	v_mul_f32_e32 v20, 0x37800000, v19
	v_cndmask_b32_e32 v19, v19, v20, vcc
	v_cmp_class_f32_e64 s[8:9], v4, v17
	s_and_b64 vcc, exec, s[2:3]
	v_cndmask_b32_e64 v4, v19, v4, s[8:9]
	;; [unrolled: 43-line block ×3, first 2 shown]
	s_cbranch_vccnz .LBB63_2
; %bb.10:                               ;   in Loop: Header=BB63_3 Depth=1
	v_mov_b32_e32 v19, s36
	v_add_co_u32_e32 v10, vcc, s35, v10
	v_addc_co_u32_e32 v11, vcc, v19, v11, vcc
	global_load_ushort v10, v[10:11], off
	s_waitcnt vmcnt(0)
	v_cvt_f32_f16_e32 v10, v10
	v_add_f32_e32 v5, v5, v10
	s_branch .LBB63_2
.LBB63_11:
	s_or_b64 exec, exec, s[24:25]
	v_lshl_add_u32 v2, s7, 2, v0
	v_cmp_gt_i32_e32 vcc, s20, v2
	s_and_saveexec_b64 s[10:11], vcc
	s_cbranch_execz .LBB63_16
; %bb.12:
	s_load_dword s8, s[4:5], 0x44
	s_lshl_b64 s[2:3], s[22:23], 2
	s_add_u32 s22, s12, s2
	s_addc_u32 s9, s13, s3
	s_cmp_lg_u64 s[14:15], 0
	s_cselect_b64 s[2:3], -1, 0
	s_waitcnt lgkmcnt(0)
	s_and_b32 s23, s8, 0xffff
	s_lshl_b32 s8, s7, 4
	s_add_i32 s8, s8, 0
	v_cndmask_b32_e64 v3, 0, 1, s[2:3]
	s_mov_b64 s[12:13], 0
	v_lshl_add_u32 v4, v0, 2, s8
	s_lshl_b32 s24, s23, 2
	v_mov_b32_e32 v5, s9
	s_mov_b32 s25, 0x41a00000
	s_mov_b32 s26, 0xc2fc0000
	v_mov_b32_e32 v6, 0x42800000
	v_mov_b32_e32 v7, 0x1f800000
	s_mov_b32 s27, 0x800000
	v_mov_b32_e32 v8, 0x4f800000
	v_mov_b32_e32 v9, 0x42000000
	s_mov_b32 s28, 0xf800000
	v_mov_b32_e32 v10, 0x260
	v_cmp_ne_u32_e64 s[2:3], 1, v3
	s_branch .LBB63_14
.LBB63_13:                              ;   in Loop: Header=BB63_14 Depth=1
	v_add_u32_e32 v2, s23, v2
	v_cmp_le_i32_e32 vcc, s20, v2
	s_or_b64 s[12:13], vcc, s[12:13]
	v_add_u32_e32 v4, s24, v4
	s_andn2_b64 exec, exec, s[12:13]
	s_cbranch_execz .LBB63_16
.LBB63_14:                              ; =>This Inner Loop Header: Depth=1
	v_ashrrev_i32_e32 v3, 31, v2
	v_lshlrev_b64 v[12:13], 2, v[2:3]
	v_add_co_u32_e32 v12, vcc, s22, v12
	v_addc_co_u32_e32 v13, vcc, v5, v13, vcc
	global_load_dword v11, v[12:13], off
	s_waitcnt vmcnt(0)
	v_mul_f32_e32 v12, 0x3fb8aa3b, v11
	v_cmp_gt_f32_e32 vcc, s26, v12
	v_cndmask_b32_e32 v12, 0, v6, vcc
	v_fmac_f32_e32 v12, 0x3fb8aa3b, v11
	v_exp_f32_e32 v12, v12
	v_cndmask_b32_e32 v13, 1.0, v7, vcc
	v_fma_f32 v12, v12, v13, 1.0
	v_cmp_gt_f32_e32 vcc, s27, v12
	v_cndmask_b32_e32 v13, 1.0, v8, vcc
	v_mul_f32_e32 v12, v12, v13
	v_log_f32_e32 v12, v12
	v_cndmask_b32_e32 v13, 0, v9, vcc
	v_cmp_lt_f32_e32 vcc, s25, v11
	v_sub_f32_e32 v12, v12, v13
	v_mul_f32_e32 v12, 0x3f317218, v12
	v_cndmask_b32_e32 v11, v12, v11, vcc
	v_mul_f32_e32 v12, 0x4f800000, v11
	v_cmp_gt_f32_e32 vcc, s28, v11
	v_cndmask_b32_e32 v11, v11, v12, vcc
	v_sqrt_f32_e32 v12, v11
	v_add_u32_e32 v13, -1, v12
	v_add_u32_e32 v14, 1, v12
	v_fma_f32 v15, -v13, v12, v11
	v_fma_f32 v16, -v14, v12, v11
	v_cmp_ge_f32_e64 s[8:9], 0, v15
	v_cndmask_b32_e64 v12, v12, v13, s[8:9]
	v_cmp_lt_f32_e64 s[8:9], 0, v16
	v_cndmask_b32_e64 v12, v12, v14, s[8:9]
	v_mul_f32_e32 v13, 0x37800000, v12
	v_cndmask_b32_e32 v12, v12, v13, vcc
	v_cmp_class_f32_e32 vcc, v11, v10
	v_cndmask_b32_e32 v11, v12, v11, vcc
	s_and_b64 vcc, exec, s[2:3]
	ds_write_b32 v4, v11
	s_cbranch_vccnz .LBB63_13
; %bb.15:                               ;   in Loop: Header=BB63_14 Depth=1
	v_lshlrev_b64 v[12:13], 1, v[2:3]
	v_mov_b32_e32 v3, s15
	v_add_co_u32_e32 v12, vcc, s14, v12
	v_addc_co_u32_e32 v13, vcc, v3, v13, vcc
	global_load_ushort v3, v[12:13], off
	s_waitcnt vmcnt(0)
	v_cvt_f32_f16_e32 v3, v3
	v_add_f32_e32 v3, v11, v3
	ds_write_b32 v4, v3
	s_branch .LBB63_13
.LBB63_16:
	s_or_b64 exec, exec, s[10:11]
	s_cmp_lt_i32 s21, 1
	v_mov_b32_e32 v3, 0
	s_waitcnt lgkmcnt(0)
	s_barrier
	s_cbranch_scc1 .LBB63_25
; %bb.17:
	s_add_u32 s2, s4, 56
	s_addc_u32 s3, s5, 0
	v_mbcnt_lo_u32_b32 v2, -1, 0
	s_cmp_lg_u64 s[14:15], 0
	v_mbcnt_hi_u32_b32 v2, -1, v2
	v_bfrev_b32_e32 v4, 0.5
	s_cselect_b64 s[8:9], -1, 0
	v_lshl_add_u32 v5, v0, 4, 0
	s_mov_b32 s20, 0
	v_mov_b32_e32 v3, 0
	v_lshl_or_b32 v6, v2, 2, v4
	v_mov_b32_e32 v7, 0
	v_mov_b32_e32 v8, 0xff800000
	;; [unrolled: 1-line block ×4, first 2 shown]
	s_branch .LBB63_19
.LBB63_18:                              ;   in Loop: Header=BB63_19 Depth=1
	s_lshl_b32 s11, s10, 2
	s_add_i32 s11, s11, 0
	v_mov_b32_e32 v9, s11
	ds_write_b32 v9, v8
	v_mov_b32_e32 v9, s10
	v_cmp_eq_u32_e32 vcc, s20, v0
	s_add_i32 s20, s20, 1
	v_cndmask_b32_e32 v2, v2, v9, vcc
	v_cndmask_b32_e32 v3, v3, v11, vcc
	s_cmp_eq_u32 s20, s21
	v_add_f32_e32 v4, v4, v11
	s_cbranch_scc1 .LBB63_26
.LBB63_19:                              ; =>This Loop Header: Depth=1
                                        ;     Child Loop BB63_21 Depth 2
	v_mov_b32_e32 v9, s20
	v_mov_b32_e32 v10, 0xff800000
	s_and_saveexec_b64 s[10:11], s[0:1]
	s_cbranch_execz .LBB63_23
; %bb.20:                               ;   in Loop: Header=BB63_19 Depth=1
	s_load_dword s22, s[2:3], 0xc
	s_mov_b64 s[12:13], 0
	v_mov_b32_e32 v9, s20
	v_mov_b32_e32 v10, 0xff800000
	;; [unrolled: 1-line block ×3, first 2 shown]
	s_waitcnt lgkmcnt(0)
	s_and_b32 s22, s22, 0xffff
	s_lshl_b32 s23, s22, 2
	s_lshl_b32 s24, s22, 4
	v_mov_b32_e32 v12, v1
	v_mov_b32_e32 v13, v0
.LBB63_21:                              ;   Parent Loop BB63_19 Depth=1
                                        ; =>  This Inner Loop Header: Depth=2
	ds_read_b128 v[14:17], v11
	v_add_u32_e32 v13, s22, v13
	v_cmp_le_i32_e32 vcc, s7, v13
	s_or_b64 s[12:13], vcc, s[12:13]
	v_add_u32_e32 v18, 1, v12
	s_waitcnt lgkmcnt(0)
	v_cmp_gt_f32_e32 vcc, v14, v10
	v_cndmask_b32_e32 v10, v10, v14, vcc
	v_cndmask_b32_e32 v9, v9, v12, vcc
	v_cmp_gt_f32_e32 vcc, v15, v10
	v_cndmask_b32_e32 v10, v10, v15, vcc
	v_cndmask_b32_e32 v9, v9, v18, vcc
	v_cmp_gt_f32_e32 vcc, v16, v10
	v_add_u32_e32 v19, 2, v12
	v_cndmask_b32_e32 v10, v10, v16, vcc
	v_add_u32_e32 v20, 3, v12
	v_cndmask_b32_e32 v9, v9, v19, vcc
	v_cmp_gt_f32_e32 vcc, v17, v10
	v_add_u32_e32 v11, s24, v11
	v_add_u32_e32 v12, s23, v12
	v_cndmask_b32_e32 v10, v10, v17, vcc
	v_cndmask_b32_e32 v9, v9, v20, vcc
	s_andn2_b64 exec, exec, s[12:13]
	s_cbranch_execnz .LBB63_21
; %bb.22:                               ;   in Loop: Header=BB63_19 Depth=1
	s_or_b64 exec, exec, s[12:13]
.LBB63_23:                              ;   in Loop: Header=BB63_19 Depth=1
	s_or_b64 exec, exec, s[10:11]
	;;#ASMSTART
	v_max_f32 v11, v10, v10 quad_perm:[1,0,3,2] row_mask:0xf bank_mask:0xf bound_ctrl:1
	;;#ASMEND
	;;#ASMSTART
	v_max_f32 v12, v11, v11 quad_perm:[2,3,0,1] row_mask:0xf bank_mask:0xf bound_ctrl:1
	;;#ASMEND
	;;#ASMSTART
	v_max_f32 v11, v12, v12 row_half_mirror row_mask:0xf bank_mask:0xf bound_ctrl:1
	;;#ASMEND
	;;#ASMSTART
	v_max_f32 v12, v11, v11 row_mirror row_mask:0xf bank_mask:0xf bound_ctrl:1
	;;#ASMEND
	;;#ASMSTART
	v_max_f32 v11, v12, v12 row_ror:4 row_mask:0xf bank_mask:0xf bound_ctrl:1
	;;#ASMEND
	;;#ASMSTART
	v_max_f32 v12, v11, v11 row_ror:8 row_mask:0xf bank_mask:0xf bound_ctrl:1
	;;#ASMEND
	;;#ASMSTART
	v_max_f32 v11, v12, v12 row_bcast:15 row_mask:0xf bank_mask:0xf bound_ctrl:1
	;;#ASMEND
	;;#ASMSTART
	v_max_f32 v12, v11, v11 row_bcast:31 row_mask:0xf bank_mask:0xf bound_ctrl:1
	;;#ASMEND
	ds_bpermute_b32 v11, v6, v12
	s_waitcnt lgkmcnt(0)
	v_cmp_eq_f32_e32 vcc, v10, v11
	s_ff1_i32_b64 s10, vcc
	s_cmp_lg_u64 vcc, 0
	s_cselect_b32 s10, s10, 0
	s_and_b64 vcc, exec, s[8:9]
	v_readlane_b32 s10, v9, s10
	s_cbranch_vccz .LBB63_18
; %bb.24:                               ;   in Loop: Header=BB63_19 Depth=1
	s_ashr_i32 s11, s10, 31
	s_lshl_b64 s[12:13], s[10:11], 1
	s_add_u32 s12, s14, s12
	s_addc_u32 s13, s15, s13
	global_load_ushort v9, v7, s[12:13]
	s_waitcnt vmcnt(0)
	v_cvt_f32_f16_e32 v9, v9
	v_sub_f32_e32 v11, v11, v9
	s_branch .LBB63_18
.LBB63_25:
	v_mov_b32_e32 v2, 0
	v_mov_b32_e32 v4, 0
.LBB63_26:
	v_cmp_gt_i32_e32 vcc, s21, v0
	s_and_saveexec_b64 s[0:1], vcc
	s_cbranch_execz .LBB63_29
; %bb.27:
	s_load_dword s2, s[4:5], 0x34
	v_max_f32_e32 v1, v4, v4
	v_max_f32_e32 v1, 0x1e3ce508, v1
	s_load_dword s3, s[4:5], 0x44
	s_waitcnt lgkmcnt(0)
	v_div_scale_f32 v4, s[0:1], v1, v1, s2
	s_load_dwordx2 s[0:1], s[4:5], 0x20
	v_rcp_f32_e32 v5, v4
	v_div_scale_f32 v6, vcc, s2, v1, s2
	s_and_b32 s3, s3, 0xffff
	v_fma_f32 v7, -v4, v5, 1.0
	v_fmac_f32_e32 v5, v7, v5
	v_mul_f32_e32 v7, v6, v5
	v_fma_f32 v8, -v4, v7, v6
	v_fmac_f32_e32 v7, v8, v5
	v_fma_f32 v4, -v4, v7, v6
	v_div_fmas_f32 v4, v4, v5, v7
	v_div_fixup_f32 v1, v4, v1, s2
	s_ashr_i32 s2, s6, 31
	s_waitcnt lgkmcnt(0)
	s_mul_i32 s1, s6, s1
	s_mul_hi_u32 s4, s6, s0
	s_add_i32 s1, s4, s1
	s_mul_i32 s2, s2, s0
	s_add_i32 s4, s1, s2
	v_mul_f32_e32 v1, v3, v1
	s_mul_i32 s2, s6, s0
	s_mov_b64 s[0:1], 0
	v_mov_b32_e32 v3, s4
	v_mov_b32_e32 v4, s17
	;; [unrolled: 1-line block ×3, first 2 shown]
.LBB63_28:                              ; =>This Inner Loop Header: Depth=1
	v_ashrrev_i32_e32 v7, 31, v0
	v_add_co_u32_e32 v6, vcc, s2, v0
	v_addc_co_u32_e32 v7, vcc, v3, v7, vcc
	v_add_u32_e32 v0, s3, v0
	v_cmp_le_i32_e32 vcc, s21, v0
	v_lshlrev_b64 v[6:7], 2, v[6:7]
	s_or_b64 s[0:1], vcc, s[0:1]
	v_add_co_u32_e32 v8, vcc, s16, v6
	v_addc_co_u32_e32 v9, vcc, v4, v7, vcc
	v_add_co_u32_e32 v6, vcc, s18, v6
	v_addc_co_u32_e32 v7, vcc, v5, v7, vcc
	global_store_dword v[8:9], v1, off
	global_store_dword v[6:7], v2, off
	s_andn2_b64 exec, exec, s[0:1]
	s_cbranch_execnz .LBB63_28
.LBB63_29:
	s_endpgm
	.section	.rodata,"a",@progbits
	.p2align	6, 0x0
	.amdhsa_kernel _ZN5aiter20topk_softplus_kernelIf6__halfDv4_fLb1ELi0EEEvPKT_PKT0_PfPimiiif
		.amdhsa_group_segment_fixed_size 0
		.amdhsa_private_segment_fixed_size 0
		.amdhsa_kernarg_size 312
		.amdhsa_user_sgpr_count 6
		.amdhsa_user_sgpr_private_segment_buffer 1
		.amdhsa_user_sgpr_dispatch_ptr 0
		.amdhsa_user_sgpr_queue_ptr 0
		.amdhsa_user_sgpr_kernarg_segment_ptr 1
		.amdhsa_user_sgpr_dispatch_id 0
		.amdhsa_user_sgpr_flat_scratch_init 0
		.amdhsa_user_sgpr_kernarg_preload_length 0
		.amdhsa_user_sgpr_kernarg_preload_offset 0
		.amdhsa_user_sgpr_private_segment_size 0
		.amdhsa_uses_dynamic_stack 0
		.amdhsa_system_sgpr_private_segment_wavefront_offset 0
		.amdhsa_system_sgpr_workgroup_id_x 1
		.amdhsa_system_sgpr_workgroup_id_y 0
		.amdhsa_system_sgpr_workgroup_id_z 0
		.amdhsa_system_sgpr_workgroup_info 0
		.amdhsa_system_vgpr_workitem_id 0
		.amdhsa_next_free_vgpr 24
		.amdhsa_next_free_sgpr 43
		.amdhsa_accum_offset 24
		.amdhsa_reserve_vcc 1
		.amdhsa_reserve_flat_scratch 0
		.amdhsa_float_round_mode_32 0
		.amdhsa_float_round_mode_16_64 0
		.amdhsa_float_denorm_mode_32 3
		.amdhsa_float_denorm_mode_16_64 3
		.amdhsa_dx10_clamp 1
		.amdhsa_ieee_mode 1
		.amdhsa_fp16_overflow 0
		.amdhsa_tg_split 0
		.amdhsa_exception_fp_ieee_invalid_op 0
		.amdhsa_exception_fp_denorm_src 0
		.amdhsa_exception_fp_ieee_div_zero 0
		.amdhsa_exception_fp_ieee_overflow 0
		.amdhsa_exception_fp_ieee_underflow 0
		.amdhsa_exception_fp_ieee_inexact 0
		.amdhsa_exception_int_div_zero 0
	.end_amdhsa_kernel
	.section	.text._ZN5aiter20topk_softplus_kernelIf6__halfDv4_fLb1ELi0EEEvPKT_PKT0_PfPimiiif,"axG",@progbits,_ZN5aiter20topk_softplus_kernelIf6__halfDv4_fLb1ELi0EEEvPKT_PKT0_PfPimiiif,comdat
.Lfunc_end63:
	.size	_ZN5aiter20topk_softplus_kernelIf6__halfDv4_fLb1ELi0EEEvPKT_PKT0_PfPimiiif, .Lfunc_end63-_ZN5aiter20topk_softplus_kernelIf6__halfDv4_fLb1ELi0EEEvPKT_PKT0_PfPimiiif
                                        ; -- End function
	.section	.AMDGPU.csdata,"",@progbits
; Kernel info:
; codeLenInByte = 2492
; NumSgprs: 47
; NumVgprs: 24
; NumAgprs: 0
; TotalNumVgprs: 24
; ScratchSize: 0
; MemoryBound: 0
; FloatMode: 240
; IeeeMode: 1
; LDSByteSize: 0 bytes/workgroup (compile time only)
; SGPRBlocks: 5
; VGPRBlocks: 2
; NumSGPRsForWavesPerEU: 47
; NumVGPRsForWavesPerEU: 24
; AccumOffset: 24
; Occupancy: 8
; WaveLimiterHint : 0
; COMPUTE_PGM_RSRC2:SCRATCH_EN: 0
; COMPUTE_PGM_RSRC2:USER_SGPR: 6
; COMPUTE_PGM_RSRC2:TRAP_HANDLER: 0
; COMPUTE_PGM_RSRC2:TGID_X_EN: 1
; COMPUTE_PGM_RSRC2:TGID_Y_EN: 0
; COMPUTE_PGM_RSRC2:TGID_Z_EN: 0
; COMPUTE_PGM_RSRC2:TIDIG_COMP_CNT: 0
; COMPUTE_PGM_RSRC3_GFX90A:ACCUM_OFFSET: 5
; COMPUTE_PGM_RSRC3_GFX90A:TG_SPLIT: 0
	.section	.text._ZN5aiter20topk_softplus_kernelIf6__halfDv4_fLb0ELi0EEEvPKT_PKT0_PfPimiiif,"axG",@progbits,_ZN5aiter20topk_softplus_kernelIf6__halfDv4_fLb0ELi0EEEvPKT_PKT0_PfPimiiif,comdat
	.protected	_ZN5aiter20topk_softplus_kernelIf6__halfDv4_fLb0ELi0EEEvPKT_PKT0_PfPimiiif ; -- Begin function _ZN5aiter20topk_softplus_kernelIf6__halfDv4_fLb0ELi0EEEvPKT_PKT0_PfPimiiif
	.globl	_ZN5aiter20topk_softplus_kernelIf6__halfDv4_fLb0ELi0EEEvPKT_PKT0_PfPimiiif
	.p2align	8
	.type	_ZN5aiter20topk_softplus_kernelIf6__halfDv4_fLb0ELi0EEEvPKT_PKT0_PfPimiiif,@function
_ZN5aiter20topk_softplus_kernelIf6__halfDv4_fLb0ELi0EEEvPKT_PKT0_PfPimiiif: ; @_ZN5aiter20topk_softplus_kernelIf6__halfDv4_fLb0ELi0EEEvPKT_PKT0_PfPimiiif
; %bb.0:
	s_load_dwordx2 s[20:21], s[4:5], 0x28
	s_load_dwordx8 s[12:19], s[4:5], 0x0
	v_lshlrev_b32_e32 v1, 2, v0
	s_waitcnt lgkmcnt(0)
	s_ashr_i32 s0, s20, 31
	s_lshr_b32 s0, s0, 30
	s_add_i32 s0, s20, s0
	s_mul_i32 s22, s6, s20
	s_ashr_i32 s7, s0, 2
	s_ashr_i32 s23, s22, 31
	v_cmp_gt_i32_e64 s[0:1], s7, v0
	s_and_saveexec_b64 s[24:25], s[0:1]
	s_cbranch_execz .LBB64_11
; %bb.1:
	s_load_dword s8, s[4:5], 0x44
	s_cmp_lg_u64 s[14:15], 0
	s_cselect_b64 s[2:3], -1, 0
	v_lshlrev_b32_e32 v2, 4, v0
	v_add_u32_e32 v12, 0, v2
	s_waitcnt lgkmcnt(0)
	s_and_b32 s29, s8, 0xffff
	s_add_u32 s30, s14, 2
	s_addc_u32 s31, s15, 0
	s_add_u32 s33, s14, 4
	s_addc_u32 s34, s15, 0
	;; [unrolled: 2-line block ×3, first 2 shown]
	s_lshl_b64 s[8:9], s[22:23], 2
	s_add_u32 s8, s12, s8
	s_addc_u32 s9, s13, s9
	v_mov_b32_e32 v3, s9
	v_add_co_u32_e32 v6, vcc, s8, v2
	v_cndmask_b32_e64 v2, 0, 1, s[2:3]
	s_mov_b64 s[26:27], 0
	s_mov_b32 s28, 0
	v_addc_co_u32_e32 v7, vcc, 0, v3, vcc
	s_lshl_b32 s37, s29, 4
	v_lshlrev_b32_e32 v8, 2, v0
	s_lshl_b32 s38, s29, 2
	v_mov_b32_e32 v9, 0
	s_mov_b32 s39, 0x41a00000
	s_mov_b32 s40, 0xc2fc0000
	v_mov_b32_e32 v13, 0x1f800000
	v_mov_b32_e32 v14, 0x42800000
	s_mov_b32 s41, 0x800000
	v_mov_b32_e32 v15, 0x4f800000
	v_mov_b32_e32 v16, 0x42000000
	s_mov_b32 s42, 0xf800000
	v_mov_b32_e32 v17, 0x260
	v_cmp_ne_u32_e64 s[2:3], 1, v2
	v_mov_b32_e32 v18, v0
	s_branch .LBB64_3
.LBB64_2:                               ;   in Loop: Header=BB64_3 Depth=1
	ds_write_b128 v12, v[2:5]
	v_mov_b32_e32 v2, s28
	v_add_co_u32_e32 v6, vcc, s37, v6
	v_add_u32_e32 v18, s29, v18
	v_addc_co_u32_e32 v7, vcc, v7, v2, vcc
	v_cmp_le_i32_e32 vcc, s7, v18
	v_add_u32_e32 v8, s38, v8
	s_or_b64 s[26:27], vcc, s[26:27]
	v_add_u32_e32 v12, s37, v12
	s_andn2_b64 exec, exec, s[26:27]
	s_cbranch_execz .LBB64_11
.LBB64_3:                               ; =>This Inner Loop Header: Depth=1
	global_load_dwordx4 v[2:5], v[6:7], off
	s_waitcnt vmcnt(0)
	v_mul_f32_e32 v10, 0x3fb8aa3b, v2
	v_cmp_gt_f32_e32 vcc, s40, v10
	v_cndmask_b32_e32 v11, 0, v14, vcc
	v_fmac_f32_e32 v11, 0x3fb8aa3b, v2
	v_exp_f32_e32 v11, v11
	v_cndmask_b32_e32 v10, 1.0, v13, vcc
	v_fma_f32 v10, v11, v10, 1.0
	v_cmp_gt_f32_e32 vcc, s41, v10
	v_cndmask_b32_e32 v11, 1.0, v15, vcc
	v_mul_f32_e32 v10, v10, v11
	v_log_f32_e32 v10, v10
	v_cndmask_b32_e32 v11, 0, v16, vcc
	v_cmp_lt_f32_e32 vcc, s39, v2
	v_sub_f32_e32 v10, v10, v11
	v_mul_f32_e32 v10, 0x3f317218, v10
	v_cndmask_b32_e32 v2, v10, v2, vcc
	v_mul_f32_e32 v10, 0x4f800000, v2
	v_cmp_gt_f32_e64 s[8:9], s42, v2
	v_cndmask_b32_e64 v2, v2, v10, s[8:9]
	v_sqrt_f32_e32 v10, v2
	s_and_b64 vcc, exec, s[2:3]
	v_add_u32_e32 v11, -1, v10
	v_add_u32_e32 v19, 1, v10
	v_fma_f32 v20, -v11, v10, v2
	v_fma_f32 v21, -v19, v10, v2
	v_cmp_ge_f32_e64 s[10:11], 0, v20
	v_cndmask_b32_e64 v10, v10, v11, s[10:11]
	v_cmp_lt_f32_e64 s[10:11], 0, v21
	v_cndmask_b32_e64 v10, v10, v19, s[10:11]
	v_mul_f32_e32 v11, 0x37800000, v10
	v_cndmask_b32_e64 v10, v10, v11, s[8:9]
	v_cmp_class_f32_e64 s[8:9], v2, v17
	v_cndmask_b32_e64 v2, v10, v2, s[8:9]
	v_lshlrev_b64 v[10:11], 1, v[8:9]
	s_cbranch_vccnz .LBB64_5
; %bb.4:                                ;   in Loop: Header=BB64_3 Depth=1
	v_mov_b32_e32 v19, s15
	v_add_co_u32_e32 v20, vcc, s14, v10
	v_addc_co_u32_e32 v21, vcc, v19, v11, vcc
	global_load_ushort v19, v[20:21], off
	s_waitcnt vmcnt(0)
	v_cvt_f32_f16_e32 v19, v19
	v_add_f32_e32 v2, v2, v19
.LBB64_5:                               ;   in Loop: Header=BB64_3 Depth=1
	v_mul_f32_e32 v19, 0x3fb8aa3b, v3
	v_cmp_gt_f32_e32 vcc, s40, v19
	v_cndmask_b32_e32 v20, 0, v14, vcc
	v_fmac_f32_e32 v20, 0x3fb8aa3b, v3
	v_exp_f32_e32 v20, v20
	v_cndmask_b32_e32 v19, 1.0, v13, vcc
	v_fma_f32 v19, v20, v19, 1.0
	v_cmp_gt_f32_e32 vcc, s41, v19
	v_cndmask_b32_e32 v20, 1.0, v15, vcc
	v_mul_f32_e32 v19, v19, v20
	v_log_f32_e32 v19, v19
	v_cndmask_b32_e32 v20, 0, v16, vcc
	v_cmp_lt_f32_e32 vcc, s39, v3
	v_sub_f32_e32 v19, v19, v20
	v_mul_f32_e32 v19, 0x3f317218, v19
	v_cndmask_b32_e32 v3, v19, v3, vcc
	v_mul_f32_e32 v19, 0x4f800000, v3
	v_cmp_gt_f32_e32 vcc, s42, v3
	v_cndmask_b32_e32 v3, v3, v19, vcc
	v_sqrt_f32_e32 v19, v3
	v_add_u32_e32 v20, -1, v19
	v_add_u32_e32 v21, 1, v19
	v_fma_f32 v22, -v20, v19, v3
	v_fma_f32 v23, -v21, v19, v3
	v_cmp_ge_f32_e64 s[8:9], 0, v22
	v_cndmask_b32_e64 v19, v19, v20, s[8:9]
	v_cmp_lt_f32_e64 s[8:9], 0, v23
	v_cndmask_b32_e64 v19, v19, v21, s[8:9]
	v_mul_f32_e32 v20, 0x37800000, v19
	v_cndmask_b32_e32 v19, v19, v20, vcc
	v_cmp_class_f32_e64 s[8:9], v3, v17
	s_and_b64 vcc, exec, s[2:3]
	v_cndmask_b32_e64 v3, v19, v3, s[8:9]
	s_cbranch_vccnz .LBB64_7
; %bb.6:                                ;   in Loop: Header=BB64_3 Depth=1
	v_mov_b32_e32 v19, s31
	v_add_co_u32_e32 v20, vcc, s30, v10
	v_addc_co_u32_e32 v21, vcc, v19, v11, vcc
	global_load_ushort v19, v[20:21], off
	s_waitcnt vmcnt(0)
	v_cvt_f32_f16_e32 v19, v19
	v_add_f32_e32 v3, v3, v19
.LBB64_7:                               ;   in Loop: Header=BB64_3 Depth=1
	v_mul_f32_e32 v19, 0x3fb8aa3b, v4
	v_cmp_gt_f32_e32 vcc, s40, v19
	v_cndmask_b32_e32 v20, 0, v14, vcc
	v_fmac_f32_e32 v20, 0x3fb8aa3b, v4
	v_exp_f32_e32 v20, v20
	v_cndmask_b32_e32 v19, 1.0, v13, vcc
	v_fma_f32 v19, v20, v19, 1.0
	v_cmp_gt_f32_e32 vcc, s41, v19
	v_cndmask_b32_e32 v20, 1.0, v15, vcc
	v_mul_f32_e32 v19, v19, v20
	v_log_f32_e32 v19, v19
	v_cndmask_b32_e32 v20, 0, v16, vcc
	v_cmp_lt_f32_e32 vcc, s39, v4
	v_sub_f32_e32 v19, v19, v20
	v_mul_f32_e32 v19, 0x3f317218, v19
	v_cndmask_b32_e32 v4, v19, v4, vcc
	v_mul_f32_e32 v19, 0x4f800000, v4
	v_cmp_gt_f32_e32 vcc, s42, v4
	v_cndmask_b32_e32 v4, v4, v19, vcc
	v_sqrt_f32_e32 v19, v4
	v_add_u32_e32 v20, -1, v19
	v_add_u32_e32 v21, 1, v19
	v_fma_f32 v22, -v20, v19, v4
	v_fma_f32 v23, -v21, v19, v4
	v_cmp_ge_f32_e64 s[8:9], 0, v22
	v_cndmask_b32_e64 v19, v19, v20, s[8:9]
	v_cmp_lt_f32_e64 s[8:9], 0, v23
	v_cndmask_b32_e64 v19, v19, v21, s[8:9]
	v_mul_f32_e32 v20, 0x37800000, v19
	v_cndmask_b32_e32 v19, v19, v20, vcc
	v_cmp_class_f32_e64 s[8:9], v4, v17
	s_and_b64 vcc, exec, s[2:3]
	v_cndmask_b32_e64 v4, v19, v4, s[8:9]
	;; [unrolled: 43-line block ×3, first 2 shown]
	s_cbranch_vccnz .LBB64_2
; %bb.10:                               ;   in Loop: Header=BB64_3 Depth=1
	v_mov_b32_e32 v19, s36
	v_add_co_u32_e32 v10, vcc, s35, v10
	v_addc_co_u32_e32 v11, vcc, v19, v11, vcc
	global_load_ushort v10, v[10:11], off
	s_waitcnt vmcnt(0)
	v_cvt_f32_f16_e32 v10, v10
	v_add_f32_e32 v5, v5, v10
	s_branch .LBB64_2
.LBB64_11:
	s_or_b64 exec, exec, s[24:25]
	v_lshl_add_u32 v2, s7, 2, v0
	v_cmp_gt_i32_e32 vcc, s20, v2
	s_and_saveexec_b64 s[10:11], vcc
	s_cbranch_execz .LBB64_16
; %bb.12:
	s_load_dword s8, s[4:5], 0x44
	s_lshl_b64 s[2:3], s[22:23], 2
	s_add_u32 s22, s12, s2
	s_addc_u32 s9, s13, s3
	s_cmp_lg_u64 s[14:15], 0
	s_cselect_b64 s[2:3], -1, 0
	s_waitcnt lgkmcnt(0)
	s_and_b32 s23, s8, 0xffff
	s_lshl_b32 s8, s7, 4
	s_add_i32 s8, s8, 0
	v_cndmask_b32_e64 v3, 0, 1, s[2:3]
	s_mov_b64 s[12:13], 0
	v_lshl_add_u32 v4, v0, 2, s8
	s_lshl_b32 s24, s23, 2
	v_mov_b32_e32 v5, s9
	s_mov_b32 s25, 0x41a00000
	s_mov_b32 s26, 0xc2fc0000
	v_mov_b32_e32 v6, 0x42800000
	v_mov_b32_e32 v7, 0x1f800000
	s_mov_b32 s27, 0x800000
	v_mov_b32_e32 v8, 0x4f800000
	v_mov_b32_e32 v9, 0x42000000
	s_mov_b32 s28, 0xf800000
	v_mov_b32_e32 v10, 0x260
	v_cmp_ne_u32_e64 s[2:3], 1, v3
	s_branch .LBB64_14
.LBB64_13:                              ;   in Loop: Header=BB64_14 Depth=1
	v_add_u32_e32 v2, s23, v2
	v_cmp_le_i32_e32 vcc, s20, v2
	s_or_b64 s[12:13], vcc, s[12:13]
	v_add_u32_e32 v4, s24, v4
	s_andn2_b64 exec, exec, s[12:13]
	s_cbranch_execz .LBB64_16
.LBB64_14:                              ; =>This Inner Loop Header: Depth=1
	v_ashrrev_i32_e32 v3, 31, v2
	v_lshlrev_b64 v[12:13], 2, v[2:3]
	v_add_co_u32_e32 v12, vcc, s22, v12
	v_addc_co_u32_e32 v13, vcc, v5, v13, vcc
	global_load_dword v11, v[12:13], off
	s_waitcnt vmcnt(0)
	v_mul_f32_e32 v12, 0x3fb8aa3b, v11
	v_cmp_gt_f32_e32 vcc, s26, v12
	v_cndmask_b32_e32 v12, 0, v6, vcc
	v_fmac_f32_e32 v12, 0x3fb8aa3b, v11
	v_exp_f32_e32 v12, v12
	v_cndmask_b32_e32 v13, 1.0, v7, vcc
	v_fma_f32 v12, v12, v13, 1.0
	v_cmp_gt_f32_e32 vcc, s27, v12
	v_cndmask_b32_e32 v13, 1.0, v8, vcc
	v_mul_f32_e32 v12, v12, v13
	v_log_f32_e32 v12, v12
	v_cndmask_b32_e32 v13, 0, v9, vcc
	v_cmp_lt_f32_e32 vcc, s25, v11
	v_sub_f32_e32 v12, v12, v13
	v_mul_f32_e32 v12, 0x3f317218, v12
	v_cndmask_b32_e32 v11, v12, v11, vcc
	v_mul_f32_e32 v12, 0x4f800000, v11
	v_cmp_gt_f32_e32 vcc, s28, v11
	v_cndmask_b32_e32 v11, v11, v12, vcc
	v_sqrt_f32_e32 v12, v11
	v_add_u32_e32 v13, -1, v12
	v_add_u32_e32 v14, 1, v12
	v_fma_f32 v15, -v13, v12, v11
	v_fma_f32 v16, -v14, v12, v11
	v_cmp_ge_f32_e64 s[8:9], 0, v15
	v_cndmask_b32_e64 v12, v12, v13, s[8:9]
	v_cmp_lt_f32_e64 s[8:9], 0, v16
	v_cndmask_b32_e64 v12, v12, v14, s[8:9]
	v_mul_f32_e32 v13, 0x37800000, v12
	v_cndmask_b32_e32 v12, v12, v13, vcc
	v_cmp_class_f32_e32 vcc, v11, v10
	v_cndmask_b32_e32 v11, v12, v11, vcc
	s_and_b64 vcc, exec, s[2:3]
	ds_write_b32 v4, v11
	s_cbranch_vccnz .LBB64_13
; %bb.15:                               ;   in Loop: Header=BB64_14 Depth=1
	v_lshlrev_b64 v[12:13], 1, v[2:3]
	v_mov_b32_e32 v3, s15
	v_add_co_u32_e32 v12, vcc, s14, v12
	v_addc_co_u32_e32 v13, vcc, v3, v13, vcc
	global_load_ushort v3, v[12:13], off
	s_waitcnt vmcnt(0)
	v_cvt_f32_f16_e32 v3, v3
	v_add_f32_e32 v3, v11, v3
	ds_write_b32 v4, v3
	s_branch .LBB64_13
.LBB64_16:
	s_or_b64 exec, exec, s[10:11]
	s_cmp_lt_i32 s21, 1
	s_waitcnt lgkmcnt(0)
	s_barrier
	s_cbranch_scc1 .LBB64_25
; %bb.17:
	s_add_u32 s2, s4, 56
	s_addc_u32 s3, s5, 0
	v_mbcnt_lo_u32_b32 v3, -1, 0
	s_cmp_lg_u64 s[14:15], 0
	v_mbcnt_hi_u32_b32 v3, -1, v3
	v_bfrev_b32_e32 v6, 0.5
	s_cselect_b64 s[8:9], -1, 0
	s_mov_b32 s20, 0
	v_mov_b32_e32 v2, 0
	v_lshl_add_u32 v4, v0, 4, 0
	v_mov_b32_e32 v5, 0
	v_lshl_or_b32 v6, v3, 2, v6
	v_mov_b32_e32 v7, 0xff800000
	v_mov_b32_e32 v3, 0
	s_branch .LBB64_19
.LBB64_18:                              ;   in Loop: Header=BB64_19 Depth=1
	s_lshl_b32 s11, s10, 2
	s_add_i32 s11, s11, 0
	v_mov_b32_e32 v8, s11
	ds_write_b32 v8, v7
	v_mov_b32_e32 v8, s10
	v_cmp_eq_u32_e32 vcc, s20, v0
	s_add_i32 s20, s20, 1
	v_cndmask_b32_e32 v2, v2, v8, vcc
	s_cmp_eq_u32 s20, s21
	v_cndmask_b32_e32 v3, v3, v10, vcc
	s_cbranch_scc1 .LBB64_26
.LBB64_19:                              ; =>This Loop Header: Depth=1
                                        ;     Child Loop BB64_21 Depth 2
	v_mov_b32_e32 v8, s20
	v_mov_b32_e32 v9, 0xff800000
	s_and_saveexec_b64 s[10:11], s[0:1]
	s_cbranch_execz .LBB64_23
; %bb.20:                               ;   in Loop: Header=BB64_19 Depth=1
	s_load_dword s22, s[2:3], 0xc
	s_mov_b64 s[12:13], 0
	v_mov_b32_e32 v8, s20
	v_mov_b32_e32 v9, 0xff800000
	;; [unrolled: 1-line block ×3, first 2 shown]
	s_waitcnt lgkmcnt(0)
	s_and_b32 s22, s22, 0xffff
	s_lshl_b32 s23, s22, 2
	s_lshl_b32 s24, s22, 4
	v_mov_b32_e32 v11, v1
	v_mov_b32_e32 v12, v0
.LBB64_21:                              ;   Parent Loop BB64_19 Depth=1
                                        ; =>  This Inner Loop Header: Depth=2
	ds_read_b128 v[14:17], v10
	v_add_u32_e32 v12, s22, v12
	v_cmp_le_i32_e32 vcc, s7, v12
	s_or_b64 s[12:13], vcc, s[12:13]
	v_add_u32_e32 v13, 1, v11
	s_waitcnt lgkmcnt(0)
	v_cmp_gt_f32_e32 vcc, v14, v9
	v_cndmask_b32_e32 v9, v9, v14, vcc
	v_cndmask_b32_e32 v8, v8, v11, vcc
	v_cmp_gt_f32_e32 vcc, v15, v9
	v_cndmask_b32_e32 v9, v9, v15, vcc
	v_cndmask_b32_e32 v8, v8, v13, vcc
	v_cmp_gt_f32_e32 vcc, v16, v9
	v_add_u32_e32 v18, 2, v11
	v_cndmask_b32_e32 v9, v9, v16, vcc
	v_add_u32_e32 v19, 3, v11
	v_cndmask_b32_e32 v8, v8, v18, vcc
	v_cmp_gt_f32_e32 vcc, v17, v9
	v_add_u32_e32 v10, s24, v10
	v_add_u32_e32 v11, s23, v11
	v_cndmask_b32_e32 v9, v9, v17, vcc
	v_cndmask_b32_e32 v8, v8, v19, vcc
	s_andn2_b64 exec, exec, s[12:13]
	s_cbranch_execnz .LBB64_21
; %bb.22:                               ;   in Loop: Header=BB64_19 Depth=1
	s_or_b64 exec, exec, s[12:13]
.LBB64_23:                              ;   in Loop: Header=BB64_19 Depth=1
	s_or_b64 exec, exec, s[10:11]
	;;#ASMSTART
	v_max_f32 v10, v9, v9 quad_perm:[1,0,3,2] row_mask:0xf bank_mask:0xf bound_ctrl:1
	;;#ASMEND
	;;#ASMSTART
	v_max_f32 v11, v10, v10 quad_perm:[2,3,0,1] row_mask:0xf bank_mask:0xf bound_ctrl:1
	;;#ASMEND
	;;#ASMSTART
	v_max_f32 v10, v11, v11 row_half_mirror row_mask:0xf bank_mask:0xf bound_ctrl:1
	;;#ASMEND
	;;#ASMSTART
	v_max_f32 v11, v10, v10 row_mirror row_mask:0xf bank_mask:0xf bound_ctrl:1
	;;#ASMEND
	;;#ASMSTART
	v_max_f32 v10, v11, v11 row_ror:4 row_mask:0xf bank_mask:0xf bound_ctrl:1
	;;#ASMEND
	;;#ASMSTART
	v_max_f32 v11, v10, v10 row_ror:8 row_mask:0xf bank_mask:0xf bound_ctrl:1
	;;#ASMEND
	;;#ASMSTART
	v_max_f32 v10, v11, v11 row_bcast:15 row_mask:0xf bank_mask:0xf bound_ctrl:1
	;;#ASMEND
	;;#ASMSTART
	v_max_f32 v11, v10, v10 row_bcast:31 row_mask:0xf bank_mask:0xf bound_ctrl:1
	;;#ASMEND
	ds_bpermute_b32 v10, v6, v11
	s_waitcnt lgkmcnt(0)
	v_cmp_eq_f32_e32 vcc, v9, v10
	s_ff1_i32_b64 s10, vcc
	s_cmp_lg_u64 vcc, 0
	s_cselect_b32 s10, s10, 0
	s_and_b64 vcc, exec, s[8:9]
	v_readlane_b32 s10, v8, s10
	s_cbranch_vccz .LBB64_18
; %bb.24:                               ;   in Loop: Header=BB64_19 Depth=1
	s_ashr_i32 s11, s10, 31
	s_lshl_b64 s[12:13], s[10:11], 1
	s_add_u32 s12, s14, s12
	s_addc_u32 s13, s15, s13
	global_load_ushort v8, v5, s[12:13]
	s_waitcnt vmcnt(0)
	v_cvt_f32_f16_e32 v8, v8
	v_sub_f32_e32 v10, v10, v8
	s_branch .LBB64_18
.LBB64_25:
	v_mov_b32_e32 v3, 0
	v_mov_b32_e32 v2, 0
.LBB64_26:
	v_cmp_gt_i32_e32 vcc, s21, v0
	s_and_saveexec_b64 s[0:1], vcc
	s_cbranch_execz .LBB64_29
; %bb.27:
	s_load_dword s2, s[4:5], 0x34
	s_load_dwordx2 s[0:1], s[4:5], 0x20
	s_ashr_i32 s3, s6, 31
	s_load_dword s4, s[4:5], 0x44
	v_mov_b32_e32 v4, s17
	s_waitcnt lgkmcnt(0)
	v_mul_f32_e32 v1, s2, v3
	s_mul_i32 s1, s6, s1
	s_mul_hi_u32 s2, s6, s0
	s_add_i32 s1, s2, s1
	s_mul_i32 s3, s3, s0
	s_add_i32 s5, s1, s3
	s_mul_i32 s2, s6, s0
	s_and_b32 s3, s4, 0xffff
	s_mov_b64 s[0:1], 0
	v_mov_b32_e32 v3, s5
	v_mov_b32_e32 v5, s19
.LBB64_28:                              ; =>This Inner Loop Header: Depth=1
	v_ashrrev_i32_e32 v7, 31, v0
	v_add_co_u32_e32 v6, vcc, s2, v0
	v_addc_co_u32_e32 v7, vcc, v3, v7, vcc
	v_add_u32_e32 v0, s3, v0
	v_cmp_le_i32_e32 vcc, s21, v0
	v_lshlrev_b64 v[6:7], 2, v[6:7]
	s_or_b64 s[0:1], vcc, s[0:1]
	v_add_co_u32_e32 v8, vcc, s16, v6
	v_addc_co_u32_e32 v9, vcc, v4, v7, vcc
	v_add_co_u32_e32 v6, vcc, s18, v6
	v_addc_co_u32_e32 v7, vcc, v5, v7, vcc
	global_store_dword v[8:9], v1, off
	global_store_dword v[6:7], v2, off
	s_andn2_b64 exec, exec, s[0:1]
	s_cbranch_execnz .LBB64_28
.LBB64_29:
	s_endpgm
	.section	.rodata,"a",@progbits
	.p2align	6, 0x0
	.amdhsa_kernel _ZN5aiter20topk_softplus_kernelIf6__halfDv4_fLb0ELi0EEEvPKT_PKT0_PfPimiiif
		.amdhsa_group_segment_fixed_size 0
		.amdhsa_private_segment_fixed_size 0
		.amdhsa_kernarg_size 312
		.amdhsa_user_sgpr_count 6
		.amdhsa_user_sgpr_private_segment_buffer 1
		.amdhsa_user_sgpr_dispatch_ptr 0
		.amdhsa_user_sgpr_queue_ptr 0
		.amdhsa_user_sgpr_kernarg_segment_ptr 1
		.amdhsa_user_sgpr_dispatch_id 0
		.amdhsa_user_sgpr_flat_scratch_init 0
		.amdhsa_user_sgpr_kernarg_preload_length 0
		.amdhsa_user_sgpr_kernarg_preload_offset 0
		.amdhsa_user_sgpr_private_segment_size 0
		.amdhsa_uses_dynamic_stack 0
		.amdhsa_system_sgpr_private_segment_wavefront_offset 0
		.amdhsa_system_sgpr_workgroup_id_x 1
		.amdhsa_system_sgpr_workgroup_id_y 0
		.amdhsa_system_sgpr_workgroup_id_z 0
		.amdhsa_system_sgpr_workgroup_info 0
		.amdhsa_system_vgpr_workitem_id 0
		.amdhsa_next_free_vgpr 24
		.amdhsa_next_free_sgpr 43
		.amdhsa_accum_offset 24
		.amdhsa_reserve_vcc 1
		.amdhsa_reserve_flat_scratch 0
		.amdhsa_float_round_mode_32 0
		.amdhsa_float_round_mode_16_64 0
		.amdhsa_float_denorm_mode_32 3
		.amdhsa_float_denorm_mode_16_64 3
		.amdhsa_dx10_clamp 1
		.amdhsa_ieee_mode 1
		.amdhsa_fp16_overflow 0
		.amdhsa_tg_split 0
		.amdhsa_exception_fp_ieee_invalid_op 0
		.amdhsa_exception_fp_denorm_src 0
		.amdhsa_exception_fp_ieee_div_zero 0
		.amdhsa_exception_fp_ieee_overflow 0
		.amdhsa_exception_fp_ieee_underflow 0
		.amdhsa_exception_fp_ieee_inexact 0
		.amdhsa_exception_int_div_zero 0
	.end_amdhsa_kernel
	.section	.text._ZN5aiter20topk_softplus_kernelIf6__halfDv4_fLb0ELi0EEEvPKT_PKT0_PfPimiiif,"axG",@progbits,_ZN5aiter20topk_softplus_kernelIf6__halfDv4_fLb0ELi0EEEvPKT_PKT0_PfPimiiif,comdat
.Lfunc_end64:
	.size	_ZN5aiter20topk_softplus_kernelIf6__halfDv4_fLb0ELi0EEEvPKT_PKT0_PfPimiiif, .Lfunc_end64-_ZN5aiter20topk_softplus_kernelIf6__halfDv4_fLb0ELi0EEEvPKT_PKT0_PfPimiiif
                                        ; -- End function
	.section	.AMDGPU.csdata,"",@progbits
; Kernel info:
; codeLenInByte = 2392
; NumSgprs: 47
; NumVgprs: 24
; NumAgprs: 0
; TotalNumVgprs: 24
; ScratchSize: 0
; MemoryBound: 0
; FloatMode: 240
; IeeeMode: 1
; LDSByteSize: 0 bytes/workgroup (compile time only)
; SGPRBlocks: 5
; VGPRBlocks: 2
; NumSGPRsForWavesPerEU: 47
; NumVGPRsForWavesPerEU: 24
; AccumOffset: 24
; Occupancy: 8
; WaveLimiterHint : 0
; COMPUTE_PGM_RSRC2:SCRATCH_EN: 0
; COMPUTE_PGM_RSRC2:USER_SGPR: 6
; COMPUTE_PGM_RSRC2:TRAP_HANDLER: 0
; COMPUTE_PGM_RSRC2:TGID_X_EN: 1
; COMPUTE_PGM_RSRC2:TGID_Y_EN: 0
; COMPUTE_PGM_RSRC2:TGID_Z_EN: 0
; COMPUTE_PGM_RSRC2:TIDIG_COMP_CNT: 0
; COMPUTE_PGM_RSRC3_GFX90A:ACCUM_OFFSET: 5
; COMPUTE_PGM_RSRC3_GFX90A:TG_SPLIT: 0
	.section	.text._ZN5aiter20topk_softplus_kernelIf6__halfDv2_fLb1ELi0EEEvPKT_PKT0_PfPimiiif,"axG",@progbits,_ZN5aiter20topk_softplus_kernelIf6__halfDv2_fLb1ELi0EEEvPKT_PKT0_PfPimiiif,comdat
	.protected	_ZN5aiter20topk_softplus_kernelIf6__halfDv2_fLb1ELi0EEEvPKT_PKT0_PfPimiiif ; -- Begin function _ZN5aiter20topk_softplus_kernelIf6__halfDv2_fLb1ELi0EEEvPKT_PKT0_PfPimiiif
	.globl	_ZN5aiter20topk_softplus_kernelIf6__halfDv2_fLb1ELi0EEEvPKT_PKT0_PfPimiiif
	.p2align	8
	.type	_ZN5aiter20topk_softplus_kernelIf6__halfDv2_fLb1ELi0EEEvPKT_PKT0_PfPimiiif,@function
_ZN5aiter20topk_softplus_kernelIf6__halfDv2_fLb1ELi0EEEvPKT_PKT0_PfPimiiif: ; @_ZN5aiter20topk_softplus_kernelIf6__halfDv2_fLb1ELi0EEEvPKT_PKT0_PfPimiiif
; %bb.0:
	s_load_dwordx2 s[20:21], s[4:5], 0x28
	s_load_dwordx8 s[12:19], s[4:5], 0x0
	s_waitcnt lgkmcnt(0)
	s_lshr_b32 s0, s20, 31
	s_add_i32 s0, s20, s0
	s_mul_i32 s22, s6, s20
	s_ashr_i32 s7, s0, 1
	s_ashr_i32 s23, s22, 31
	v_cmp_gt_i32_e64 s[0:1], s7, v0
	s_and_saveexec_b64 s[24:25], s[0:1]
	s_cbranch_execz .LBB65_7
; %bb.1:
	s_load_dword s8, s[4:5], 0x44
	s_cmp_lg_u64 s[14:15], 0
	s_cselect_b64 s[2:3], -1, 0
	v_lshlrev_b32_e32 v1, 3, v0
	v_lshlrev_b32_e32 v4, 2, v0
	s_waitcnt lgkmcnt(0)
	s_and_b32 s28, s8, 0xffff
	s_lshl_b64 s[8:9], s[22:23], 2
	s_add_u32 s8, s12, s8
	s_addc_u32 s9, s13, s9
	v_mov_b32_e32 v3, s9
	v_add_co_u32_e32 v2, vcc, s8, v1
	v_addc_co_u32_e32 v3, vcc, 0, v3, vcc
	v_mov_b32_e32 v5, s15
	v_add_co_u32_e32 v4, vcc, s14, v4
	v_addc_co_u32_e32 v5, vcc, 0, v5, vcc
	s_mov_b32 s10, 0
	v_add_co_u32_e32 v4, vcc, 2, v4
	v_cndmask_b32_e64 v6, 0, 1, s[2:3]
	s_mov_b64 s[26:27], 0
	s_lshl_b32 s29, s28, 3
	v_addc_co_u32_e32 v5, vcc, 0, v5, vcc
	s_lshl_b32 s30, s28, 2
	v_add_u32_e32 v1, 0, v1
	s_mov_b32 s31, 0x41a00000
	s_mov_b32 s33, 0xc2fc0000
	v_mov_b32_e32 v8, 0x1f800000
	v_mov_b32_e32 v9, 0x42800000
	s_mov_b32 s34, 0x800000
	v_mov_b32_e32 v10, 0x4f800000
	v_mov_b32_e32 v11, 0x42000000
	s_mov_b32 s35, 0xf800000
	v_mov_b32_e32 v12, 0x260
	v_cmp_ne_u32_e64 s[2:3], 1, v6
	v_mov_b32_e32 v13, s10
	v_mov_b32_e32 v14, s10
	;; [unrolled: 1-line block ×3, first 2 shown]
	s_branch .LBB65_3
.LBB65_2:                               ;   in Loop: Header=BB65_3 Depth=1
	v_add_co_u32_e32 v2, vcc, s29, v2
	v_addc_co_u32_e32 v3, vcc, v3, v13, vcc
	v_add_co_u32_e32 v4, vcc, s30, v4
	v_add_u32_e32 v15, s28, v15
	v_addc_co_u32_e32 v5, vcc, v5, v14, vcc
	v_cmp_le_i32_e32 vcc, s7, v15
	ds_write_b64 v1, v[6:7]
	s_or_b64 s[26:27], vcc, s[26:27]
	v_add_u32_e32 v1, s29, v1
	s_andn2_b64 exec, exec, s[26:27]
	s_cbranch_execz .LBB65_7
.LBB65_3:                               ; =>This Inner Loop Header: Depth=1
	global_load_dwordx2 v[6:7], v[2:3], off
	s_waitcnt vmcnt(0)
	v_mul_f32_e32 v16, 0x3fb8aa3b, v6
	v_cmp_gt_f32_e32 vcc, s33, v16
	v_cndmask_b32_e32 v17, 0, v9, vcc
	v_fmac_f32_e32 v17, 0x3fb8aa3b, v6
	v_exp_f32_e32 v17, v17
	v_cndmask_b32_e32 v16, 1.0, v8, vcc
	v_fma_f32 v16, v17, v16, 1.0
	v_cmp_gt_f32_e32 vcc, s34, v16
	v_cndmask_b32_e32 v17, 1.0, v10, vcc
	v_mul_f32_e32 v16, v16, v17
	v_log_f32_e32 v16, v16
	v_cndmask_b32_e32 v17, 0, v11, vcc
	v_cmp_lt_f32_e32 vcc, s31, v6
	v_sub_f32_e32 v16, v16, v17
	v_mul_f32_e32 v16, 0x3f317218, v16
	v_cndmask_b32_e32 v6, v16, v6, vcc
	v_mul_f32_e32 v16, 0x4f800000, v6
	v_cmp_gt_f32_e64 s[8:9], s35, v6
	v_cndmask_b32_e64 v6, v6, v16, s[8:9]
	v_sqrt_f32_e32 v16, v6
	s_and_b64 vcc, exec, s[2:3]
	v_add_u32_e32 v17, -1, v16
	v_add_u32_e32 v18, 1, v16
	v_fma_f32 v19, -v17, v16, v6
	v_fma_f32 v20, -v18, v16, v6
	v_cmp_ge_f32_e64 s[10:11], 0, v19
	v_cndmask_b32_e64 v16, v16, v17, s[10:11]
	v_cmp_lt_f32_e64 s[10:11], 0, v20
	v_cndmask_b32_e64 v16, v16, v18, s[10:11]
	v_mul_f32_e32 v17, 0x37800000, v16
	v_cndmask_b32_e64 v16, v16, v17, s[8:9]
	v_cmp_class_f32_e64 s[8:9], v6, v12
	v_cndmask_b32_e64 v6, v16, v6, s[8:9]
	s_cbranch_vccnz .LBB65_5
; %bb.4:                                ;   in Loop: Header=BB65_3 Depth=1
	global_load_ushort v16, v[4:5], off offset:-2
	s_waitcnt vmcnt(0)
	v_cvt_f32_f16_e32 v16, v16
	v_add_f32_e32 v6, v6, v16
.LBB65_5:                               ;   in Loop: Header=BB65_3 Depth=1
	v_mul_f32_e32 v16, 0x3fb8aa3b, v7
	v_cmp_gt_f32_e32 vcc, s33, v16
	v_cndmask_b32_e32 v17, 0, v9, vcc
	v_fmac_f32_e32 v17, 0x3fb8aa3b, v7
	v_exp_f32_e32 v17, v17
	v_cndmask_b32_e32 v16, 1.0, v8, vcc
	v_fma_f32 v16, v17, v16, 1.0
	v_cmp_gt_f32_e32 vcc, s34, v16
	v_cndmask_b32_e32 v17, 1.0, v10, vcc
	v_mul_f32_e32 v16, v16, v17
	v_log_f32_e32 v16, v16
	v_cndmask_b32_e32 v17, 0, v11, vcc
	v_cmp_lt_f32_e32 vcc, s31, v7
	v_sub_f32_e32 v16, v16, v17
	v_mul_f32_e32 v16, 0x3f317218, v16
	v_cndmask_b32_e32 v7, v16, v7, vcc
	v_mul_f32_e32 v16, 0x4f800000, v7
	v_cmp_gt_f32_e32 vcc, s35, v7
	v_cndmask_b32_e32 v7, v7, v16, vcc
	v_sqrt_f32_e32 v16, v7
	v_add_u32_e32 v17, -1, v16
	v_add_u32_e32 v18, 1, v16
	v_fma_f32 v19, -v17, v16, v7
	v_fma_f32 v20, -v18, v16, v7
	v_cmp_ge_f32_e64 s[8:9], 0, v19
	v_cndmask_b32_e64 v16, v16, v17, s[8:9]
	v_cmp_lt_f32_e64 s[8:9], 0, v20
	v_cndmask_b32_e64 v16, v16, v18, s[8:9]
	v_mul_f32_e32 v17, 0x37800000, v16
	v_cndmask_b32_e32 v16, v16, v17, vcc
	v_cmp_class_f32_e64 s[8:9], v7, v12
	s_and_b64 vcc, exec, s[2:3]
	v_cndmask_b32_e64 v7, v16, v7, s[8:9]
	s_cbranch_vccnz .LBB65_2
; %bb.6:                                ;   in Loop: Header=BB65_3 Depth=1
	global_load_ushort v16, v[4:5], off
	s_waitcnt vmcnt(0)
	v_cvt_f32_f16_e32 v16, v16
	v_add_f32_e32 v7, v7, v16
	s_branch .LBB65_2
.LBB65_7:
	s_or_b64 exec, exec, s[24:25]
	v_lshl_add_u32 v2, s7, 1, v0
	v_cmp_gt_i32_e32 vcc, s20, v2
	s_and_saveexec_b64 s[10:11], vcc
	s_cbranch_execz .LBB65_12
; %bb.8:
	s_load_dword s8, s[4:5], 0x44
	s_lshl_b64 s[2:3], s[22:23], 2
	s_add_u32 s22, s12, s2
	s_addc_u32 s9, s13, s3
	s_cmp_lg_u64 s[14:15], 0
	s_cselect_b64 s[2:3], -1, 0
	s_waitcnt lgkmcnt(0)
	s_and_b32 s23, s8, 0xffff
	s_lshl_b32 s8, s7, 3
	s_add_i32 s8, s8, 0
	v_cndmask_b32_e64 v3, 0, 1, s[2:3]
	s_mov_b64 s[12:13], 0
	v_lshl_add_u32 v1, v0, 2, s8
	s_lshl_b32 s24, s23, 2
	v_mov_b32_e32 v4, s9
	s_mov_b32 s25, 0x41a00000
	s_mov_b32 s26, 0xc2fc0000
	v_mov_b32_e32 v5, 0x42800000
	v_mov_b32_e32 v6, 0x1f800000
	s_mov_b32 s27, 0x800000
	v_mov_b32_e32 v7, 0x4f800000
	v_mov_b32_e32 v8, 0x42000000
	s_mov_b32 s28, 0xf800000
	v_mov_b32_e32 v9, 0x260
	v_cmp_ne_u32_e64 s[2:3], 1, v3
	s_branch .LBB65_10
.LBB65_9:                               ;   in Loop: Header=BB65_10 Depth=1
	v_add_u32_e32 v2, s23, v2
	v_cmp_le_i32_e32 vcc, s20, v2
	s_or_b64 s[12:13], vcc, s[12:13]
	v_add_u32_e32 v1, s24, v1
	s_andn2_b64 exec, exec, s[12:13]
	s_cbranch_execz .LBB65_12
.LBB65_10:                              ; =>This Inner Loop Header: Depth=1
	v_ashrrev_i32_e32 v3, 31, v2
	v_lshlrev_b64 v[10:11], 2, v[2:3]
	v_add_co_u32_e32 v10, vcc, s22, v10
	v_addc_co_u32_e32 v11, vcc, v4, v11, vcc
	global_load_dword v10, v[10:11], off
	s_waitcnt vmcnt(0)
	v_mul_f32_e32 v11, 0x3fb8aa3b, v10
	v_cmp_gt_f32_e32 vcc, s26, v11
	v_cndmask_b32_e32 v11, 0, v5, vcc
	v_fmac_f32_e32 v11, 0x3fb8aa3b, v10
	v_exp_f32_e32 v11, v11
	v_cndmask_b32_e32 v12, 1.0, v6, vcc
	v_fma_f32 v11, v11, v12, 1.0
	v_cmp_gt_f32_e32 vcc, s27, v11
	v_cndmask_b32_e32 v12, 1.0, v7, vcc
	v_mul_f32_e32 v11, v11, v12
	v_log_f32_e32 v11, v11
	v_cndmask_b32_e32 v12, 0, v8, vcc
	v_cmp_lt_f32_e32 vcc, s25, v10
	v_sub_f32_e32 v11, v11, v12
	v_mul_f32_e32 v11, 0x3f317218, v11
	v_cndmask_b32_e32 v10, v11, v10, vcc
	v_mul_f32_e32 v11, 0x4f800000, v10
	v_cmp_gt_f32_e32 vcc, s28, v10
	v_cndmask_b32_e32 v10, v10, v11, vcc
	v_sqrt_f32_e32 v11, v10
	v_add_u32_e32 v12, -1, v11
	v_add_u32_e32 v13, 1, v11
	v_fma_f32 v14, -v12, v11, v10
	v_fma_f32 v15, -v13, v11, v10
	v_cmp_ge_f32_e64 s[8:9], 0, v14
	v_cndmask_b32_e64 v11, v11, v12, s[8:9]
	v_cmp_lt_f32_e64 s[8:9], 0, v15
	v_cndmask_b32_e64 v11, v11, v13, s[8:9]
	v_mul_f32_e32 v12, 0x37800000, v11
	v_cndmask_b32_e32 v11, v11, v12, vcc
	v_cmp_class_f32_e32 vcc, v10, v9
	v_cndmask_b32_e32 v10, v11, v10, vcc
	s_and_b64 vcc, exec, s[2:3]
	ds_write_b32 v1, v10
	s_cbranch_vccnz .LBB65_9
; %bb.11:                               ;   in Loop: Header=BB65_10 Depth=1
	v_lshlrev_b64 v[12:13], 1, v[2:3]
	v_mov_b32_e32 v3, s15
	v_add_co_u32_e32 v12, vcc, s14, v12
	v_addc_co_u32_e32 v13, vcc, v3, v13, vcc
	global_load_ushort v3, v[12:13], off
	s_waitcnt vmcnt(0)
	v_cvt_f32_f16_e32 v3, v3
	v_add_f32_e32 v3, v10, v3
	ds_write_b32 v1, v3
	s_branch .LBB65_9
.LBB65_12:
	s_or_b64 exec, exec, s[10:11]
	s_cmp_lt_i32 s21, 1
	v_mov_b32_e32 v2, 0
	s_waitcnt lgkmcnt(0)
	s_barrier
	s_cbranch_scc1 .LBB65_21
; %bb.13:
	s_add_u32 s2, s4, 56
	s_addc_u32 s3, s5, 0
	v_mbcnt_lo_u32_b32 v1, -1, 0
	s_cmp_lg_u64 s[14:15], 0
	v_mbcnt_hi_u32_b32 v1, -1, v1
	v_bfrev_b32_e32 v3, 0.5
	s_cselect_b64 s[8:9], -1, 0
	v_lshlrev_b32_e32 v4, 1, v0
	v_lshl_add_u32 v5, v0, 3, 0
	s_mov_b32 s20, 0
	v_mov_b32_e32 v2, 0
	v_lshl_or_b32 v6, v1, 2, v3
	v_mov_b32_e32 v7, 0
	v_mov_b32_e32 v8, 0xff800000
	;; [unrolled: 1-line block ×4, first 2 shown]
	s_branch .LBB65_15
.LBB65_14:                              ;   in Loop: Header=BB65_15 Depth=1
	s_lshl_b32 s11, s10, 2
	s_add_i32 s11, s11, 0
	v_mov_b32_e32 v9, s11
	ds_write_b32 v9, v8
	v_mov_b32_e32 v9, s10
	v_cmp_eq_u32_e32 vcc, s20, v0
	s_add_i32 s20, s20, 1
	v_cndmask_b32_e32 v1, v1, v9, vcc
	v_cndmask_b32_e32 v2, v2, v11, vcc
	s_cmp_eq_u32 s20, s21
	v_add_f32_e32 v3, v3, v11
	s_cbranch_scc1 .LBB65_22
.LBB65_15:                              ; =>This Loop Header: Depth=1
                                        ;     Child Loop BB65_17 Depth 2
	v_mov_b32_e32 v9, s20
	v_mov_b32_e32 v10, 0xff800000
	s_and_saveexec_b64 s[10:11], s[0:1]
	s_cbranch_execz .LBB65_19
; %bb.16:                               ;   in Loop: Header=BB65_15 Depth=1
	s_load_dword s22, s[2:3], 0xc
	s_mov_b64 s[12:13], 0
	v_mov_b32_e32 v9, s20
	v_mov_b32_e32 v10, 0xff800000
	;; [unrolled: 1-line block ×3, first 2 shown]
	s_waitcnt lgkmcnt(0)
	s_and_b32 s22, s22, 0xffff
	s_lshl_b32 s23, s22, 1
	s_lshl_b32 s24, s22, 3
	v_mov_b32_e32 v12, v4
	v_mov_b32_e32 v13, v0
.LBB65_17:                              ;   Parent Loop BB65_15 Depth=1
                                        ; =>  This Inner Loop Header: Depth=2
	ds_read_b64 v[14:15], v11
	v_add_u32_e32 v13, s22, v13
	v_cmp_le_i32_e32 vcc, s7, v13
	s_or_b64 s[12:13], vcc, s[12:13]
	v_add_u32_e32 v16, 1, v12
	s_waitcnt lgkmcnt(0)
	v_cmp_gt_f32_e32 vcc, v14, v10
	v_cndmask_b32_e32 v10, v10, v14, vcc
	v_cndmask_b32_e32 v9, v9, v12, vcc
	v_cmp_gt_f32_e32 vcc, v15, v10
	v_add_u32_e32 v11, s24, v11
	v_cndmask_b32_e32 v10, v10, v15, vcc
	v_add_u32_e32 v12, s23, v12
	v_cndmask_b32_e32 v9, v9, v16, vcc
	s_andn2_b64 exec, exec, s[12:13]
	s_cbranch_execnz .LBB65_17
; %bb.18:                               ;   in Loop: Header=BB65_15 Depth=1
	s_or_b64 exec, exec, s[12:13]
.LBB65_19:                              ;   in Loop: Header=BB65_15 Depth=1
	s_or_b64 exec, exec, s[10:11]
	;;#ASMSTART
	v_max_f32 v11, v10, v10 quad_perm:[1,0,3,2] row_mask:0xf bank_mask:0xf bound_ctrl:1
	;;#ASMEND
	;;#ASMSTART
	v_max_f32 v12, v11, v11 quad_perm:[2,3,0,1] row_mask:0xf bank_mask:0xf bound_ctrl:1
	;;#ASMEND
	;;#ASMSTART
	v_max_f32 v11, v12, v12 row_half_mirror row_mask:0xf bank_mask:0xf bound_ctrl:1
	;;#ASMEND
	;;#ASMSTART
	v_max_f32 v12, v11, v11 row_mirror row_mask:0xf bank_mask:0xf bound_ctrl:1
	;;#ASMEND
	;;#ASMSTART
	v_max_f32 v11, v12, v12 row_ror:4 row_mask:0xf bank_mask:0xf bound_ctrl:1
	;;#ASMEND
	;;#ASMSTART
	v_max_f32 v12, v11, v11 row_ror:8 row_mask:0xf bank_mask:0xf bound_ctrl:1
	;;#ASMEND
	;;#ASMSTART
	v_max_f32 v11, v12, v12 row_bcast:15 row_mask:0xf bank_mask:0xf bound_ctrl:1
	;;#ASMEND
	;;#ASMSTART
	v_max_f32 v12, v11, v11 row_bcast:31 row_mask:0xf bank_mask:0xf bound_ctrl:1
	;;#ASMEND
	ds_bpermute_b32 v11, v6, v12
	s_waitcnt lgkmcnt(0)
	v_cmp_eq_f32_e32 vcc, v10, v11
	s_ff1_i32_b64 s10, vcc
	s_cmp_lg_u64 vcc, 0
	s_cselect_b32 s10, s10, 0
	s_and_b64 vcc, exec, s[8:9]
	v_readlane_b32 s10, v9, s10
	s_cbranch_vccz .LBB65_14
; %bb.20:                               ;   in Loop: Header=BB65_15 Depth=1
	s_ashr_i32 s11, s10, 31
	s_lshl_b64 s[12:13], s[10:11], 1
	s_add_u32 s12, s14, s12
	s_addc_u32 s13, s15, s13
	global_load_ushort v9, v7, s[12:13]
	s_waitcnt vmcnt(0)
	v_cvt_f32_f16_e32 v9, v9
	v_sub_f32_e32 v11, v11, v9
	s_branch .LBB65_14
.LBB65_21:
	v_mov_b32_e32 v1, 0
	v_mov_b32_e32 v3, 0
.LBB65_22:
	v_cmp_gt_i32_e32 vcc, s21, v0
	s_and_saveexec_b64 s[0:1], vcc
	s_cbranch_execz .LBB65_25
; %bb.23:
	s_load_dword s2, s[4:5], 0x34
	v_max_f32_e32 v3, v3, v3
	v_max_f32_e32 v3, 0x1e3ce508, v3
	s_load_dword s3, s[4:5], 0x44
	s_waitcnt lgkmcnt(0)
	v_div_scale_f32 v4, s[0:1], v3, v3, s2
	s_load_dwordx2 s[0:1], s[4:5], 0x20
	v_rcp_f32_e32 v5, v4
	v_div_scale_f32 v6, vcc, s2, v3, s2
	s_and_b32 s3, s3, 0xffff
	v_fma_f32 v7, -v4, v5, 1.0
	v_fmac_f32_e32 v5, v7, v5
	v_mul_f32_e32 v7, v6, v5
	v_fma_f32 v8, -v4, v7, v6
	v_fmac_f32_e32 v7, v8, v5
	v_fma_f32 v4, -v4, v7, v6
	v_div_fmas_f32 v4, v4, v5, v7
	v_div_fixup_f32 v3, v4, v3, s2
	s_ashr_i32 s2, s6, 31
	s_waitcnt lgkmcnt(0)
	s_mul_i32 s1, s6, s1
	s_mul_hi_u32 s4, s6, s0
	s_add_i32 s1, s4, s1
	s_mul_i32 s2, s2, s0
	s_add_i32 s4, s1, s2
	v_mul_f32_e32 v2, v2, v3
	s_mul_i32 s2, s6, s0
	s_mov_b64 s[0:1], 0
	v_mov_b32_e32 v3, s4
	v_mov_b32_e32 v4, s17
	;; [unrolled: 1-line block ×3, first 2 shown]
.LBB65_24:                              ; =>This Inner Loop Header: Depth=1
	v_ashrrev_i32_e32 v7, 31, v0
	v_add_co_u32_e32 v6, vcc, s2, v0
	v_addc_co_u32_e32 v7, vcc, v3, v7, vcc
	v_add_u32_e32 v0, s3, v0
	v_cmp_le_i32_e32 vcc, s21, v0
	v_lshlrev_b64 v[6:7], 2, v[6:7]
	s_or_b64 s[0:1], vcc, s[0:1]
	v_add_co_u32_e32 v8, vcc, s16, v6
	v_addc_co_u32_e32 v9, vcc, v4, v7, vcc
	v_add_co_u32_e32 v6, vcc, s18, v6
	v_addc_co_u32_e32 v7, vcc, v5, v7, vcc
	global_store_dword v[8:9], v2, off
	global_store_dword v[6:7], v1, off
	s_andn2_b64 exec, exec, s[0:1]
	s_cbranch_execnz .LBB65_24
.LBB65_25:
	s_endpgm
	.section	.rodata,"a",@progbits
	.p2align	6, 0x0
	.amdhsa_kernel _ZN5aiter20topk_softplus_kernelIf6__halfDv2_fLb1ELi0EEEvPKT_PKT0_PfPimiiif
		.amdhsa_group_segment_fixed_size 0
		.amdhsa_private_segment_fixed_size 0
		.amdhsa_kernarg_size 312
		.amdhsa_user_sgpr_count 6
		.amdhsa_user_sgpr_private_segment_buffer 1
		.amdhsa_user_sgpr_dispatch_ptr 0
		.amdhsa_user_sgpr_queue_ptr 0
		.amdhsa_user_sgpr_kernarg_segment_ptr 1
		.amdhsa_user_sgpr_dispatch_id 0
		.amdhsa_user_sgpr_flat_scratch_init 0
		.amdhsa_user_sgpr_kernarg_preload_length 0
		.amdhsa_user_sgpr_kernarg_preload_offset 0
		.amdhsa_user_sgpr_private_segment_size 0
		.amdhsa_uses_dynamic_stack 0
		.amdhsa_system_sgpr_private_segment_wavefront_offset 0
		.amdhsa_system_sgpr_workgroup_id_x 1
		.amdhsa_system_sgpr_workgroup_id_y 0
		.amdhsa_system_sgpr_workgroup_id_z 0
		.amdhsa_system_sgpr_workgroup_info 0
		.amdhsa_system_vgpr_workitem_id 0
		.amdhsa_next_free_vgpr 21
		.amdhsa_next_free_sgpr 36
		.amdhsa_accum_offset 24
		.amdhsa_reserve_vcc 1
		.amdhsa_reserve_flat_scratch 0
		.amdhsa_float_round_mode_32 0
		.amdhsa_float_round_mode_16_64 0
		.amdhsa_float_denorm_mode_32 3
		.amdhsa_float_denorm_mode_16_64 3
		.amdhsa_dx10_clamp 1
		.amdhsa_ieee_mode 1
		.amdhsa_fp16_overflow 0
		.amdhsa_tg_split 0
		.amdhsa_exception_fp_ieee_invalid_op 0
		.amdhsa_exception_fp_denorm_src 0
		.amdhsa_exception_fp_ieee_div_zero 0
		.amdhsa_exception_fp_ieee_overflow 0
		.amdhsa_exception_fp_ieee_underflow 0
		.amdhsa_exception_fp_ieee_inexact 0
		.amdhsa_exception_int_div_zero 0
	.end_amdhsa_kernel
	.section	.text._ZN5aiter20topk_softplus_kernelIf6__halfDv2_fLb1ELi0EEEvPKT_PKT0_PfPimiiif,"axG",@progbits,_ZN5aiter20topk_softplus_kernelIf6__halfDv2_fLb1ELi0EEEvPKT_PKT0_PfPimiiif,comdat
.Lfunc_end65:
	.size	_ZN5aiter20topk_softplus_kernelIf6__halfDv2_fLb1ELi0EEEvPKT_PKT0_PfPimiiif, .Lfunc_end65-_ZN5aiter20topk_softplus_kernelIf6__halfDv2_fLb1ELi0EEEvPKT_PKT0_PfPimiiif
                                        ; -- End function
	.section	.AMDGPU.csdata,"",@progbits
; Kernel info:
; codeLenInByte = 1976
; NumSgprs: 40
; NumVgprs: 21
; NumAgprs: 0
; TotalNumVgprs: 21
; ScratchSize: 0
; MemoryBound: 0
; FloatMode: 240
; IeeeMode: 1
; LDSByteSize: 0 bytes/workgroup (compile time only)
; SGPRBlocks: 4
; VGPRBlocks: 2
; NumSGPRsForWavesPerEU: 40
; NumVGPRsForWavesPerEU: 21
; AccumOffset: 24
; Occupancy: 8
; WaveLimiterHint : 0
; COMPUTE_PGM_RSRC2:SCRATCH_EN: 0
; COMPUTE_PGM_RSRC2:USER_SGPR: 6
; COMPUTE_PGM_RSRC2:TRAP_HANDLER: 0
; COMPUTE_PGM_RSRC2:TGID_X_EN: 1
; COMPUTE_PGM_RSRC2:TGID_Y_EN: 0
; COMPUTE_PGM_RSRC2:TGID_Z_EN: 0
; COMPUTE_PGM_RSRC2:TIDIG_COMP_CNT: 0
; COMPUTE_PGM_RSRC3_GFX90A:ACCUM_OFFSET: 5
; COMPUTE_PGM_RSRC3_GFX90A:TG_SPLIT: 0
	.section	.text._ZN5aiter20topk_softplus_kernelIf6__halfDv2_fLb0ELi0EEEvPKT_PKT0_PfPimiiif,"axG",@progbits,_ZN5aiter20topk_softplus_kernelIf6__halfDv2_fLb0ELi0EEEvPKT_PKT0_PfPimiiif,comdat
	.protected	_ZN5aiter20topk_softplus_kernelIf6__halfDv2_fLb0ELi0EEEvPKT_PKT0_PfPimiiif ; -- Begin function _ZN5aiter20topk_softplus_kernelIf6__halfDv2_fLb0ELi0EEEvPKT_PKT0_PfPimiiif
	.globl	_ZN5aiter20topk_softplus_kernelIf6__halfDv2_fLb0ELi0EEEvPKT_PKT0_PfPimiiif
	.p2align	8
	.type	_ZN5aiter20topk_softplus_kernelIf6__halfDv2_fLb0ELi0EEEvPKT_PKT0_PfPimiiif,@function
_ZN5aiter20topk_softplus_kernelIf6__halfDv2_fLb0ELi0EEEvPKT_PKT0_PfPimiiif: ; @_ZN5aiter20topk_softplus_kernelIf6__halfDv2_fLb0ELi0EEEvPKT_PKT0_PfPimiiif
; %bb.0:
	s_load_dwordx2 s[20:21], s[4:5], 0x28
	s_load_dwordx8 s[12:19], s[4:5], 0x0
	s_waitcnt lgkmcnt(0)
	s_lshr_b32 s0, s20, 31
	s_add_i32 s0, s20, s0
	s_mul_i32 s22, s6, s20
	s_ashr_i32 s7, s0, 1
	s_ashr_i32 s23, s22, 31
	v_cmp_gt_i32_e64 s[0:1], s7, v0
	s_and_saveexec_b64 s[24:25], s[0:1]
	s_cbranch_execz .LBB66_7
; %bb.1:
	s_load_dword s8, s[4:5], 0x44
	s_cmp_lg_u64 s[14:15], 0
	s_cselect_b64 s[2:3], -1, 0
	v_lshlrev_b32_e32 v1, 3, v0
	v_lshlrev_b32_e32 v4, 2, v0
	s_waitcnt lgkmcnt(0)
	s_and_b32 s28, s8, 0xffff
	s_lshl_b64 s[8:9], s[22:23], 2
	s_add_u32 s8, s12, s8
	s_addc_u32 s9, s13, s9
	v_mov_b32_e32 v3, s9
	v_add_co_u32_e32 v2, vcc, s8, v1
	v_addc_co_u32_e32 v3, vcc, 0, v3, vcc
	v_mov_b32_e32 v5, s15
	v_add_co_u32_e32 v4, vcc, s14, v4
	v_addc_co_u32_e32 v5, vcc, 0, v5, vcc
	s_mov_b32 s10, 0
	v_add_co_u32_e32 v4, vcc, 2, v4
	v_cndmask_b32_e64 v6, 0, 1, s[2:3]
	s_mov_b64 s[26:27], 0
	s_lshl_b32 s29, s28, 3
	v_addc_co_u32_e32 v5, vcc, 0, v5, vcc
	s_lshl_b32 s30, s28, 2
	v_add_u32_e32 v1, 0, v1
	s_mov_b32 s31, 0x41a00000
	s_mov_b32 s33, 0xc2fc0000
	v_mov_b32_e32 v8, 0x1f800000
	v_mov_b32_e32 v9, 0x42800000
	s_mov_b32 s34, 0x800000
	v_mov_b32_e32 v10, 0x4f800000
	v_mov_b32_e32 v11, 0x42000000
	s_mov_b32 s35, 0xf800000
	v_mov_b32_e32 v12, 0x260
	v_cmp_ne_u32_e64 s[2:3], 1, v6
	v_mov_b32_e32 v13, s10
	v_mov_b32_e32 v14, s10
	v_mov_b32_e32 v15, v0
	s_branch .LBB66_3
.LBB66_2:                               ;   in Loop: Header=BB66_3 Depth=1
	v_add_co_u32_e32 v2, vcc, s29, v2
	v_addc_co_u32_e32 v3, vcc, v3, v13, vcc
	v_add_co_u32_e32 v4, vcc, s30, v4
	v_add_u32_e32 v15, s28, v15
	v_addc_co_u32_e32 v5, vcc, v5, v14, vcc
	v_cmp_le_i32_e32 vcc, s7, v15
	ds_write_b64 v1, v[6:7]
	s_or_b64 s[26:27], vcc, s[26:27]
	v_add_u32_e32 v1, s29, v1
	s_andn2_b64 exec, exec, s[26:27]
	s_cbranch_execz .LBB66_7
.LBB66_3:                               ; =>This Inner Loop Header: Depth=1
	global_load_dwordx2 v[6:7], v[2:3], off
	s_waitcnt vmcnt(0)
	v_mul_f32_e32 v16, 0x3fb8aa3b, v6
	v_cmp_gt_f32_e32 vcc, s33, v16
	v_cndmask_b32_e32 v17, 0, v9, vcc
	v_fmac_f32_e32 v17, 0x3fb8aa3b, v6
	v_exp_f32_e32 v17, v17
	v_cndmask_b32_e32 v16, 1.0, v8, vcc
	v_fma_f32 v16, v17, v16, 1.0
	v_cmp_gt_f32_e32 vcc, s34, v16
	v_cndmask_b32_e32 v17, 1.0, v10, vcc
	v_mul_f32_e32 v16, v16, v17
	v_log_f32_e32 v16, v16
	v_cndmask_b32_e32 v17, 0, v11, vcc
	v_cmp_lt_f32_e32 vcc, s31, v6
	v_sub_f32_e32 v16, v16, v17
	v_mul_f32_e32 v16, 0x3f317218, v16
	v_cndmask_b32_e32 v6, v16, v6, vcc
	v_mul_f32_e32 v16, 0x4f800000, v6
	v_cmp_gt_f32_e64 s[8:9], s35, v6
	v_cndmask_b32_e64 v6, v6, v16, s[8:9]
	v_sqrt_f32_e32 v16, v6
	s_and_b64 vcc, exec, s[2:3]
	v_add_u32_e32 v17, -1, v16
	v_add_u32_e32 v18, 1, v16
	v_fma_f32 v19, -v17, v16, v6
	v_fma_f32 v20, -v18, v16, v6
	v_cmp_ge_f32_e64 s[10:11], 0, v19
	v_cndmask_b32_e64 v16, v16, v17, s[10:11]
	v_cmp_lt_f32_e64 s[10:11], 0, v20
	v_cndmask_b32_e64 v16, v16, v18, s[10:11]
	v_mul_f32_e32 v17, 0x37800000, v16
	v_cndmask_b32_e64 v16, v16, v17, s[8:9]
	v_cmp_class_f32_e64 s[8:9], v6, v12
	v_cndmask_b32_e64 v6, v16, v6, s[8:9]
	s_cbranch_vccnz .LBB66_5
; %bb.4:                                ;   in Loop: Header=BB66_3 Depth=1
	global_load_ushort v16, v[4:5], off offset:-2
	s_waitcnt vmcnt(0)
	v_cvt_f32_f16_e32 v16, v16
	v_add_f32_e32 v6, v6, v16
.LBB66_5:                               ;   in Loop: Header=BB66_3 Depth=1
	v_mul_f32_e32 v16, 0x3fb8aa3b, v7
	v_cmp_gt_f32_e32 vcc, s33, v16
	v_cndmask_b32_e32 v17, 0, v9, vcc
	v_fmac_f32_e32 v17, 0x3fb8aa3b, v7
	v_exp_f32_e32 v17, v17
	v_cndmask_b32_e32 v16, 1.0, v8, vcc
	v_fma_f32 v16, v17, v16, 1.0
	v_cmp_gt_f32_e32 vcc, s34, v16
	v_cndmask_b32_e32 v17, 1.0, v10, vcc
	v_mul_f32_e32 v16, v16, v17
	v_log_f32_e32 v16, v16
	v_cndmask_b32_e32 v17, 0, v11, vcc
	v_cmp_lt_f32_e32 vcc, s31, v7
	v_sub_f32_e32 v16, v16, v17
	v_mul_f32_e32 v16, 0x3f317218, v16
	v_cndmask_b32_e32 v7, v16, v7, vcc
	v_mul_f32_e32 v16, 0x4f800000, v7
	v_cmp_gt_f32_e32 vcc, s35, v7
	v_cndmask_b32_e32 v7, v7, v16, vcc
	v_sqrt_f32_e32 v16, v7
	v_add_u32_e32 v17, -1, v16
	v_add_u32_e32 v18, 1, v16
	v_fma_f32 v19, -v17, v16, v7
	v_fma_f32 v20, -v18, v16, v7
	v_cmp_ge_f32_e64 s[8:9], 0, v19
	v_cndmask_b32_e64 v16, v16, v17, s[8:9]
	v_cmp_lt_f32_e64 s[8:9], 0, v20
	v_cndmask_b32_e64 v16, v16, v18, s[8:9]
	v_mul_f32_e32 v17, 0x37800000, v16
	v_cndmask_b32_e32 v16, v16, v17, vcc
	v_cmp_class_f32_e64 s[8:9], v7, v12
	s_and_b64 vcc, exec, s[2:3]
	v_cndmask_b32_e64 v7, v16, v7, s[8:9]
	s_cbranch_vccnz .LBB66_2
; %bb.6:                                ;   in Loop: Header=BB66_3 Depth=1
	global_load_ushort v16, v[4:5], off
	s_waitcnt vmcnt(0)
	v_cvt_f32_f16_e32 v16, v16
	v_add_f32_e32 v7, v7, v16
	s_branch .LBB66_2
.LBB66_7:
	s_or_b64 exec, exec, s[24:25]
	v_lshl_add_u32 v2, s7, 1, v0
	v_cmp_gt_i32_e32 vcc, s20, v2
	s_and_saveexec_b64 s[10:11], vcc
	s_cbranch_execz .LBB66_12
; %bb.8:
	s_load_dword s8, s[4:5], 0x44
	s_lshl_b64 s[2:3], s[22:23], 2
	s_add_u32 s22, s12, s2
	s_addc_u32 s9, s13, s3
	s_cmp_lg_u64 s[14:15], 0
	s_cselect_b64 s[2:3], -1, 0
	s_waitcnt lgkmcnt(0)
	s_and_b32 s23, s8, 0xffff
	s_lshl_b32 s8, s7, 3
	s_add_i32 s8, s8, 0
	v_cndmask_b32_e64 v3, 0, 1, s[2:3]
	s_mov_b64 s[12:13], 0
	v_lshl_add_u32 v1, v0, 2, s8
	s_lshl_b32 s24, s23, 2
	v_mov_b32_e32 v4, s9
	s_mov_b32 s25, 0x41a00000
	s_mov_b32 s26, 0xc2fc0000
	v_mov_b32_e32 v5, 0x42800000
	v_mov_b32_e32 v6, 0x1f800000
	s_mov_b32 s27, 0x800000
	v_mov_b32_e32 v7, 0x4f800000
	v_mov_b32_e32 v8, 0x42000000
	s_mov_b32 s28, 0xf800000
	v_mov_b32_e32 v9, 0x260
	v_cmp_ne_u32_e64 s[2:3], 1, v3
	s_branch .LBB66_10
.LBB66_9:                               ;   in Loop: Header=BB66_10 Depth=1
	v_add_u32_e32 v2, s23, v2
	v_cmp_le_i32_e32 vcc, s20, v2
	s_or_b64 s[12:13], vcc, s[12:13]
	v_add_u32_e32 v1, s24, v1
	s_andn2_b64 exec, exec, s[12:13]
	s_cbranch_execz .LBB66_12
.LBB66_10:                              ; =>This Inner Loop Header: Depth=1
	v_ashrrev_i32_e32 v3, 31, v2
	v_lshlrev_b64 v[10:11], 2, v[2:3]
	v_add_co_u32_e32 v10, vcc, s22, v10
	v_addc_co_u32_e32 v11, vcc, v4, v11, vcc
	global_load_dword v10, v[10:11], off
	s_waitcnt vmcnt(0)
	v_mul_f32_e32 v11, 0x3fb8aa3b, v10
	v_cmp_gt_f32_e32 vcc, s26, v11
	v_cndmask_b32_e32 v11, 0, v5, vcc
	v_fmac_f32_e32 v11, 0x3fb8aa3b, v10
	v_exp_f32_e32 v11, v11
	v_cndmask_b32_e32 v12, 1.0, v6, vcc
	v_fma_f32 v11, v11, v12, 1.0
	v_cmp_gt_f32_e32 vcc, s27, v11
	v_cndmask_b32_e32 v12, 1.0, v7, vcc
	v_mul_f32_e32 v11, v11, v12
	v_log_f32_e32 v11, v11
	v_cndmask_b32_e32 v12, 0, v8, vcc
	v_cmp_lt_f32_e32 vcc, s25, v10
	v_sub_f32_e32 v11, v11, v12
	v_mul_f32_e32 v11, 0x3f317218, v11
	v_cndmask_b32_e32 v10, v11, v10, vcc
	v_mul_f32_e32 v11, 0x4f800000, v10
	v_cmp_gt_f32_e32 vcc, s28, v10
	v_cndmask_b32_e32 v10, v10, v11, vcc
	v_sqrt_f32_e32 v11, v10
	v_add_u32_e32 v12, -1, v11
	v_add_u32_e32 v13, 1, v11
	v_fma_f32 v14, -v12, v11, v10
	v_fma_f32 v15, -v13, v11, v10
	v_cmp_ge_f32_e64 s[8:9], 0, v14
	v_cndmask_b32_e64 v11, v11, v12, s[8:9]
	v_cmp_lt_f32_e64 s[8:9], 0, v15
	v_cndmask_b32_e64 v11, v11, v13, s[8:9]
	v_mul_f32_e32 v12, 0x37800000, v11
	v_cndmask_b32_e32 v11, v11, v12, vcc
	v_cmp_class_f32_e32 vcc, v10, v9
	v_cndmask_b32_e32 v10, v11, v10, vcc
	s_and_b64 vcc, exec, s[2:3]
	ds_write_b32 v1, v10
	s_cbranch_vccnz .LBB66_9
; %bb.11:                               ;   in Loop: Header=BB66_10 Depth=1
	v_lshlrev_b64 v[12:13], 1, v[2:3]
	v_mov_b32_e32 v3, s15
	v_add_co_u32_e32 v12, vcc, s14, v12
	v_addc_co_u32_e32 v13, vcc, v3, v13, vcc
	global_load_ushort v3, v[12:13], off
	s_waitcnt vmcnt(0)
	v_cvt_f32_f16_e32 v3, v3
	v_add_f32_e32 v3, v10, v3
	ds_write_b32 v1, v3
	s_branch .LBB66_9
.LBB66_12:
	s_or_b64 exec, exec, s[10:11]
	s_cmp_lt_i32 s21, 1
	s_waitcnt lgkmcnt(0)
	s_barrier
	s_cbranch_scc1 .LBB66_21
; %bb.13:
	s_add_u32 s2, s4, 56
	s_addc_u32 s3, s5, 0
	v_mbcnt_lo_u32_b32 v2, -1, 0
	s_cmp_lg_u64 s[14:15], 0
	v_mbcnt_hi_u32_b32 v2, -1, v2
	v_bfrev_b32_e32 v6, 0.5
	s_cselect_b64 s[8:9], -1, 0
	v_lshlrev_b32_e32 v3, 1, v0
	s_mov_b32 s20, 0
	v_mov_b32_e32 v1, 0
	v_lshl_add_u32 v4, v0, 3, 0
	v_mov_b32_e32 v5, 0
	v_lshl_or_b32 v6, v2, 2, v6
	v_mov_b32_e32 v7, 0xff800000
	v_mov_b32_e32 v2, 0
	s_branch .LBB66_15
.LBB66_14:                              ;   in Loop: Header=BB66_15 Depth=1
	s_lshl_b32 s11, s10, 2
	s_add_i32 s11, s11, 0
	v_mov_b32_e32 v8, s11
	ds_write_b32 v8, v7
	v_mov_b32_e32 v8, s10
	v_cmp_eq_u32_e32 vcc, s20, v0
	s_add_i32 s20, s20, 1
	v_cndmask_b32_e32 v1, v1, v8, vcc
	s_cmp_eq_u32 s20, s21
	v_cndmask_b32_e32 v2, v2, v10, vcc
	s_cbranch_scc1 .LBB66_22
.LBB66_15:                              ; =>This Loop Header: Depth=1
                                        ;     Child Loop BB66_17 Depth 2
	v_mov_b32_e32 v8, s20
	v_mov_b32_e32 v9, 0xff800000
	s_and_saveexec_b64 s[10:11], s[0:1]
	s_cbranch_execz .LBB66_19
; %bb.16:                               ;   in Loop: Header=BB66_15 Depth=1
	s_load_dword s22, s[2:3], 0xc
	s_mov_b64 s[12:13], 0
	v_mov_b32_e32 v8, s20
	v_mov_b32_e32 v9, 0xff800000
	;; [unrolled: 1-line block ×3, first 2 shown]
	s_waitcnt lgkmcnt(0)
	s_and_b32 s22, s22, 0xffff
	s_lshl_b32 s23, s22, 1
	s_lshl_b32 s24, s22, 3
	v_mov_b32_e32 v11, v3
	v_mov_b32_e32 v12, v0
.LBB66_17:                              ;   Parent Loop BB66_15 Depth=1
                                        ; =>  This Inner Loop Header: Depth=2
	ds_read_b64 v[14:15], v10
	v_add_u32_e32 v12, s22, v12
	v_cmp_le_i32_e32 vcc, s7, v12
	s_or_b64 s[12:13], vcc, s[12:13]
	v_add_u32_e32 v13, 1, v11
	s_waitcnt lgkmcnt(0)
	v_cmp_gt_f32_e32 vcc, v14, v9
	v_cndmask_b32_e32 v9, v9, v14, vcc
	v_cndmask_b32_e32 v8, v8, v11, vcc
	v_cmp_gt_f32_e32 vcc, v15, v9
	v_add_u32_e32 v10, s24, v10
	v_cndmask_b32_e32 v9, v9, v15, vcc
	v_add_u32_e32 v11, s23, v11
	v_cndmask_b32_e32 v8, v8, v13, vcc
	s_andn2_b64 exec, exec, s[12:13]
	s_cbranch_execnz .LBB66_17
; %bb.18:                               ;   in Loop: Header=BB66_15 Depth=1
	s_or_b64 exec, exec, s[12:13]
.LBB66_19:                              ;   in Loop: Header=BB66_15 Depth=1
	s_or_b64 exec, exec, s[10:11]
	;;#ASMSTART
	v_max_f32 v10, v9, v9 quad_perm:[1,0,3,2] row_mask:0xf bank_mask:0xf bound_ctrl:1
	;;#ASMEND
	;;#ASMSTART
	v_max_f32 v11, v10, v10 quad_perm:[2,3,0,1] row_mask:0xf bank_mask:0xf bound_ctrl:1
	;;#ASMEND
	;;#ASMSTART
	v_max_f32 v10, v11, v11 row_half_mirror row_mask:0xf bank_mask:0xf bound_ctrl:1
	;;#ASMEND
	;;#ASMSTART
	v_max_f32 v11, v10, v10 row_mirror row_mask:0xf bank_mask:0xf bound_ctrl:1
	;;#ASMEND
	;;#ASMSTART
	v_max_f32 v10, v11, v11 row_ror:4 row_mask:0xf bank_mask:0xf bound_ctrl:1
	;;#ASMEND
	;;#ASMSTART
	v_max_f32 v11, v10, v10 row_ror:8 row_mask:0xf bank_mask:0xf bound_ctrl:1
	;;#ASMEND
	;;#ASMSTART
	v_max_f32 v10, v11, v11 row_bcast:15 row_mask:0xf bank_mask:0xf bound_ctrl:1
	;;#ASMEND
	;;#ASMSTART
	v_max_f32 v11, v10, v10 row_bcast:31 row_mask:0xf bank_mask:0xf bound_ctrl:1
	;;#ASMEND
	ds_bpermute_b32 v10, v6, v11
	s_waitcnt lgkmcnt(0)
	v_cmp_eq_f32_e32 vcc, v9, v10
	s_ff1_i32_b64 s10, vcc
	s_cmp_lg_u64 vcc, 0
	s_cselect_b32 s10, s10, 0
	s_and_b64 vcc, exec, s[8:9]
	v_readlane_b32 s10, v8, s10
	s_cbranch_vccz .LBB66_14
; %bb.20:                               ;   in Loop: Header=BB66_15 Depth=1
	s_ashr_i32 s11, s10, 31
	s_lshl_b64 s[12:13], s[10:11], 1
	s_add_u32 s12, s14, s12
	s_addc_u32 s13, s15, s13
	global_load_ushort v8, v5, s[12:13]
	s_waitcnt vmcnt(0)
	v_cvt_f32_f16_e32 v8, v8
	v_sub_f32_e32 v10, v10, v8
	s_branch .LBB66_14
.LBB66_21:
	v_mov_b32_e32 v2, 0
	v_mov_b32_e32 v1, 0
.LBB66_22:
	v_cmp_gt_i32_e32 vcc, s21, v0
	s_and_saveexec_b64 s[0:1], vcc
	s_cbranch_execz .LBB66_25
; %bb.23:
	s_load_dword s2, s[4:5], 0x34
	s_load_dwordx2 s[0:1], s[4:5], 0x20
	s_ashr_i32 s3, s6, 31
	s_load_dword s4, s[4:5], 0x44
	v_mov_b32_e32 v4, s17
	s_waitcnt lgkmcnt(0)
	v_mul_f32_e32 v2, s2, v2
	s_mul_i32 s1, s6, s1
	s_mul_hi_u32 s2, s6, s0
	s_add_i32 s1, s2, s1
	s_mul_i32 s3, s3, s0
	s_add_i32 s5, s1, s3
	s_mul_i32 s2, s6, s0
	s_and_b32 s3, s4, 0xffff
	s_mov_b64 s[0:1], 0
	v_mov_b32_e32 v3, s5
	v_mov_b32_e32 v5, s19
.LBB66_24:                              ; =>This Inner Loop Header: Depth=1
	v_ashrrev_i32_e32 v7, 31, v0
	v_add_co_u32_e32 v6, vcc, s2, v0
	v_addc_co_u32_e32 v7, vcc, v3, v7, vcc
	v_add_u32_e32 v0, s3, v0
	v_cmp_le_i32_e32 vcc, s21, v0
	v_lshlrev_b64 v[6:7], 2, v[6:7]
	s_or_b64 s[0:1], vcc, s[0:1]
	v_add_co_u32_e32 v8, vcc, s16, v6
	v_addc_co_u32_e32 v9, vcc, v4, v7, vcc
	v_add_co_u32_e32 v6, vcc, s18, v6
	v_addc_co_u32_e32 v7, vcc, v5, v7, vcc
	global_store_dword v[8:9], v2, off
	global_store_dword v[6:7], v1, off
	s_andn2_b64 exec, exec, s[0:1]
	s_cbranch_execnz .LBB66_24
.LBB66_25:
	s_endpgm
	.section	.rodata,"a",@progbits
	.p2align	6, 0x0
	.amdhsa_kernel _ZN5aiter20topk_softplus_kernelIf6__halfDv2_fLb0ELi0EEEvPKT_PKT0_PfPimiiif
		.amdhsa_group_segment_fixed_size 0
		.amdhsa_private_segment_fixed_size 0
		.amdhsa_kernarg_size 312
		.amdhsa_user_sgpr_count 6
		.amdhsa_user_sgpr_private_segment_buffer 1
		.amdhsa_user_sgpr_dispatch_ptr 0
		.amdhsa_user_sgpr_queue_ptr 0
		.amdhsa_user_sgpr_kernarg_segment_ptr 1
		.amdhsa_user_sgpr_dispatch_id 0
		.amdhsa_user_sgpr_flat_scratch_init 0
		.amdhsa_user_sgpr_kernarg_preload_length 0
		.amdhsa_user_sgpr_kernarg_preload_offset 0
		.amdhsa_user_sgpr_private_segment_size 0
		.amdhsa_uses_dynamic_stack 0
		.amdhsa_system_sgpr_private_segment_wavefront_offset 0
		.amdhsa_system_sgpr_workgroup_id_x 1
		.amdhsa_system_sgpr_workgroup_id_y 0
		.amdhsa_system_sgpr_workgroup_id_z 0
		.amdhsa_system_sgpr_workgroup_info 0
		.amdhsa_system_vgpr_workitem_id 0
		.amdhsa_next_free_vgpr 21
		.amdhsa_next_free_sgpr 36
		.amdhsa_accum_offset 24
		.amdhsa_reserve_vcc 1
		.amdhsa_reserve_flat_scratch 0
		.amdhsa_float_round_mode_32 0
		.amdhsa_float_round_mode_16_64 0
		.amdhsa_float_denorm_mode_32 3
		.amdhsa_float_denorm_mode_16_64 3
		.amdhsa_dx10_clamp 1
		.amdhsa_ieee_mode 1
		.amdhsa_fp16_overflow 0
		.amdhsa_tg_split 0
		.amdhsa_exception_fp_ieee_invalid_op 0
		.amdhsa_exception_fp_denorm_src 0
		.amdhsa_exception_fp_ieee_div_zero 0
		.amdhsa_exception_fp_ieee_overflow 0
		.amdhsa_exception_fp_ieee_underflow 0
		.amdhsa_exception_fp_ieee_inexact 0
		.amdhsa_exception_int_div_zero 0
	.end_amdhsa_kernel
	.section	.text._ZN5aiter20topk_softplus_kernelIf6__halfDv2_fLb0ELi0EEEvPKT_PKT0_PfPimiiif,"axG",@progbits,_ZN5aiter20topk_softplus_kernelIf6__halfDv2_fLb0ELi0EEEvPKT_PKT0_PfPimiiif,comdat
.Lfunc_end66:
	.size	_ZN5aiter20topk_softplus_kernelIf6__halfDv2_fLb0ELi0EEEvPKT_PKT0_PfPimiiif, .Lfunc_end66-_ZN5aiter20topk_softplus_kernelIf6__halfDv2_fLb0ELi0EEEvPKT_PKT0_PfPimiiif
                                        ; -- End function
	.section	.AMDGPU.csdata,"",@progbits
; Kernel info:
; codeLenInByte = 1876
; NumSgprs: 40
; NumVgprs: 21
; NumAgprs: 0
; TotalNumVgprs: 21
; ScratchSize: 0
; MemoryBound: 0
; FloatMode: 240
; IeeeMode: 1
; LDSByteSize: 0 bytes/workgroup (compile time only)
; SGPRBlocks: 4
; VGPRBlocks: 2
; NumSGPRsForWavesPerEU: 40
; NumVGPRsForWavesPerEU: 21
; AccumOffset: 24
; Occupancy: 8
; WaveLimiterHint : 0
; COMPUTE_PGM_RSRC2:SCRATCH_EN: 0
; COMPUTE_PGM_RSRC2:USER_SGPR: 6
; COMPUTE_PGM_RSRC2:TRAP_HANDLER: 0
; COMPUTE_PGM_RSRC2:TGID_X_EN: 1
; COMPUTE_PGM_RSRC2:TGID_Y_EN: 0
; COMPUTE_PGM_RSRC2:TGID_Z_EN: 0
; COMPUTE_PGM_RSRC2:TIDIG_COMP_CNT: 0
; COMPUTE_PGM_RSRC3_GFX90A:ACCUM_OFFSET: 5
; COMPUTE_PGM_RSRC3_GFX90A:TG_SPLIT: 0
	.section	.text._ZN5aiter20topk_softplus_kernelIf6__halfDv1_fLb1ELi0EEEvPKT_PKT0_PfPimiiif,"axG",@progbits,_ZN5aiter20topk_softplus_kernelIf6__halfDv1_fLb1ELi0EEEvPKT_PKT0_PfPimiiif,comdat
	.protected	_ZN5aiter20topk_softplus_kernelIf6__halfDv1_fLb1ELi0EEEvPKT_PKT0_PfPimiiif ; -- Begin function _ZN5aiter20topk_softplus_kernelIf6__halfDv1_fLb1ELi0EEEvPKT_PKT0_PfPimiiif
	.globl	_ZN5aiter20topk_softplus_kernelIf6__halfDv1_fLb1ELi0EEEvPKT_PKT0_PfPimiiif
	.p2align	8
	.type	_ZN5aiter20topk_softplus_kernelIf6__halfDv1_fLb1ELi0EEEvPKT_PKT0_PfPimiiif,@function
_ZN5aiter20topk_softplus_kernelIf6__halfDv1_fLb1ELi0EEEvPKT_PKT0_PfPimiiif: ; @_ZN5aiter20topk_softplus_kernelIf6__halfDv1_fLb1ELi0EEEvPKT_PKT0_PfPimiiif
; %bb.0:
	s_load_dwordx2 s[20:21], s[4:5], 0x28
	s_load_dwordx8 s[12:19], s[4:5], 0x0
	v_lshl_add_u32 v1, v0, 2, 0
	s_waitcnt lgkmcnt(0)
	s_mul_i32 s2, s6, s20
	s_ashr_i32 s3, s2, 31
	s_lshl_b64 s[2:3], s[2:3], 2
	s_add_u32 s7, s12, s2
	v_cmp_gt_i32_e64 s[0:1], s20, v0
	s_addc_u32 s24, s13, s3
	s_and_saveexec_b64 s[12:13], s[0:1]
	s_cbranch_execz .LBB67_5
; %bb.1:
	s_load_dword s8, s[4:5], 0x44
	s_cmp_lg_u64 s[14:15], 0
	s_cselect_b64 s[2:3], -1, 0
	v_cndmask_b32_e64 v2, 0, 1, s[2:3]
	s_mov_b64 s[22:23], 0
	s_waitcnt lgkmcnt(0)
	s_and_b32 s25, s8, 0xffff
	v_lshl_add_u32 v4, v0, 2, 0
	s_lshl_b32 s26, s25, 2
	v_mov_b32_e32 v5, s24
	s_mov_b32 s27, 0x41a00000
	s_mov_b32 s28, 0xc2fc0000
	v_mov_b32_e32 v6, 0x42800000
	v_mov_b32_e32 v7, 0x1f800000
	s_mov_b32 s29, 0x800000
	v_mov_b32_e32 v8, 0x4f800000
	v_mov_b32_e32 v9, 0x42000000
	s_mov_b32 s30, 0xf800000
	v_mov_b32_e32 v10, 0x260
	v_cmp_ne_u32_e64 s[2:3], 1, v2
	v_mov_b32_e32 v2, v0
	s_branch .LBB67_3
.LBB67_2:                               ;   in Loop: Header=BB67_3 Depth=1
	v_add_u32_e32 v2, s25, v2
	v_cmp_le_i32_e32 vcc, s20, v2
	ds_write_b32 v4, v11
	s_or_b64 s[22:23], vcc, s[22:23]
	v_add_u32_e32 v4, s26, v4
	s_andn2_b64 exec, exec, s[22:23]
	s_cbranch_execz .LBB67_5
.LBB67_3:                               ; =>This Inner Loop Header: Depth=1
	v_ashrrev_i32_e32 v3, 31, v2
	v_lshlrev_b64 v[12:13], 2, v[2:3]
	v_add_co_u32_e32 v12, vcc, s7, v12
	v_addc_co_u32_e32 v13, vcc, v5, v13, vcc
	global_load_dword v11, v[12:13], off
	s_waitcnt vmcnt(0)
	v_mul_f32_e32 v12, 0x3fb8aa3b, v11
	v_cmp_gt_f32_e32 vcc, s28, v12
	v_cndmask_b32_e32 v12, 0, v6, vcc
	v_fmac_f32_e32 v12, 0x3fb8aa3b, v11
	v_exp_f32_e32 v12, v12
	v_cndmask_b32_e32 v13, 1.0, v7, vcc
	v_fma_f32 v12, v12, v13, 1.0
	v_cmp_gt_f32_e32 vcc, s29, v12
	v_cndmask_b32_e32 v13, 1.0, v8, vcc
	v_mul_f32_e32 v12, v12, v13
	v_log_f32_e32 v12, v12
	v_cndmask_b32_e32 v13, 0, v9, vcc
	v_cmp_lt_f32_e32 vcc, s27, v11
	v_sub_f32_e32 v12, v12, v13
	v_mul_f32_e32 v12, 0x3f317218, v12
	v_cndmask_b32_e32 v11, v12, v11, vcc
	v_mul_f32_e32 v12, 0x4f800000, v11
	v_cmp_gt_f32_e64 s[8:9], s30, v11
	v_cndmask_b32_e64 v11, v11, v12, s[8:9]
	v_sqrt_f32_e32 v12, v11
	s_and_b64 vcc, exec, s[2:3]
	v_add_u32_e32 v13, -1, v12
	v_add_u32_e32 v14, 1, v12
	v_fma_f32 v15, -v13, v12, v11
	v_fma_f32 v16, -v14, v12, v11
	v_cmp_ge_f32_e64 s[10:11], 0, v15
	v_cndmask_b32_e64 v12, v12, v13, s[10:11]
	v_cmp_lt_f32_e64 s[10:11], 0, v16
	v_cndmask_b32_e64 v12, v12, v14, s[10:11]
	v_mul_f32_e32 v13, 0x37800000, v12
	v_cndmask_b32_e64 v12, v12, v13, s[8:9]
	v_cmp_class_f32_e64 s[8:9], v11, v10
	v_cndmask_b32_e64 v11, v12, v11, s[8:9]
	s_cbranch_vccnz .LBB67_2
; %bb.4:                                ;   in Loop: Header=BB67_3 Depth=1
	v_lshlrev_b64 v[12:13], 1, v[2:3]
	v_mov_b32_e32 v3, s15
	v_add_co_u32_e32 v12, vcc, s14, v12
	v_addc_co_u32_e32 v13, vcc, v3, v13, vcc
	global_load_ushort v3, v[12:13], off
	s_waitcnt vmcnt(0)
	v_cvt_f32_f16_e32 v3, v3
	v_add_f32_e32 v11, v11, v3
	s_branch .LBB67_2
.LBB67_5:
	s_or_b64 exec, exec, s[12:13]
	v_add_u32_e32 v2, s20, v0
	v_cmp_gt_i32_e32 vcc, s20, v2
	s_and_saveexec_b64 s[10:11], vcc
	s_cbranch_execz .LBB67_10
; %bb.6:
	s_load_dword s8, s[4:5], 0x44
	s_cmp_lg_u64 s[14:15], 0
	s_cselect_b64 s[2:3], -1, 0
	v_cndmask_b32_e64 v3, 0, 1, s[2:3]
	s_mov_b64 s[12:13], 0
	s_waitcnt lgkmcnt(0)
	s_and_b32 s22, s8, 0xffff
	v_lshl_add_u32 v4, v2, 2, 0
	s_lshl_b32 s23, s22, 2
	v_mov_b32_e32 v5, s24
	s_mov_b32 s24, 0x41a00000
	s_mov_b32 s25, 0xc2fc0000
	v_mov_b32_e32 v6, 0x42800000
	v_mov_b32_e32 v7, 0x1f800000
	s_mov_b32 s26, 0x800000
	v_mov_b32_e32 v8, 0x4f800000
	v_mov_b32_e32 v9, 0x42000000
	s_mov_b32 s27, 0xf800000
	v_mov_b32_e32 v10, 0x260
	v_cmp_ne_u32_e64 s[2:3], 1, v3
	s_branch .LBB67_8
.LBB67_7:                               ;   in Loop: Header=BB67_8 Depth=1
	v_add_u32_e32 v2, s22, v2
	v_cmp_le_i32_e32 vcc, s20, v2
	s_or_b64 s[12:13], vcc, s[12:13]
	v_add_u32_e32 v4, s23, v4
	s_andn2_b64 exec, exec, s[12:13]
	s_cbranch_execz .LBB67_10
.LBB67_8:                               ; =>This Inner Loop Header: Depth=1
	v_ashrrev_i32_e32 v3, 31, v2
	v_lshlrev_b64 v[12:13], 2, v[2:3]
	v_add_co_u32_e32 v12, vcc, s7, v12
	v_addc_co_u32_e32 v13, vcc, v5, v13, vcc
	global_load_dword v11, v[12:13], off
	s_waitcnt vmcnt(0)
	v_mul_f32_e32 v12, 0x3fb8aa3b, v11
	v_cmp_gt_f32_e32 vcc, s25, v12
	v_cndmask_b32_e32 v12, 0, v6, vcc
	v_fmac_f32_e32 v12, 0x3fb8aa3b, v11
	v_exp_f32_e32 v12, v12
	v_cndmask_b32_e32 v13, 1.0, v7, vcc
	v_fma_f32 v12, v12, v13, 1.0
	v_cmp_gt_f32_e32 vcc, s26, v12
	v_cndmask_b32_e32 v13, 1.0, v8, vcc
	v_mul_f32_e32 v12, v12, v13
	v_log_f32_e32 v12, v12
	v_cndmask_b32_e32 v13, 0, v9, vcc
	v_cmp_lt_f32_e32 vcc, s24, v11
	v_sub_f32_e32 v12, v12, v13
	v_mul_f32_e32 v12, 0x3f317218, v12
	v_cndmask_b32_e32 v11, v12, v11, vcc
	v_mul_f32_e32 v12, 0x4f800000, v11
	v_cmp_gt_f32_e32 vcc, s27, v11
	v_cndmask_b32_e32 v11, v11, v12, vcc
	v_sqrt_f32_e32 v12, v11
	v_add_u32_e32 v13, -1, v12
	v_add_u32_e32 v14, 1, v12
	v_fma_f32 v15, -v13, v12, v11
	v_fma_f32 v16, -v14, v12, v11
	v_cmp_ge_f32_e64 s[8:9], 0, v15
	v_cndmask_b32_e64 v12, v12, v13, s[8:9]
	v_cmp_lt_f32_e64 s[8:9], 0, v16
	v_cndmask_b32_e64 v12, v12, v14, s[8:9]
	v_mul_f32_e32 v13, 0x37800000, v12
	v_cndmask_b32_e32 v12, v12, v13, vcc
	v_cmp_class_f32_e32 vcc, v11, v10
	v_cndmask_b32_e32 v11, v12, v11, vcc
	s_and_b64 vcc, exec, s[2:3]
	ds_write_b32 v4, v11
	s_cbranch_vccnz .LBB67_7
; %bb.9:                                ;   in Loop: Header=BB67_8 Depth=1
	v_lshlrev_b64 v[12:13], 1, v[2:3]
	v_mov_b32_e32 v3, s15
	v_add_co_u32_e32 v12, vcc, s14, v12
	v_addc_co_u32_e32 v13, vcc, v3, v13, vcc
	global_load_ushort v3, v[12:13], off
	s_waitcnt vmcnt(0)
	v_cvt_f32_f16_e32 v3, v3
	v_add_f32_e32 v3, v11, v3
	ds_write_b32 v4, v3
	s_branch .LBB67_7
.LBB67_10:
	s_or_b64 exec, exec, s[10:11]
	s_cmp_lt_i32 s21, 1
	v_mov_b32_e32 v3, 0
	s_waitcnt lgkmcnt(0)
	s_barrier
	s_cbranch_scc1 .LBB67_19
; %bb.11:
	s_add_u32 s2, s4, 56
	s_addc_u32 s3, s5, 0
	v_mbcnt_lo_u32_b32 v2, -1, 0
	s_cmp_lg_u64 s[14:15], 0
	v_mbcnt_hi_u32_b32 v2, -1, v2
	v_bfrev_b32_e32 v4, 0.5
	s_cselect_b64 s[8:9], -1, 0
	s_mov_b32 s7, 0
	v_mov_b32_e32 v3, 0
	v_lshl_or_b32 v5, v2, 2, v4
	v_mov_b32_e32 v6, 0
	v_mov_b32_e32 v7, 0xff800000
	v_mov_b32_e32 v2, 0
	v_mov_b32_e32 v4, 0
	s_branch .LBB67_13
.LBB67_12:                              ;   in Loop: Header=BB67_13 Depth=1
	s_lshl_b32 s11, s10, 2
	s_add_i32 s11, s11, 0
	v_mov_b32_e32 v8, s11
	ds_write_b32 v8, v7
	v_mov_b32_e32 v8, s10
	v_cmp_eq_u32_e32 vcc, s7, v0
	s_add_i32 s7, s7, 1
	v_cndmask_b32_e32 v2, v2, v8, vcc
	v_cndmask_b32_e32 v3, v3, v10, vcc
	s_cmp_eq_u32 s7, s21
	v_add_f32_e32 v4, v4, v10
	s_cbranch_scc1 .LBB67_20
.LBB67_13:                              ; =>This Loop Header: Depth=1
                                        ;     Child Loop BB67_15 Depth 2
	v_mov_b32_e32 v8, s7
	v_mov_b32_e32 v9, 0xff800000
	s_and_saveexec_b64 s[10:11], s[0:1]
	s_cbranch_execz .LBB67_17
; %bb.14:                               ;   in Loop: Header=BB67_13 Depth=1
	s_load_dword s22, s[2:3], 0xc
	s_mov_b64 s[12:13], 0
	v_mov_b32_e32 v8, s7
	v_mov_b32_e32 v9, 0xff800000
	;; [unrolled: 1-line block ×3, first 2 shown]
	s_waitcnt lgkmcnt(0)
	s_and_b32 s22, s22, 0xffff
	s_lshl_b32 s23, s22, 2
	v_mov_b32_e32 v11, v0
.LBB67_15:                              ;   Parent Loop BB67_13 Depth=1
                                        ; =>  This Inner Loop Header: Depth=2
	ds_read_b32 v12, v10
	v_add_u32_e32 v10, s23, v10
	s_waitcnt lgkmcnt(0)
	v_cmp_gt_f32_e32 vcc, v12, v9
	v_cndmask_b32_e32 v8, v8, v11, vcc
	v_add_u32_e32 v11, s22, v11
	v_cndmask_b32_e32 v9, v9, v12, vcc
	v_cmp_le_i32_e32 vcc, s20, v11
	s_or_b64 s[12:13], vcc, s[12:13]
	s_andn2_b64 exec, exec, s[12:13]
	s_cbranch_execnz .LBB67_15
; %bb.16:                               ;   in Loop: Header=BB67_13 Depth=1
	s_or_b64 exec, exec, s[12:13]
.LBB67_17:                              ;   in Loop: Header=BB67_13 Depth=1
	s_or_b64 exec, exec, s[10:11]
	;;#ASMSTART
	v_max_f32 v10, v9, v9 quad_perm:[1,0,3,2] row_mask:0xf bank_mask:0xf bound_ctrl:1
	;;#ASMEND
	;;#ASMSTART
	v_max_f32 v11, v10, v10 quad_perm:[2,3,0,1] row_mask:0xf bank_mask:0xf bound_ctrl:1
	;;#ASMEND
	;;#ASMSTART
	v_max_f32 v10, v11, v11 row_half_mirror row_mask:0xf bank_mask:0xf bound_ctrl:1
	;;#ASMEND
	;;#ASMSTART
	v_max_f32 v11, v10, v10 row_mirror row_mask:0xf bank_mask:0xf bound_ctrl:1
	;;#ASMEND
	;;#ASMSTART
	v_max_f32 v10, v11, v11 row_ror:4 row_mask:0xf bank_mask:0xf bound_ctrl:1
	;;#ASMEND
	;;#ASMSTART
	v_max_f32 v11, v10, v10 row_ror:8 row_mask:0xf bank_mask:0xf bound_ctrl:1
	;;#ASMEND
	;;#ASMSTART
	v_max_f32 v10, v11, v11 row_bcast:15 row_mask:0xf bank_mask:0xf bound_ctrl:1
	;;#ASMEND
	;;#ASMSTART
	v_max_f32 v11, v10, v10 row_bcast:31 row_mask:0xf bank_mask:0xf bound_ctrl:1
	;;#ASMEND
	ds_bpermute_b32 v10, v5, v11
	s_waitcnt lgkmcnt(0)
	v_cmp_eq_f32_e32 vcc, v9, v10
	s_ff1_i32_b64 s10, vcc
	s_cmp_lg_u64 vcc, 0
	s_cselect_b32 s10, s10, 0
	s_and_b64 vcc, exec, s[8:9]
	v_readlane_b32 s10, v8, s10
	s_cbranch_vccz .LBB67_12
; %bb.18:                               ;   in Loop: Header=BB67_13 Depth=1
	s_ashr_i32 s11, s10, 31
	s_lshl_b64 s[12:13], s[10:11], 1
	s_add_u32 s12, s14, s12
	s_addc_u32 s13, s15, s13
	global_load_ushort v8, v6, s[12:13]
	s_waitcnt vmcnt(0)
	v_cvt_f32_f16_e32 v8, v8
	v_sub_f32_e32 v10, v10, v8
	s_branch .LBB67_12
.LBB67_19:
	v_mov_b32_e32 v2, 0
	v_mov_b32_e32 v4, 0
.LBB67_20:
	v_cmp_gt_i32_e32 vcc, s21, v0
	s_and_saveexec_b64 s[0:1], vcc
	s_cbranch_execz .LBB67_23
; %bb.21:
	s_load_dword s2, s[4:5], 0x34
	v_max_f32_e32 v1, v4, v4
	v_max_f32_e32 v1, 0x1e3ce508, v1
	s_load_dword s3, s[4:5], 0x44
	s_waitcnt lgkmcnt(0)
	v_div_scale_f32 v4, s[0:1], v1, v1, s2
	s_load_dwordx2 s[0:1], s[4:5], 0x20
	v_rcp_f32_e32 v5, v4
	v_div_scale_f32 v6, vcc, s2, v1, s2
	s_and_b32 s3, s3, 0xffff
	v_fma_f32 v7, -v4, v5, 1.0
	v_fmac_f32_e32 v5, v7, v5
	v_mul_f32_e32 v7, v6, v5
	v_fma_f32 v8, -v4, v7, v6
	v_fmac_f32_e32 v7, v8, v5
	v_fma_f32 v4, -v4, v7, v6
	v_div_fmas_f32 v4, v4, v5, v7
	v_div_fixup_f32 v1, v4, v1, s2
	s_ashr_i32 s2, s6, 31
	s_waitcnt lgkmcnt(0)
	s_mul_i32 s1, s6, s1
	s_mul_hi_u32 s4, s6, s0
	s_add_i32 s1, s4, s1
	s_mul_i32 s2, s2, s0
	s_add_i32 s4, s1, s2
	v_mul_f32_e32 v1, v3, v1
	s_mul_i32 s2, s6, s0
	s_mov_b64 s[0:1], 0
	v_mov_b32_e32 v3, s4
	v_mov_b32_e32 v4, s17
	;; [unrolled: 1-line block ×3, first 2 shown]
.LBB67_22:                              ; =>This Inner Loop Header: Depth=1
	v_ashrrev_i32_e32 v7, 31, v0
	v_add_co_u32_e32 v6, vcc, s2, v0
	v_addc_co_u32_e32 v7, vcc, v3, v7, vcc
	v_add_u32_e32 v0, s3, v0
	v_cmp_le_i32_e32 vcc, s21, v0
	v_lshlrev_b64 v[6:7], 2, v[6:7]
	s_or_b64 s[0:1], vcc, s[0:1]
	v_add_co_u32_e32 v8, vcc, s16, v6
	v_addc_co_u32_e32 v9, vcc, v4, v7, vcc
	v_add_co_u32_e32 v6, vcc, s18, v6
	v_addc_co_u32_e32 v7, vcc, v5, v7, vcc
	global_store_dword v[8:9], v1, off
	global_store_dword v[6:7], v2, off
	s_andn2_b64 exec, exec, s[0:1]
	s_cbranch_execnz .LBB67_22
.LBB67_23:
	s_endpgm
	.section	.rodata,"a",@progbits
	.p2align	6, 0x0
	.amdhsa_kernel _ZN5aiter20topk_softplus_kernelIf6__halfDv1_fLb1ELi0EEEvPKT_PKT0_PfPimiiif
		.amdhsa_group_segment_fixed_size 0
		.amdhsa_private_segment_fixed_size 0
		.amdhsa_kernarg_size 312
		.amdhsa_user_sgpr_count 6
		.amdhsa_user_sgpr_private_segment_buffer 1
		.amdhsa_user_sgpr_dispatch_ptr 0
		.amdhsa_user_sgpr_queue_ptr 0
		.amdhsa_user_sgpr_kernarg_segment_ptr 1
		.amdhsa_user_sgpr_dispatch_id 0
		.amdhsa_user_sgpr_flat_scratch_init 0
		.amdhsa_user_sgpr_kernarg_preload_length 0
		.amdhsa_user_sgpr_kernarg_preload_offset 0
		.amdhsa_user_sgpr_private_segment_size 0
		.amdhsa_uses_dynamic_stack 0
		.amdhsa_system_sgpr_private_segment_wavefront_offset 0
		.amdhsa_system_sgpr_workgroup_id_x 1
		.amdhsa_system_sgpr_workgroup_id_y 0
		.amdhsa_system_sgpr_workgroup_id_z 0
		.amdhsa_system_sgpr_workgroup_info 0
		.amdhsa_system_vgpr_workitem_id 0
		.amdhsa_next_free_vgpr 17
		.amdhsa_next_free_sgpr 31
		.amdhsa_accum_offset 20
		.amdhsa_reserve_vcc 1
		.amdhsa_reserve_flat_scratch 0
		.amdhsa_float_round_mode_32 0
		.amdhsa_float_round_mode_16_64 0
		.amdhsa_float_denorm_mode_32 3
		.amdhsa_float_denorm_mode_16_64 3
		.amdhsa_dx10_clamp 1
		.amdhsa_ieee_mode 1
		.amdhsa_fp16_overflow 0
		.amdhsa_tg_split 0
		.amdhsa_exception_fp_ieee_invalid_op 0
		.amdhsa_exception_fp_denorm_src 0
		.amdhsa_exception_fp_ieee_div_zero 0
		.amdhsa_exception_fp_ieee_overflow 0
		.amdhsa_exception_fp_ieee_underflow 0
		.amdhsa_exception_fp_ieee_inexact 0
		.amdhsa_exception_int_div_zero 0
	.end_amdhsa_kernel
	.section	.text._ZN5aiter20topk_softplus_kernelIf6__halfDv1_fLb1ELi0EEEvPKT_PKT0_PfPimiiif,"axG",@progbits,_ZN5aiter20topk_softplus_kernelIf6__halfDv1_fLb1ELi0EEEvPKT_PKT0_PfPimiiif,comdat
.Lfunc_end67:
	.size	_ZN5aiter20topk_softplus_kernelIf6__halfDv1_fLb1ELi0EEEvPKT_PKT0_PfPimiiif, .Lfunc_end67-_ZN5aiter20topk_softplus_kernelIf6__halfDv1_fLb1ELi0EEEvPKT_PKT0_PfPimiiif
                                        ; -- End function
	.section	.AMDGPU.csdata,"",@progbits
; Kernel info:
; codeLenInByte = 1672
; NumSgprs: 35
; NumVgprs: 17
; NumAgprs: 0
; TotalNumVgprs: 17
; ScratchSize: 0
; MemoryBound: 0
; FloatMode: 240
; IeeeMode: 1
; LDSByteSize: 0 bytes/workgroup (compile time only)
; SGPRBlocks: 4
; VGPRBlocks: 2
; NumSGPRsForWavesPerEU: 35
; NumVGPRsForWavesPerEU: 17
; AccumOffset: 20
; Occupancy: 8
; WaveLimiterHint : 0
; COMPUTE_PGM_RSRC2:SCRATCH_EN: 0
; COMPUTE_PGM_RSRC2:USER_SGPR: 6
; COMPUTE_PGM_RSRC2:TRAP_HANDLER: 0
; COMPUTE_PGM_RSRC2:TGID_X_EN: 1
; COMPUTE_PGM_RSRC2:TGID_Y_EN: 0
; COMPUTE_PGM_RSRC2:TGID_Z_EN: 0
; COMPUTE_PGM_RSRC2:TIDIG_COMP_CNT: 0
; COMPUTE_PGM_RSRC3_GFX90A:ACCUM_OFFSET: 4
; COMPUTE_PGM_RSRC3_GFX90A:TG_SPLIT: 0
	.section	.text._ZN5aiter20topk_softplus_kernelIf6__halfDv1_fLb0ELi0EEEvPKT_PKT0_PfPimiiif,"axG",@progbits,_ZN5aiter20topk_softplus_kernelIf6__halfDv1_fLb0ELi0EEEvPKT_PKT0_PfPimiiif,comdat
	.protected	_ZN5aiter20topk_softplus_kernelIf6__halfDv1_fLb0ELi0EEEvPKT_PKT0_PfPimiiif ; -- Begin function _ZN5aiter20topk_softplus_kernelIf6__halfDv1_fLb0ELi0EEEvPKT_PKT0_PfPimiiif
	.globl	_ZN5aiter20topk_softplus_kernelIf6__halfDv1_fLb0ELi0EEEvPKT_PKT0_PfPimiiif
	.p2align	8
	.type	_ZN5aiter20topk_softplus_kernelIf6__halfDv1_fLb0ELi0EEEvPKT_PKT0_PfPimiiif,@function
_ZN5aiter20topk_softplus_kernelIf6__halfDv1_fLb0ELi0EEEvPKT_PKT0_PfPimiiif: ; @_ZN5aiter20topk_softplus_kernelIf6__halfDv1_fLb0ELi0EEEvPKT_PKT0_PfPimiiif
; %bb.0:
	s_load_dwordx2 s[20:21], s[4:5], 0x28
	s_load_dwordx8 s[12:19], s[4:5], 0x0
	v_lshl_add_u32 v1, v0, 2, 0
	s_waitcnt lgkmcnt(0)
	s_mul_i32 s2, s6, s20
	s_ashr_i32 s3, s2, 31
	s_lshl_b64 s[2:3], s[2:3], 2
	s_add_u32 s7, s12, s2
	v_cmp_gt_i32_e64 s[0:1], s20, v0
	s_addc_u32 s24, s13, s3
	s_and_saveexec_b64 s[12:13], s[0:1]
	s_cbranch_execz .LBB68_5
; %bb.1:
	s_load_dword s8, s[4:5], 0x44
	s_cmp_lg_u64 s[14:15], 0
	s_cselect_b64 s[2:3], -1, 0
	v_cndmask_b32_e64 v2, 0, 1, s[2:3]
	s_mov_b64 s[22:23], 0
	s_waitcnt lgkmcnt(0)
	s_and_b32 s25, s8, 0xffff
	v_lshl_add_u32 v4, v0, 2, 0
	s_lshl_b32 s26, s25, 2
	v_mov_b32_e32 v5, s24
	s_mov_b32 s27, 0x41a00000
	s_mov_b32 s28, 0xc2fc0000
	v_mov_b32_e32 v6, 0x42800000
	v_mov_b32_e32 v7, 0x1f800000
	s_mov_b32 s29, 0x800000
	v_mov_b32_e32 v8, 0x4f800000
	v_mov_b32_e32 v9, 0x42000000
	s_mov_b32 s30, 0xf800000
	v_mov_b32_e32 v10, 0x260
	v_cmp_ne_u32_e64 s[2:3], 1, v2
	v_mov_b32_e32 v2, v0
	s_branch .LBB68_3
.LBB68_2:                               ;   in Loop: Header=BB68_3 Depth=1
	v_add_u32_e32 v2, s25, v2
	v_cmp_le_i32_e32 vcc, s20, v2
	ds_write_b32 v4, v11
	s_or_b64 s[22:23], vcc, s[22:23]
	v_add_u32_e32 v4, s26, v4
	s_andn2_b64 exec, exec, s[22:23]
	s_cbranch_execz .LBB68_5
.LBB68_3:                               ; =>This Inner Loop Header: Depth=1
	v_ashrrev_i32_e32 v3, 31, v2
	v_lshlrev_b64 v[12:13], 2, v[2:3]
	v_add_co_u32_e32 v12, vcc, s7, v12
	v_addc_co_u32_e32 v13, vcc, v5, v13, vcc
	global_load_dword v11, v[12:13], off
	s_waitcnt vmcnt(0)
	v_mul_f32_e32 v12, 0x3fb8aa3b, v11
	v_cmp_gt_f32_e32 vcc, s28, v12
	v_cndmask_b32_e32 v12, 0, v6, vcc
	v_fmac_f32_e32 v12, 0x3fb8aa3b, v11
	v_exp_f32_e32 v12, v12
	v_cndmask_b32_e32 v13, 1.0, v7, vcc
	v_fma_f32 v12, v12, v13, 1.0
	v_cmp_gt_f32_e32 vcc, s29, v12
	v_cndmask_b32_e32 v13, 1.0, v8, vcc
	v_mul_f32_e32 v12, v12, v13
	v_log_f32_e32 v12, v12
	v_cndmask_b32_e32 v13, 0, v9, vcc
	v_cmp_lt_f32_e32 vcc, s27, v11
	v_sub_f32_e32 v12, v12, v13
	v_mul_f32_e32 v12, 0x3f317218, v12
	v_cndmask_b32_e32 v11, v12, v11, vcc
	v_mul_f32_e32 v12, 0x4f800000, v11
	v_cmp_gt_f32_e64 s[8:9], s30, v11
	v_cndmask_b32_e64 v11, v11, v12, s[8:9]
	v_sqrt_f32_e32 v12, v11
	s_and_b64 vcc, exec, s[2:3]
	v_add_u32_e32 v13, -1, v12
	v_add_u32_e32 v14, 1, v12
	v_fma_f32 v15, -v13, v12, v11
	v_fma_f32 v16, -v14, v12, v11
	v_cmp_ge_f32_e64 s[10:11], 0, v15
	v_cndmask_b32_e64 v12, v12, v13, s[10:11]
	v_cmp_lt_f32_e64 s[10:11], 0, v16
	v_cndmask_b32_e64 v12, v12, v14, s[10:11]
	v_mul_f32_e32 v13, 0x37800000, v12
	v_cndmask_b32_e64 v12, v12, v13, s[8:9]
	v_cmp_class_f32_e64 s[8:9], v11, v10
	v_cndmask_b32_e64 v11, v12, v11, s[8:9]
	s_cbranch_vccnz .LBB68_2
; %bb.4:                                ;   in Loop: Header=BB68_3 Depth=1
	v_lshlrev_b64 v[12:13], 1, v[2:3]
	v_mov_b32_e32 v3, s15
	v_add_co_u32_e32 v12, vcc, s14, v12
	v_addc_co_u32_e32 v13, vcc, v3, v13, vcc
	global_load_ushort v3, v[12:13], off
	s_waitcnt vmcnt(0)
	v_cvt_f32_f16_e32 v3, v3
	v_add_f32_e32 v11, v11, v3
	s_branch .LBB68_2
.LBB68_5:
	s_or_b64 exec, exec, s[12:13]
	v_add_u32_e32 v2, s20, v0
	v_cmp_gt_i32_e32 vcc, s20, v2
	s_and_saveexec_b64 s[10:11], vcc
	s_cbranch_execz .LBB68_10
; %bb.6:
	s_load_dword s8, s[4:5], 0x44
	s_cmp_lg_u64 s[14:15], 0
	s_cselect_b64 s[2:3], -1, 0
	v_cndmask_b32_e64 v3, 0, 1, s[2:3]
	s_mov_b64 s[12:13], 0
	s_waitcnt lgkmcnt(0)
	s_and_b32 s22, s8, 0xffff
	v_lshl_add_u32 v4, v2, 2, 0
	s_lshl_b32 s23, s22, 2
	v_mov_b32_e32 v5, s24
	s_mov_b32 s24, 0x41a00000
	s_mov_b32 s25, 0xc2fc0000
	v_mov_b32_e32 v6, 0x42800000
	v_mov_b32_e32 v7, 0x1f800000
	s_mov_b32 s26, 0x800000
	v_mov_b32_e32 v8, 0x4f800000
	v_mov_b32_e32 v9, 0x42000000
	s_mov_b32 s27, 0xf800000
	v_mov_b32_e32 v10, 0x260
	v_cmp_ne_u32_e64 s[2:3], 1, v3
	s_branch .LBB68_8
.LBB68_7:                               ;   in Loop: Header=BB68_8 Depth=1
	v_add_u32_e32 v2, s22, v2
	v_cmp_le_i32_e32 vcc, s20, v2
	s_or_b64 s[12:13], vcc, s[12:13]
	v_add_u32_e32 v4, s23, v4
	s_andn2_b64 exec, exec, s[12:13]
	s_cbranch_execz .LBB68_10
.LBB68_8:                               ; =>This Inner Loop Header: Depth=1
	v_ashrrev_i32_e32 v3, 31, v2
	v_lshlrev_b64 v[12:13], 2, v[2:3]
	v_add_co_u32_e32 v12, vcc, s7, v12
	v_addc_co_u32_e32 v13, vcc, v5, v13, vcc
	global_load_dword v11, v[12:13], off
	s_waitcnt vmcnt(0)
	v_mul_f32_e32 v12, 0x3fb8aa3b, v11
	v_cmp_gt_f32_e32 vcc, s25, v12
	v_cndmask_b32_e32 v12, 0, v6, vcc
	v_fmac_f32_e32 v12, 0x3fb8aa3b, v11
	v_exp_f32_e32 v12, v12
	v_cndmask_b32_e32 v13, 1.0, v7, vcc
	v_fma_f32 v12, v12, v13, 1.0
	v_cmp_gt_f32_e32 vcc, s26, v12
	v_cndmask_b32_e32 v13, 1.0, v8, vcc
	v_mul_f32_e32 v12, v12, v13
	v_log_f32_e32 v12, v12
	v_cndmask_b32_e32 v13, 0, v9, vcc
	v_cmp_lt_f32_e32 vcc, s24, v11
	v_sub_f32_e32 v12, v12, v13
	v_mul_f32_e32 v12, 0x3f317218, v12
	v_cndmask_b32_e32 v11, v12, v11, vcc
	v_mul_f32_e32 v12, 0x4f800000, v11
	v_cmp_gt_f32_e32 vcc, s27, v11
	v_cndmask_b32_e32 v11, v11, v12, vcc
	v_sqrt_f32_e32 v12, v11
	v_add_u32_e32 v13, -1, v12
	v_add_u32_e32 v14, 1, v12
	v_fma_f32 v15, -v13, v12, v11
	v_fma_f32 v16, -v14, v12, v11
	v_cmp_ge_f32_e64 s[8:9], 0, v15
	v_cndmask_b32_e64 v12, v12, v13, s[8:9]
	v_cmp_lt_f32_e64 s[8:9], 0, v16
	v_cndmask_b32_e64 v12, v12, v14, s[8:9]
	v_mul_f32_e32 v13, 0x37800000, v12
	v_cndmask_b32_e32 v12, v12, v13, vcc
	v_cmp_class_f32_e32 vcc, v11, v10
	v_cndmask_b32_e32 v11, v12, v11, vcc
	s_and_b64 vcc, exec, s[2:3]
	ds_write_b32 v4, v11
	s_cbranch_vccnz .LBB68_7
; %bb.9:                                ;   in Loop: Header=BB68_8 Depth=1
	v_lshlrev_b64 v[12:13], 1, v[2:3]
	v_mov_b32_e32 v3, s15
	v_add_co_u32_e32 v12, vcc, s14, v12
	v_addc_co_u32_e32 v13, vcc, v3, v13, vcc
	global_load_ushort v3, v[12:13], off
	s_waitcnt vmcnt(0)
	v_cvt_f32_f16_e32 v3, v3
	v_add_f32_e32 v3, v11, v3
	ds_write_b32 v4, v3
	s_branch .LBB68_7
.LBB68_10:
	s_or_b64 exec, exec, s[10:11]
	s_cmp_lt_i32 s21, 1
	s_waitcnt lgkmcnt(0)
	s_barrier
	s_cbranch_scc1 .LBB68_19
; %bb.11:
	s_add_u32 s2, s4, 56
	s_addc_u32 s3, s5, 0
	v_mbcnt_lo_u32_b32 v3, -1, 0
	s_cmp_lg_u64 s[14:15], 0
	v_mbcnt_hi_u32_b32 v3, -1, v3
	v_bfrev_b32_e32 v5, 0.5
	s_cselect_b64 s[8:9], -1, 0
	s_mov_b32 s7, 0
	v_mov_b32_e32 v2, 0
	v_mov_b32_e32 v4, 0
	v_lshl_or_b32 v5, v3, 2, v5
	v_mov_b32_e32 v6, 0xff800000
	v_mov_b32_e32 v3, 0
	s_branch .LBB68_13
.LBB68_12:                              ;   in Loop: Header=BB68_13 Depth=1
	s_lshl_b32 s11, s10, 2
	s_add_i32 s11, s11, 0
	v_mov_b32_e32 v7, s11
	ds_write_b32 v7, v6
	v_mov_b32_e32 v7, s10
	v_cmp_eq_u32_e32 vcc, s7, v0
	s_add_i32 s7, s7, 1
	v_cndmask_b32_e32 v2, v2, v7, vcc
	s_cmp_eq_u32 s7, s21
	v_cndmask_b32_e32 v3, v3, v9, vcc
	s_cbranch_scc1 .LBB68_20
.LBB68_13:                              ; =>This Loop Header: Depth=1
                                        ;     Child Loop BB68_15 Depth 2
	v_mov_b32_e32 v7, s7
	v_mov_b32_e32 v8, 0xff800000
	s_and_saveexec_b64 s[10:11], s[0:1]
	s_cbranch_execz .LBB68_17
; %bb.14:                               ;   in Loop: Header=BB68_13 Depth=1
	s_load_dword s22, s[2:3], 0xc
	s_mov_b64 s[12:13], 0
	v_mov_b32_e32 v7, s7
	v_mov_b32_e32 v8, 0xff800000
	;; [unrolled: 1-line block ×3, first 2 shown]
	s_waitcnt lgkmcnt(0)
	s_and_b32 s22, s22, 0xffff
	s_lshl_b32 s23, s22, 2
	v_mov_b32_e32 v10, v0
.LBB68_15:                              ;   Parent Loop BB68_13 Depth=1
                                        ; =>  This Inner Loop Header: Depth=2
	ds_read_b32 v11, v9
	v_add_u32_e32 v9, s23, v9
	s_waitcnt lgkmcnt(0)
	v_cmp_gt_f32_e32 vcc, v11, v8
	v_cndmask_b32_e32 v7, v7, v10, vcc
	v_add_u32_e32 v10, s22, v10
	v_cndmask_b32_e32 v8, v8, v11, vcc
	v_cmp_le_i32_e32 vcc, s20, v10
	s_or_b64 s[12:13], vcc, s[12:13]
	s_andn2_b64 exec, exec, s[12:13]
	s_cbranch_execnz .LBB68_15
; %bb.16:                               ;   in Loop: Header=BB68_13 Depth=1
	s_or_b64 exec, exec, s[12:13]
.LBB68_17:                              ;   in Loop: Header=BB68_13 Depth=1
	s_or_b64 exec, exec, s[10:11]
	;;#ASMSTART
	v_max_f32 v9, v8, v8 quad_perm:[1,0,3,2] row_mask:0xf bank_mask:0xf bound_ctrl:1
	;;#ASMEND
	;;#ASMSTART
	v_max_f32 v10, v9, v9 quad_perm:[2,3,0,1] row_mask:0xf bank_mask:0xf bound_ctrl:1
	;;#ASMEND
	;;#ASMSTART
	v_max_f32 v9, v10, v10 row_half_mirror row_mask:0xf bank_mask:0xf bound_ctrl:1
	;;#ASMEND
	;;#ASMSTART
	v_max_f32 v10, v9, v9 row_mirror row_mask:0xf bank_mask:0xf bound_ctrl:1
	;;#ASMEND
	;;#ASMSTART
	v_max_f32 v9, v10, v10 row_ror:4 row_mask:0xf bank_mask:0xf bound_ctrl:1
	;;#ASMEND
	;;#ASMSTART
	v_max_f32 v10, v9, v9 row_ror:8 row_mask:0xf bank_mask:0xf bound_ctrl:1
	;;#ASMEND
	;;#ASMSTART
	v_max_f32 v9, v10, v10 row_bcast:15 row_mask:0xf bank_mask:0xf bound_ctrl:1
	;;#ASMEND
	;;#ASMSTART
	v_max_f32 v10, v9, v9 row_bcast:31 row_mask:0xf bank_mask:0xf bound_ctrl:1
	;;#ASMEND
	ds_bpermute_b32 v9, v5, v10
	s_waitcnt lgkmcnt(0)
	v_cmp_eq_f32_e32 vcc, v8, v9
	s_ff1_i32_b64 s10, vcc
	s_cmp_lg_u64 vcc, 0
	s_cselect_b32 s10, s10, 0
	s_and_b64 vcc, exec, s[8:9]
	v_readlane_b32 s10, v7, s10
	s_cbranch_vccz .LBB68_12
; %bb.18:                               ;   in Loop: Header=BB68_13 Depth=1
	s_ashr_i32 s11, s10, 31
	s_lshl_b64 s[12:13], s[10:11], 1
	s_add_u32 s12, s14, s12
	s_addc_u32 s13, s15, s13
	global_load_ushort v7, v4, s[12:13]
	s_waitcnt vmcnt(0)
	v_cvt_f32_f16_e32 v7, v7
	v_sub_f32_e32 v9, v9, v7
	s_branch .LBB68_12
.LBB68_19:
	v_mov_b32_e32 v3, 0
	v_mov_b32_e32 v2, 0
.LBB68_20:
	v_cmp_gt_i32_e32 vcc, s21, v0
	s_and_saveexec_b64 s[0:1], vcc
	s_cbranch_execz .LBB68_23
; %bb.21:
	s_load_dword s2, s[4:5], 0x34
	s_load_dwordx2 s[0:1], s[4:5], 0x20
	s_ashr_i32 s3, s6, 31
	s_load_dword s4, s[4:5], 0x44
	v_mov_b32_e32 v4, s17
	s_waitcnt lgkmcnt(0)
	v_mul_f32_e32 v1, s2, v3
	s_mul_i32 s1, s6, s1
	s_mul_hi_u32 s2, s6, s0
	s_add_i32 s1, s2, s1
	s_mul_i32 s3, s3, s0
	s_add_i32 s5, s1, s3
	s_mul_i32 s2, s6, s0
	s_and_b32 s3, s4, 0xffff
	s_mov_b64 s[0:1], 0
	v_mov_b32_e32 v3, s5
	v_mov_b32_e32 v5, s19
.LBB68_22:                              ; =>This Inner Loop Header: Depth=1
	v_ashrrev_i32_e32 v7, 31, v0
	v_add_co_u32_e32 v6, vcc, s2, v0
	v_addc_co_u32_e32 v7, vcc, v3, v7, vcc
	v_add_u32_e32 v0, s3, v0
	v_cmp_le_i32_e32 vcc, s21, v0
	v_lshlrev_b64 v[6:7], 2, v[6:7]
	s_or_b64 s[0:1], vcc, s[0:1]
	v_add_co_u32_e32 v8, vcc, s16, v6
	v_addc_co_u32_e32 v9, vcc, v4, v7, vcc
	v_add_co_u32_e32 v6, vcc, s18, v6
	v_addc_co_u32_e32 v7, vcc, v5, v7, vcc
	global_store_dword v[8:9], v1, off
	global_store_dword v[6:7], v2, off
	s_andn2_b64 exec, exec, s[0:1]
	s_cbranch_execnz .LBB68_22
.LBB68_23:
	s_endpgm
	.section	.rodata,"a",@progbits
	.p2align	6, 0x0
	.amdhsa_kernel _ZN5aiter20topk_softplus_kernelIf6__halfDv1_fLb0ELi0EEEvPKT_PKT0_PfPimiiif
		.amdhsa_group_segment_fixed_size 0
		.amdhsa_private_segment_fixed_size 0
		.amdhsa_kernarg_size 312
		.amdhsa_user_sgpr_count 6
		.amdhsa_user_sgpr_private_segment_buffer 1
		.amdhsa_user_sgpr_dispatch_ptr 0
		.amdhsa_user_sgpr_queue_ptr 0
		.amdhsa_user_sgpr_kernarg_segment_ptr 1
		.amdhsa_user_sgpr_dispatch_id 0
		.amdhsa_user_sgpr_flat_scratch_init 0
		.amdhsa_user_sgpr_kernarg_preload_length 0
		.amdhsa_user_sgpr_kernarg_preload_offset 0
		.amdhsa_user_sgpr_private_segment_size 0
		.amdhsa_uses_dynamic_stack 0
		.amdhsa_system_sgpr_private_segment_wavefront_offset 0
		.amdhsa_system_sgpr_workgroup_id_x 1
		.amdhsa_system_sgpr_workgroup_id_y 0
		.amdhsa_system_sgpr_workgroup_id_z 0
		.amdhsa_system_sgpr_workgroup_info 0
		.amdhsa_system_vgpr_workitem_id 0
		.amdhsa_next_free_vgpr 17
		.amdhsa_next_free_sgpr 31
		.amdhsa_accum_offset 20
		.amdhsa_reserve_vcc 1
		.amdhsa_reserve_flat_scratch 0
		.amdhsa_float_round_mode_32 0
		.amdhsa_float_round_mode_16_64 0
		.amdhsa_float_denorm_mode_32 3
		.amdhsa_float_denorm_mode_16_64 3
		.amdhsa_dx10_clamp 1
		.amdhsa_ieee_mode 1
		.amdhsa_fp16_overflow 0
		.amdhsa_tg_split 0
		.amdhsa_exception_fp_ieee_invalid_op 0
		.amdhsa_exception_fp_denorm_src 0
		.amdhsa_exception_fp_ieee_div_zero 0
		.amdhsa_exception_fp_ieee_overflow 0
		.amdhsa_exception_fp_ieee_underflow 0
		.amdhsa_exception_fp_ieee_inexact 0
		.amdhsa_exception_int_div_zero 0
	.end_amdhsa_kernel
	.section	.text._ZN5aiter20topk_softplus_kernelIf6__halfDv1_fLb0ELi0EEEvPKT_PKT0_PfPimiiif,"axG",@progbits,_ZN5aiter20topk_softplus_kernelIf6__halfDv1_fLb0ELi0EEEvPKT_PKT0_PfPimiiif,comdat
.Lfunc_end68:
	.size	_ZN5aiter20topk_softplus_kernelIf6__halfDv1_fLb0ELi0EEEvPKT_PKT0_PfPimiiif, .Lfunc_end68-_ZN5aiter20topk_softplus_kernelIf6__halfDv1_fLb0ELi0EEEvPKT_PKT0_PfPimiiif
                                        ; -- End function
	.section	.AMDGPU.csdata,"",@progbits
; Kernel info:
; codeLenInByte = 1572
; NumSgprs: 35
; NumVgprs: 17
; NumAgprs: 0
; TotalNumVgprs: 17
; ScratchSize: 0
; MemoryBound: 0
; FloatMode: 240
; IeeeMode: 1
; LDSByteSize: 0 bytes/workgroup (compile time only)
; SGPRBlocks: 4
; VGPRBlocks: 2
; NumSGPRsForWavesPerEU: 35
; NumVGPRsForWavesPerEU: 17
; AccumOffset: 20
; Occupancy: 8
; WaveLimiterHint : 0
; COMPUTE_PGM_RSRC2:SCRATCH_EN: 0
; COMPUTE_PGM_RSRC2:USER_SGPR: 6
; COMPUTE_PGM_RSRC2:TRAP_HANDLER: 0
; COMPUTE_PGM_RSRC2:TGID_X_EN: 1
; COMPUTE_PGM_RSRC2:TGID_Y_EN: 0
; COMPUTE_PGM_RSRC2:TGID_Z_EN: 0
; COMPUTE_PGM_RSRC2:TIDIG_COMP_CNT: 0
; COMPUTE_PGM_RSRC3_GFX90A:ACCUM_OFFSET: 4
; COMPUTE_PGM_RSRC3_GFX90A:TG_SPLIT: 0
	.section	.text._ZN5aiter24topk_softplus_kernel_optIf12hip_bfloat16Li64ELb1ELi1EEEvPKT_PKT0_PfPimiif,"axG",@progbits,_ZN5aiter24topk_softplus_kernel_optIf12hip_bfloat16Li64ELb1ELi1EEEvPKT_PKT0_PfPimiif,comdat
	.protected	_ZN5aiter24topk_softplus_kernel_optIf12hip_bfloat16Li64ELb1ELi1EEEvPKT_PKT0_PfPimiif ; -- Begin function _ZN5aiter24topk_softplus_kernel_optIf12hip_bfloat16Li64ELb1ELi1EEEvPKT_PKT0_PfPimiif
	.globl	_ZN5aiter24topk_softplus_kernel_optIf12hip_bfloat16Li64ELb1ELi1EEEvPKT_PKT0_PfPimiif
	.p2align	8
	.type	_ZN5aiter24topk_softplus_kernel_optIf12hip_bfloat16Li64ELb1ELi1EEEvPKT_PKT0_PfPimiif,@function
_ZN5aiter24topk_softplus_kernel_optIf12hip_bfloat16Li64ELb1ELi1EEEvPKT_PKT0_PfPimiif: ; @_ZN5aiter24topk_softplus_kernel_optIf12hip_bfloat16Li64ELb1ELi1EEEvPKT_PKT0_PfPimiif
; %bb.0:
	s_load_dwordx4 s[0:3], s[4:5], 0x0
	s_lshl_b32 s8, s6, 6
	s_ashr_i32 s9, s8, 31
	s_lshl_b64 s[8:9], s[8:9], 2
	v_lshlrev_b32_e32 v1, 2, v0
	s_waitcnt lgkmcnt(0)
	s_add_u32 s0, s0, s8
	s_addc_u32 s1, s1, s9
	global_load_dword v2, v1, s[0:1]
	s_mov_b32 s0, 0xc2fc0000
	v_mov_b32_e32 v3, 0x42800000
	s_cmp_eq_u64 s[2:3], 0
	s_waitcnt vmcnt(0)
	v_mul_f32_e32 v4, 0xbfb8aa3b, v2
	v_cmp_gt_f32_e32 vcc, s0, v4
	v_cndmask_b32_e32 v3, 0, v3, vcc
	v_fmac_f32_e32 v3, 0xbfb8aa3b, v2
	v_exp_f32_e32 v2, v3
	v_mov_b32_e32 v3, 0x1f800000
	v_cndmask_b32_e32 v3, 1.0, v3, vcc
	v_fma_f32 v2, v2, v3, 1.0
	v_rcp_f32_e32 v4, v2
	v_mov_b32_e32 v2, 0
	v_mov_b32_e32 v5, v4
	s_cbranch_scc1 .LBB69_2
; %bb.1:
	v_lshlrev_b32_e32 v3, 1, v0
	global_load_ushort v3, v3, s[2:3]
	s_waitcnt vmcnt(0)
	v_lshlrev_b32_e32 v3, 16, v3
	v_add_f32_e32 v5, v4, v3
.LBB69_2:
	s_load_dword s2, s[4:5], 0x28
	s_load_dwordx4 s[8:11], s[4:5], 0x10
	s_mov_b32 s3, 0
	v_mov_b32_e32 v6, 0
	v_mov_b32_e32 v3, 0
	s_waitcnt lgkmcnt(0)
	s_cmp_lt_i32 s2, 1
	s_cbranch_scc1 .LBB69_5
; %bb.3:
	v_mbcnt_lo_u32_b32 v2, -1, 0
	v_mbcnt_hi_u32_b32 v2, -1, v2
	v_bfrev_b32_e32 v3, 0.5
	v_mov_b32_e32 v7, 0
	v_mov_b32_e32 v8, 0xff800000
	v_lshl_or_b32 v9, v2, 2, v3
	v_mov_b32_e32 v6, 0
	v_mov_b32_e32 v2, 0
	;; [unrolled: 1-line block ×3, first 2 shown]
.LBB69_4:                               ; =>This Inner Loop Header: Depth=1
	v_cmp_eq_u32_e32 vcc, 0, v7
	v_cndmask_b32_e32 v10, v8, v5, vcc
	;;#ASMSTART
	v_max_f32 v12, v10, v10 quad_perm:[1,0,3,2] row_mask:0xf bank_mask:0xf bound_ctrl:1
	;;#ASMEND
	;;#ASMSTART
	v_max_f32 v13, v12, v12 quad_perm:[2,3,0,1] row_mask:0xf bank_mask:0xf bound_ctrl:1
	;;#ASMEND
	;;#ASMSTART
	v_max_f32 v12, v13, v13 row_half_mirror row_mask:0xf bank_mask:0xf bound_ctrl:1
	;;#ASMEND
	;;#ASMSTART
	v_max_f32 v13, v12, v12 row_mirror row_mask:0xf bank_mask:0xf bound_ctrl:1
	;;#ASMEND
	;;#ASMSTART
	v_max_f32 v12, v13, v13 row_ror:4 row_mask:0xf bank_mask:0xf bound_ctrl:1
	;;#ASMEND
	;;#ASMSTART
	v_max_f32 v13, v12, v12 row_ror:8 row_mask:0xf bank_mask:0xf bound_ctrl:1
	;;#ASMEND
	;;#ASMSTART
	v_max_f32 v12, v13, v13 row_bcast:15 row_mask:0xf bank_mask:0xf bound_ctrl:1
	;;#ASMEND
	;;#ASMSTART
	v_max_f32 v13, v12, v12 row_bcast:31 row_mask:0xf bank_mask:0xf bound_ctrl:1
	;;#ASMEND
	ds_bpermute_b32 v12, v9, v13
	v_cndmask_b32_e32 v11, 0, v0, vcc
	s_waitcnt lgkmcnt(0)
	v_cmp_eq_f32_e64 s[0:1], v10, v12
	s_ff1_i32_b64 s7, s[0:1]
	s_cmp_lg_u64 s[0:1], 0
	s_cselect_b32 s0, s7, 0
	s_nop 0
	v_readlane_b32 s7, v11, s0
	v_cmp_eq_u32_e64 s[0:1], s7, v0
	s_and_b64 vcc, vcc, s[0:1]
	s_and_b32 s12, s7, 63
	v_cndmask_b32_e32 v11, 0, v4, vcc
	v_addc_co_u32_e32 v7, vcc, 0, v7, vcc
	v_readlane_b32 s0, v11, s12
	v_mov_b32_e32 v10, s7
	v_mov_b32_e32 v11, s0
	v_cmp_eq_u32_e32 vcc, s3, v0
	s_add_i32 s3, s3, 1
	v_add_f32_e32 v6, s0, v6
	v_cndmask_b32_e32 v3, v3, v11, vcc
	s_cmp_eq_u32 s2, s3
	v_cndmask_b32_e32 v2, v2, v10, vcc
	s_cbranch_scc0 .LBB69_4
.LBB69_5:
	v_cmp_gt_i32_e32 vcc, s2, v0
	s_and_saveexec_b64 s[0:1], vcc
	s_cbranch_execz .LBB69_7
; %bb.6:
	s_load_dword s2, s[4:5], 0x30
	v_max_f32_e32 v0, v6, v6
	v_max_f32_e32 v0, 0x1e3ce508, v0
	s_waitcnt lgkmcnt(0)
	v_div_scale_f32 v4, s[0:1], v0, v0, s2
	v_rcp_f32_e32 v5, v4
	v_div_scale_f32 v6, vcc, s2, v0, s2
	s_load_dwordx2 s[0:1], s[4:5], 0x20
	v_fma_f32 v7, -v4, v5, 1.0
	v_fmac_f32_e32 v5, v7, v5
	v_mul_f32_e32 v7, v6, v5
	v_fma_f32 v8, -v4, v7, v6
	v_fmac_f32_e32 v7, v8, v5
	v_fma_f32 v4, -v4, v7, v6
	v_div_fmas_f32 v4, v4, v5, v7
	v_div_fixup_f32 v0, v4, v0, s2
	s_ashr_i32 s2, s6, 31
	s_waitcnt lgkmcnt(0)
	s_mul_i32 s1, s6, s1
	s_mul_hi_u32 s3, s6, s0
	s_add_i32 s1, s3, s1
	s_mul_i32 s2, s2, s0
	s_add_i32 s1, s1, s2
	s_mul_i32 s0, s6, s0
	s_lshl_b64 s[0:1], s[0:1], 2
	s_add_u32 s2, s8, s0
	s_addc_u32 s3, s9, s1
	s_add_u32 s0, s10, s0
	v_mul_f32_e32 v0, v3, v0
	s_addc_u32 s1, s11, s1
	global_store_dword v1, v0, s[2:3]
	global_store_dword v1, v2, s[0:1]
.LBB69_7:
	s_endpgm
	.section	.rodata,"a",@progbits
	.p2align	6, 0x0
	.amdhsa_kernel _ZN5aiter24topk_softplus_kernel_optIf12hip_bfloat16Li64ELb1ELi1EEEvPKT_PKT0_PfPimiif
		.amdhsa_group_segment_fixed_size 0
		.amdhsa_private_segment_fixed_size 0
		.amdhsa_kernarg_size 52
		.amdhsa_user_sgpr_count 6
		.amdhsa_user_sgpr_private_segment_buffer 1
		.amdhsa_user_sgpr_dispatch_ptr 0
		.amdhsa_user_sgpr_queue_ptr 0
		.amdhsa_user_sgpr_kernarg_segment_ptr 1
		.amdhsa_user_sgpr_dispatch_id 0
		.amdhsa_user_sgpr_flat_scratch_init 0
		.amdhsa_user_sgpr_kernarg_preload_length 0
		.amdhsa_user_sgpr_kernarg_preload_offset 0
		.amdhsa_user_sgpr_private_segment_size 0
		.amdhsa_uses_dynamic_stack 0
		.amdhsa_system_sgpr_private_segment_wavefront_offset 0
		.amdhsa_system_sgpr_workgroup_id_x 1
		.amdhsa_system_sgpr_workgroup_id_y 0
		.amdhsa_system_sgpr_workgroup_id_z 0
		.amdhsa_system_sgpr_workgroup_info 0
		.amdhsa_system_vgpr_workitem_id 0
		.amdhsa_next_free_vgpr 14
		.amdhsa_next_free_sgpr 13
		.amdhsa_accum_offset 16
		.amdhsa_reserve_vcc 1
		.amdhsa_reserve_flat_scratch 0
		.amdhsa_float_round_mode_32 0
		.amdhsa_float_round_mode_16_64 0
		.amdhsa_float_denorm_mode_32 3
		.amdhsa_float_denorm_mode_16_64 3
		.amdhsa_dx10_clamp 1
		.amdhsa_ieee_mode 1
		.amdhsa_fp16_overflow 0
		.amdhsa_tg_split 0
		.amdhsa_exception_fp_ieee_invalid_op 0
		.amdhsa_exception_fp_denorm_src 0
		.amdhsa_exception_fp_ieee_div_zero 0
		.amdhsa_exception_fp_ieee_overflow 0
		.amdhsa_exception_fp_ieee_underflow 0
		.amdhsa_exception_fp_ieee_inexact 0
		.amdhsa_exception_int_div_zero 0
	.end_amdhsa_kernel
	.section	.text._ZN5aiter24topk_softplus_kernel_optIf12hip_bfloat16Li64ELb1ELi1EEEvPKT_PKT0_PfPimiif,"axG",@progbits,_ZN5aiter24topk_softplus_kernel_optIf12hip_bfloat16Li64ELb1ELi1EEEvPKT_PKT0_PfPimiif,comdat
.Lfunc_end69:
	.size	_ZN5aiter24topk_softplus_kernel_optIf12hip_bfloat16Li64ELb1ELi1EEEvPKT_PKT0_PfPimiif, .Lfunc_end69-_ZN5aiter24topk_softplus_kernel_optIf12hip_bfloat16Li64ELb1ELi1EEEvPKT_PKT0_PfPimiif
                                        ; -- End function
	.section	.AMDGPU.csdata,"",@progbits
; Kernel info:
; codeLenInByte = 628
; NumSgprs: 17
; NumVgprs: 14
; NumAgprs: 0
; TotalNumVgprs: 14
; ScratchSize: 0
; MemoryBound: 0
; FloatMode: 240
; IeeeMode: 1
; LDSByteSize: 0 bytes/workgroup (compile time only)
; SGPRBlocks: 2
; VGPRBlocks: 1
; NumSGPRsForWavesPerEU: 17
; NumVGPRsForWavesPerEU: 14
; AccumOffset: 16
; Occupancy: 8
; WaveLimiterHint : 0
; COMPUTE_PGM_RSRC2:SCRATCH_EN: 0
; COMPUTE_PGM_RSRC2:USER_SGPR: 6
; COMPUTE_PGM_RSRC2:TRAP_HANDLER: 0
; COMPUTE_PGM_RSRC2:TGID_X_EN: 1
; COMPUTE_PGM_RSRC2:TGID_Y_EN: 0
; COMPUTE_PGM_RSRC2:TGID_Z_EN: 0
; COMPUTE_PGM_RSRC2:TIDIG_COMP_CNT: 0
; COMPUTE_PGM_RSRC3_GFX90A:ACCUM_OFFSET: 3
; COMPUTE_PGM_RSRC3_GFX90A:TG_SPLIT: 0
	.section	.text._ZN5aiter24topk_softplus_kernel_optIf12hip_bfloat16Li64ELb0ELi1EEEvPKT_PKT0_PfPimiif,"axG",@progbits,_ZN5aiter24topk_softplus_kernel_optIf12hip_bfloat16Li64ELb0ELi1EEEvPKT_PKT0_PfPimiif,comdat
	.protected	_ZN5aiter24topk_softplus_kernel_optIf12hip_bfloat16Li64ELb0ELi1EEEvPKT_PKT0_PfPimiif ; -- Begin function _ZN5aiter24topk_softplus_kernel_optIf12hip_bfloat16Li64ELb0ELi1EEEvPKT_PKT0_PfPimiif
	.globl	_ZN5aiter24topk_softplus_kernel_optIf12hip_bfloat16Li64ELb0ELi1EEEvPKT_PKT0_PfPimiif
	.p2align	8
	.type	_ZN5aiter24topk_softplus_kernel_optIf12hip_bfloat16Li64ELb0ELi1EEEvPKT_PKT0_PfPimiif,@function
_ZN5aiter24topk_softplus_kernel_optIf12hip_bfloat16Li64ELb0ELi1EEEvPKT_PKT0_PfPimiif: ; @_ZN5aiter24topk_softplus_kernel_optIf12hip_bfloat16Li64ELb0ELi1EEEvPKT_PKT0_PfPimiif
; %bb.0:
	s_load_dwordx4 s[0:3], s[4:5], 0x0
	s_lshl_b32 s8, s6, 6
	s_ashr_i32 s9, s8, 31
	s_lshl_b64 s[8:9], s[8:9], 2
	v_lshlrev_b32_e32 v1, 2, v0
	s_waitcnt lgkmcnt(0)
	s_add_u32 s0, s0, s8
	s_addc_u32 s1, s1, s9
	global_load_dword v2, v1, s[0:1]
	s_mov_b32 s0, 0xc2fc0000
	v_mov_b32_e32 v3, 0x42800000
	s_cmp_eq_u64 s[2:3], 0
	s_waitcnt vmcnt(0)
	v_mul_f32_e32 v4, 0xbfb8aa3b, v2
	v_cmp_gt_f32_e32 vcc, s0, v4
	v_cndmask_b32_e32 v3, 0, v3, vcc
	v_fmac_f32_e32 v3, 0xbfb8aa3b, v2
	v_exp_f32_e32 v2, v3
	v_mov_b32_e32 v3, 0x1f800000
	v_cndmask_b32_e32 v3, 1.0, v3, vcc
	v_fma_f32 v2, v2, v3, 1.0
	v_rcp_f32_e32 v4, v2
	v_mov_b32_e32 v2, 0
	v_mov_b32_e32 v5, v4
	s_cbranch_scc1 .LBB70_2
; %bb.1:
	v_lshlrev_b32_e32 v3, 1, v0
	global_load_ushort v3, v3, s[2:3]
	s_waitcnt vmcnt(0)
	v_lshlrev_b32_e32 v3, 16, v3
	v_add_f32_e32 v5, v4, v3
.LBB70_2:
	s_load_dword s2, s[4:5], 0x28
	s_load_dwordx4 s[8:11], s[4:5], 0x10
	s_waitcnt lgkmcnt(0)
	s_cmp_lt_i32 s2, 1
	s_cbranch_scc1 .LBB70_8
; %bb.3:
	v_mbcnt_lo_u32_b32 v2, -1, 0
	v_mbcnt_hi_u32_b32 v2, -1, v2
	v_bfrev_b32_e32 v8, 0.5
	s_mov_b32 s3, 0
	v_mov_b32_e32 v6, 0
	v_mov_b32_e32 v3, 0
	;; [unrolled: 1-line block ×3, first 2 shown]
	v_lshl_or_b32 v8, v2, 2, v8
	v_mov_b32_e32 v2, 0
.LBB70_4:                               ; =>This Inner Loop Header: Depth=1
	v_cmp_eq_u32_e32 vcc, 0, v6
	v_cndmask_b32_e32 v9, v7, v5, vcc
	;;#ASMSTART
	v_max_f32 v11, v9, v9 quad_perm:[1,0,3,2] row_mask:0xf bank_mask:0xf bound_ctrl:1
	;;#ASMEND
	;;#ASMSTART
	v_max_f32 v12, v11, v11 quad_perm:[2,3,0,1] row_mask:0xf bank_mask:0xf bound_ctrl:1
	;;#ASMEND
	;;#ASMSTART
	v_max_f32 v11, v12, v12 row_half_mirror row_mask:0xf bank_mask:0xf bound_ctrl:1
	;;#ASMEND
	;;#ASMSTART
	v_max_f32 v12, v11, v11 row_mirror row_mask:0xf bank_mask:0xf bound_ctrl:1
	;;#ASMEND
	;;#ASMSTART
	v_max_f32 v11, v12, v12 row_ror:4 row_mask:0xf bank_mask:0xf bound_ctrl:1
	;;#ASMEND
	;;#ASMSTART
	v_max_f32 v12, v11, v11 row_ror:8 row_mask:0xf bank_mask:0xf bound_ctrl:1
	;;#ASMEND
	;;#ASMSTART
	v_max_f32 v11, v12, v12 row_bcast:15 row_mask:0xf bank_mask:0xf bound_ctrl:1
	;;#ASMEND
	;;#ASMSTART
	v_max_f32 v12, v11, v11 row_bcast:31 row_mask:0xf bank_mask:0xf bound_ctrl:1
	;;#ASMEND
	ds_bpermute_b32 v11, v8, v12
	v_cndmask_b32_e32 v10, 0, v0, vcc
	s_waitcnt lgkmcnt(0)
	v_cmp_eq_f32_e64 s[0:1], v9, v11
	s_ff1_i32_b64 s7, s[0:1]
	s_cmp_lg_u64 s[0:1], 0
	s_cselect_b32 s0, s7, 0
	s_nop 0
	v_readlane_b32 s7, v10, s0
	v_cmp_eq_u32_e64 s[0:1], s7, v0
	s_and_b64 vcc, vcc, s[0:1]
	s_and_b32 s12, s7, 63
	v_cndmask_b32_e32 v10, 0, v4, vcc
	v_addc_co_u32_e32 v6, vcc, 0, v6, vcc
	v_readlane_b32 s0, v10, s12
	v_mov_b32_e32 v9, s7
	v_mov_b32_e32 v10, s0
	v_cmp_eq_u32_e32 vcc, s3, v0
	s_add_i32 s3, s3, 1
	v_cndmask_b32_e32 v3, v3, v10, vcc
	s_cmp_eq_u32 s2, s3
	v_cndmask_b32_e32 v2, v2, v9, vcc
	s_cbranch_scc0 .LBB70_4
; %bb.5:
	v_cmp_gt_i32_e32 vcc, s2, v0
	s_and_saveexec_b64 s[0:1], vcc
	s_cbranch_execz .LBB70_7
.LBB70_6:
	s_load_dword s2, s[4:5], 0x30
	s_load_dwordx2 s[0:1], s[4:5], 0x20
	s_ashr_i32 s3, s6, 31
	s_waitcnt lgkmcnt(0)
	v_mul_f32_e32 v0, s2, v3
	s_mul_i32 s1, s6, s1
	s_mul_hi_u32 s2, s6, s0
	s_add_i32 s1, s2, s1
	s_mul_i32 s3, s3, s0
	s_add_i32 s1, s1, s3
	s_mul_i32 s0, s6, s0
	s_lshl_b64 s[0:1], s[0:1], 2
	s_add_u32 s2, s8, s0
	s_addc_u32 s3, s9, s1
	s_add_u32 s0, s10, s0
	s_addc_u32 s1, s11, s1
	global_store_dword v1, v0, s[2:3]
	global_store_dword v1, v2, s[0:1]
.LBB70_7:
	s_endpgm
.LBB70_8:
	v_mov_b32_e32 v3, 0
	v_cmp_gt_i32_e32 vcc, s2, v0
	s_and_saveexec_b64 s[0:1], vcc
	s_cbranch_execnz .LBB70_6
	s_branch .LBB70_7
	.section	.rodata,"a",@progbits
	.p2align	6, 0x0
	.amdhsa_kernel _ZN5aiter24topk_softplus_kernel_optIf12hip_bfloat16Li64ELb0ELi1EEEvPKT_PKT0_PfPimiif
		.amdhsa_group_segment_fixed_size 0
		.amdhsa_private_segment_fixed_size 0
		.amdhsa_kernarg_size 52
		.amdhsa_user_sgpr_count 6
		.amdhsa_user_sgpr_private_segment_buffer 1
		.amdhsa_user_sgpr_dispatch_ptr 0
		.amdhsa_user_sgpr_queue_ptr 0
		.amdhsa_user_sgpr_kernarg_segment_ptr 1
		.amdhsa_user_sgpr_dispatch_id 0
		.amdhsa_user_sgpr_flat_scratch_init 0
		.amdhsa_user_sgpr_kernarg_preload_length 0
		.amdhsa_user_sgpr_kernarg_preload_offset 0
		.amdhsa_user_sgpr_private_segment_size 0
		.amdhsa_uses_dynamic_stack 0
		.amdhsa_system_sgpr_private_segment_wavefront_offset 0
		.amdhsa_system_sgpr_workgroup_id_x 1
		.amdhsa_system_sgpr_workgroup_id_y 0
		.amdhsa_system_sgpr_workgroup_id_z 0
		.amdhsa_system_sgpr_workgroup_info 0
		.amdhsa_system_vgpr_workitem_id 0
		.amdhsa_next_free_vgpr 13
		.amdhsa_next_free_sgpr 13
		.amdhsa_accum_offset 16
		.amdhsa_reserve_vcc 1
		.amdhsa_reserve_flat_scratch 0
		.amdhsa_float_round_mode_32 0
		.amdhsa_float_round_mode_16_64 0
		.amdhsa_float_denorm_mode_32 3
		.amdhsa_float_denorm_mode_16_64 3
		.amdhsa_dx10_clamp 1
		.amdhsa_ieee_mode 1
		.amdhsa_fp16_overflow 0
		.amdhsa_tg_split 0
		.amdhsa_exception_fp_ieee_invalid_op 0
		.amdhsa_exception_fp_denorm_src 0
		.amdhsa_exception_fp_ieee_div_zero 0
		.amdhsa_exception_fp_ieee_overflow 0
		.amdhsa_exception_fp_ieee_underflow 0
		.amdhsa_exception_fp_ieee_inexact 0
		.amdhsa_exception_int_div_zero 0
	.end_amdhsa_kernel
	.section	.text._ZN5aiter24topk_softplus_kernel_optIf12hip_bfloat16Li64ELb0ELi1EEEvPKT_PKT0_PfPimiif,"axG",@progbits,_ZN5aiter24topk_softplus_kernel_optIf12hip_bfloat16Li64ELb0ELi1EEEvPKT_PKT0_PfPimiif,comdat
.Lfunc_end70:
	.size	_ZN5aiter24topk_softplus_kernel_optIf12hip_bfloat16Li64ELb0ELi1EEEvPKT_PKT0_PfPimiif, .Lfunc_end70-_ZN5aiter24topk_softplus_kernel_optIf12hip_bfloat16Li64ELb0ELi1EEEvPKT_PKT0_PfPimiif
                                        ; -- End function
	.section	.AMDGPU.csdata,"",@progbits
; Kernel info:
; codeLenInByte = 544
; NumSgprs: 17
; NumVgprs: 13
; NumAgprs: 0
; TotalNumVgprs: 13
; ScratchSize: 0
; MemoryBound: 0
; FloatMode: 240
; IeeeMode: 1
; LDSByteSize: 0 bytes/workgroup (compile time only)
; SGPRBlocks: 2
; VGPRBlocks: 1
; NumSGPRsForWavesPerEU: 17
; NumVGPRsForWavesPerEU: 13
; AccumOffset: 16
; Occupancy: 8
; WaveLimiterHint : 0
; COMPUTE_PGM_RSRC2:SCRATCH_EN: 0
; COMPUTE_PGM_RSRC2:USER_SGPR: 6
; COMPUTE_PGM_RSRC2:TRAP_HANDLER: 0
; COMPUTE_PGM_RSRC2:TGID_X_EN: 1
; COMPUTE_PGM_RSRC2:TGID_Y_EN: 0
; COMPUTE_PGM_RSRC2:TGID_Z_EN: 0
; COMPUTE_PGM_RSRC2:TIDIG_COMP_CNT: 0
; COMPUTE_PGM_RSRC3_GFX90A:ACCUM_OFFSET: 3
; COMPUTE_PGM_RSRC3_GFX90A:TG_SPLIT: 0
	.section	.text._ZN5aiter24topk_softplus_kernel_optIf12hip_bfloat16Li128ELb1ELi1EEEvPKT_PKT0_PfPimiif,"axG",@progbits,_ZN5aiter24topk_softplus_kernel_optIf12hip_bfloat16Li128ELb1ELi1EEEvPKT_PKT0_PfPimiif,comdat
	.protected	_ZN5aiter24topk_softplus_kernel_optIf12hip_bfloat16Li128ELb1ELi1EEEvPKT_PKT0_PfPimiif ; -- Begin function _ZN5aiter24topk_softplus_kernel_optIf12hip_bfloat16Li128ELb1ELi1EEEvPKT_PKT0_PfPimiif
	.globl	_ZN5aiter24topk_softplus_kernel_optIf12hip_bfloat16Li128ELb1ELi1EEEvPKT_PKT0_PfPimiif
	.p2align	8
	.type	_ZN5aiter24topk_softplus_kernel_optIf12hip_bfloat16Li128ELb1ELi1EEEvPKT_PKT0_PfPimiif,@function
_ZN5aiter24topk_softplus_kernel_optIf12hip_bfloat16Li128ELb1ELi1EEEvPKT_PKT0_PfPimiif: ; @_ZN5aiter24topk_softplus_kernel_optIf12hip_bfloat16Li128ELb1ELi1EEEvPKT_PKT0_PfPimiif
; %bb.0:
	s_load_dwordx4 s[0:3], s[4:5], 0x0
	s_lshl_b32 s8, s6, 7
	s_ashr_i32 s9, s8, 31
	s_lshl_b64 s[8:9], s[8:9], 2
	v_lshlrev_b32_e32 v7, 2, v0
	s_waitcnt lgkmcnt(0)
	s_add_u32 s8, s0, s8
	s_addc_u32 s9, s1, s9
	global_load_dword v2, v7, s[8:9]
	s_mov_b32 s7, 0xc2fc0000
	v_mov_b32_e32 v5, 0x42800000
	v_mov_b32_e32 v8, 0x1f800000
	s_cmp_lg_u64 s[2:3], 0
	s_cselect_b64 s[0:1], -1, 0
	v_lshlrev_b32_e32 v1, 1, v0
	s_waitcnt vmcnt(0)
	v_mul_f32_e32 v3, 0xbfb8aa3b, v2
	v_cmp_gt_f32_e32 vcc, s7, v3
	v_cndmask_b32_e32 v3, 0, v5, vcc
	v_fmac_f32_e32 v3, 0xbfb8aa3b, v2
	v_exp_f32_e32 v2, v3
	v_cndmask_b32_e32 v4, 1.0, v8, vcc
	v_mov_b32_e32 v3, s9
	v_fma_f32 v2, v2, v4, 1.0
	v_rcp_f32_e32 v6, v2
	v_add_co_u32_e32 v2, vcc, s8, v7
	v_addc_co_u32_e32 v3, vcc, 0, v3, vcc
	s_and_b64 vcc, exec, s[0:1]
	v_mov_b32_e32 v4, v6
	s_cbranch_vccz .LBB71_2
; %bb.1:
	global_load_ushort v4, v1, s[2:3]
	s_waitcnt vmcnt(0)
	v_lshlrev_b32_e32 v4, 16, v4
	v_add_f32_e32 v4, v6, v4
.LBB71_2:
	global_load_dword v2, v[2:3], off offset:256
	s_waitcnt vmcnt(0)
	v_mul_f32_e32 v3, 0xbfb8aa3b, v2
	v_cmp_gt_f32_e32 vcc, s7, v3
	v_cndmask_b32_e32 v5, 0, v5, vcc
	v_fmac_f32_e32 v5, 0xbfb8aa3b, v2
	v_exp_f32_e32 v2, v5
	v_cndmask_b32_e32 v3, 1.0, v8, vcc
	s_andn2_b64 vcc, exec, s[0:1]
	v_fma_f32 v2, v2, v3, 1.0
	v_rcp_f32_e32 v11, v2
	v_mov_b32_e32 v5, v11
	s_cbranch_vccnz .LBB71_4
; %bb.3:
	global_load_ushort v1, v1, s[2:3] offset:128
	s_waitcnt vmcnt(0)
	v_lshlrev_b32_e32 v1, 16, v1
	v_add_f32_e32 v5, v11, v1
.LBB71_4:
	s_load_dword s2, s[4:5], 0x28
	s_load_dwordx4 s[8:11], s[4:5], 0x10
	v_mov_b32_e32 v10, 0
	v_mov_b32_e32 v8, 0
	;; [unrolled: 1-line block ×3, first 2 shown]
	s_waitcnt lgkmcnt(0)
	s_cmp_gt_i32 s2, 0
	s_cbranch_scc0 .LBB71_7
; %bb.5:
	v_mbcnt_lo_u32_b32 v8, -1, 0
	v_add_u32_e32 v2, 64, v0
	v_cmp_lt_f32_e32 vcc, v4, v5
	v_mbcnt_hi_u32_b32 v8, -1, v8
	v_bfrev_b32_e32 v9, 0.5
	v_cndmask_b32_e32 v1, v2, v0, vcc
	v_cndmask_b32_e32 v2, v0, v2, vcc
	;; [unrolled: 1-line block ×6, first 2 shown]
	v_mov_b32_e32 v10, 0
	v_mov_b32_e32 v11, 0
	;; [unrolled: 1-line block ×3, first 2 shown]
	v_lshl_or_b32 v13, v8, 2, v9
	v_mov_b32_e32 v14, v0
	s_mov_b32 s3, s2
	v_mov_b32_e32 v8, 0
	v_mov_b32_e32 v9, 0
.LBB71_6:                               ; =>This Inner Loop Header: Depth=1
	v_cmp_eq_u32_e32 vcc, 1, v11
	v_cndmask_b32_e32 v15, v4, v3, vcc
	v_cmp_gt_u32_e64 s[0:1], 2, v11
	v_cndmask_b32_e64 v15, v12, v15, s[0:1]
	;;#ASMSTART
	v_max_f32 v19, v15, v15 quad_perm:[1,0,3,2] row_mask:0xf bank_mask:0xf bound_ctrl:1
	;;#ASMEND
	;;#ASMSTART
	v_max_f32 v20, v19, v19 quad_perm:[2,3,0,1] row_mask:0xf bank_mask:0xf bound_ctrl:1
	;;#ASMEND
	;;#ASMSTART
	v_max_f32 v19, v20, v20 row_half_mirror row_mask:0xf bank_mask:0xf bound_ctrl:1
	;;#ASMEND
	;;#ASMSTART
	v_max_f32 v20, v19, v19 row_mirror row_mask:0xf bank_mask:0xf bound_ctrl:1
	;;#ASMEND
	;;#ASMSTART
	v_max_f32 v19, v20, v20 row_ror:4 row_mask:0xf bank_mask:0xf bound_ctrl:1
	;;#ASMEND
	;;#ASMSTART
	v_max_f32 v20, v19, v19 row_ror:8 row_mask:0xf bank_mask:0xf bound_ctrl:1
	;;#ASMEND
	;;#ASMSTART
	v_max_f32 v19, v20, v20 row_bcast:15 row_mask:0xf bank_mask:0xf bound_ctrl:1
	;;#ASMEND
	;;#ASMSTART
	v_max_f32 v20, v19, v19 row_bcast:31 row_mask:0xf bank_mask:0xf bound_ctrl:1
	;;#ASMEND
	ds_bpermute_b32 v19, v13, v20
	v_cndmask_b32_e32 v16, v2, v1, vcc
	v_cndmask_b32_e32 v17, v6, v5, vcc
	v_cndmask_b32_e64 v18, 0, v16, s[0:1]
	s_waitcnt lgkmcnt(0)
	v_cmp_eq_f32_e32 vcc, v15, v19
	s_ff1_i32_b64 s7, vcc
	s_cmp_lg_u64 vcc, 0
	s_cselect_b32 s7, s7, 0
	v_readlane_b32 s7, v18, s7
	v_cmp_eq_u32_e32 vcc, s7, v16
	s_and_b64 vcc, s[0:1], vcc
	s_and_b32 s12, s7, 63
	v_cndmask_b32_e32 v16, 0, v17, vcc
	v_addc_co_u32_e32 v11, vcc, 0, v11, vcc
	v_readlane_b32 s0, v16, s12
	s_add_i32 s3, s3, -1
	v_mov_b32_e32 v15, s7
	v_mov_b32_e32 v16, s0
	v_cmp_eq_u32_e32 vcc, 0, v14
	s_cmp_eq_u32 s3, 0
	v_add_f32_e32 v10, s0, v10
	v_add_u32_e32 v14, -1, v14
	v_cndmask_b32_e32 v9, v9, v16, vcc
	v_cndmask_b32_e32 v8, v8, v15, vcc
	s_cbranch_scc0 .LBB71_6
.LBB71_7:
	v_cmp_gt_i32_e32 vcc, s2, v0
	s_and_saveexec_b64 s[0:1], vcc
	s_cbranch_execz .LBB71_9
; %bb.8:
	s_load_dword s2, s[4:5], 0x30
	v_max_f32_e32 v0, v10, v10
	v_max_f32_e32 v0, 0x1e3ce508, v0
	s_waitcnt lgkmcnt(0)
	v_div_scale_f32 v1, s[0:1], v0, v0, s2
	v_rcp_f32_e32 v2, v1
	v_div_scale_f32 v3, vcc, s2, v0, s2
	s_load_dwordx2 s[0:1], s[4:5], 0x20
	v_fma_f32 v4, -v1, v2, 1.0
	v_fmac_f32_e32 v2, v4, v2
	v_mul_f32_e32 v4, v3, v2
	v_fma_f32 v5, -v1, v4, v3
	v_fmac_f32_e32 v4, v5, v2
	v_fma_f32 v1, -v1, v4, v3
	v_div_fmas_f32 v1, v1, v2, v4
	v_div_fixup_f32 v0, v1, v0, s2
	s_ashr_i32 s2, s6, 31
	s_waitcnt lgkmcnt(0)
	s_mul_i32 s1, s6, s1
	s_mul_hi_u32 s3, s6, s0
	s_add_i32 s1, s3, s1
	s_mul_i32 s2, s2, s0
	s_add_i32 s1, s1, s2
	s_mul_i32 s0, s6, s0
	s_lshl_b64 s[0:1], s[0:1], 2
	s_add_u32 s2, s8, s0
	s_addc_u32 s3, s9, s1
	s_add_u32 s0, s10, s0
	v_mul_f32_e32 v0, v9, v0
	s_addc_u32 s1, s11, s1
	global_store_dword v7, v0, s[2:3]
	global_store_dword v7, v8, s[0:1]
.LBB71_9:
	s_endpgm
	.section	.rodata,"a",@progbits
	.p2align	6, 0x0
	.amdhsa_kernel _ZN5aiter24topk_softplus_kernel_optIf12hip_bfloat16Li128ELb1ELi1EEEvPKT_PKT0_PfPimiif
		.amdhsa_group_segment_fixed_size 0
		.amdhsa_private_segment_fixed_size 0
		.amdhsa_kernarg_size 52
		.amdhsa_user_sgpr_count 6
		.amdhsa_user_sgpr_private_segment_buffer 1
		.amdhsa_user_sgpr_dispatch_ptr 0
		.amdhsa_user_sgpr_queue_ptr 0
		.amdhsa_user_sgpr_kernarg_segment_ptr 1
		.amdhsa_user_sgpr_dispatch_id 0
		.amdhsa_user_sgpr_flat_scratch_init 0
		.amdhsa_user_sgpr_kernarg_preload_length 0
		.amdhsa_user_sgpr_kernarg_preload_offset 0
		.amdhsa_user_sgpr_private_segment_size 0
		.amdhsa_uses_dynamic_stack 0
		.amdhsa_system_sgpr_private_segment_wavefront_offset 0
		.amdhsa_system_sgpr_workgroup_id_x 1
		.amdhsa_system_sgpr_workgroup_id_y 0
		.amdhsa_system_sgpr_workgroup_id_z 0
		.amdhsa_system_sgpr_workgroup_info 0
		.amdhsa_system_vgpr_workitem_id 0
		.amdhsa_next_free_vgpr 21
		.amdhsa_next_free_sgpr 13
		.amdhsa_accum_offset 24
		.amdhsa_reserve_vcc 1
		.amdhsa_reserve_flat_scratch 0
		.amdhsa_float_round_mode_32 0
		.amdhsa_float_round_mode_16_64 0
		.amdhsa_float_denorm_mode_32 3
		.amdhsa_float_denorm_mode_16_64 3
		.amdhsa_dx10_clamp 1
		.amdhsa_ieee_mode 1
		.amdhsa_fp16_overflow 0
		.amdhsa_tg_split 0
		.amdhsa_exception_fp_ieee_invalid_op 0
		.amdhsa_exception_fp_denorm_src 0
		.amdhsa_exception_fp_ieee_div_zero 0
		.amdhsa_exception_fp_ieee_overflow 0
		.amdhsa_exception_fp_ieee_underflow 0
		.amdhsa_exception_fp_ieee_inexact 0
		.amdhsa_exception_int_div_zero 0
	.end_amdhsa_kernel
	.section	.text._ZN5aiter24topk_softplus_kernel_optIf12hip_bfloat16Li128ELb1ELi1EEEvPKT_PKT0_PfPimiif,"axG",@progbits,_ZN5aiter24topk_softplus_kernel_optIf12hip_bfloat16Li128ELb1ELi1EEEvPKT_PKT0_PfPimiif,comdat
.Lfunc_end71:
	.size	_ZN5aiter24topk_softplus_kernel_optIf12hip_bfloat16Li128ELb1ELi1EEEvPKT_PKT0_PfPimiif, .Lfunc_end71-_ZN5aiter24topk_softplus_kernel_optIf12hip_bfloat16Li128ELb1ELi1EEEvPKT_PKT0_PfPimiif
                                        ; -- End function
	.section	.AMDGPU.csdata,"",@progbits
; Kernel info:
; codeLenInByte = 792
; NumSgprs: 17
; NumVgprs: 21
; NumAgprs: 0
; TotalNumVgprs: 21
; ScratchSize: 0
; MemoryBound: 0
; FloatMode: 240
; IeeeMode: 1
; LDSByteSize: 0 bytes/workgroup (compile time only)
; SGPRBlocks: 2
; VGPRBlocks: 2
; NumSGPRsForWavesPerEU: 17
; NumVGPRsForWavesPerEU: 21
; AccumOffset: 24
; Occupancy: 8
; WaveLimiterHint : 0
; COMPUTE_PGM_RSRC2:SCRATCH_EN: 0
; COMPUTE_PGM_RSRC2:USER_SGPR: 6
; COMPUTE_PGM_RSRC2:TRAP_HANDLER: 0
; COMPUTE_PGM_RSRC2:TGID_X_EN: 1
; COMPUTE_PGM_RSRC2:TGID_Y_EN: 0
; COMPUTE_PGM_RSRC2:TGID_Z_EN: 0
; COMPUTE_PGM_RSRC2:TIDIG_COMP_CNT: 0
; COMPUTE_PGM_RSRC3_GFX90A:ACCUM_OFFSET: 5
; COMPUTE_PGM_RSRC3_GFX90A:TG_SPLIT: 0
	.section	.text._ZN5aiter24topk_softplus_kernel_optIf12hip_bfloat16Li128ELb0ELi1EEEvPKT_PKT0_PfPimiif,"axG",@progbits,_ZN5aiter24topk_softplus_kernel_optIf12hip_bfloat16Li128ELb0ELi1EEEvPKT_PKT0_PfPimiif,comdat
	.protected	_ZN5aiter24topk_softplus_kernel_optIf12hip_bfloat16Li128ELb0ELi1EEEvPKT_PKT0_PfPimiif ; -- Begin function _ZN5aiter24topk_softplus_kernel_optIf12hip_bfloat16Li128ELb0ELi1EEEvPKT_PKT0_PfPimiif
	.globl	_ZN5aiter24topk_softplus_kernel_optIf12hip_bfloat16Li128ELb0ELi1EEEvPKT_PKT0_PfPimiif
	.p2align	8
	.type	_ZN5aiter24topk_softplus_kernel_optIf12hip_bfloat16Li128ELb0ELi1EEEvPKT_PKT0_PfPimiif,@function
_ZN5aiter24topk_softplus_kernel_optIf12hip_bfloat16Li128ELb0ELi1EEEvPKT_PKT0_PfPimiif: ; @_ZN5aiter24topk_softplus_kernel_optIf12hip_bfloat16Li128ELb0ELi1EEEvPKT_PKT0_PfPimiif
; %bb.0:
	s_load_dwordx4 s[0:3], s[4:5], 0x0
	s_lshl_b32 s8, s6, 7
	s_ashr_i32 s9, s8, 31
	s_lshl_b64 s[8:9], s[8:9], 2
	v_lshlrev_b32_e32 v7, 2, v0
	s_waitcnt lgkmcnt(0)
	s_add_u32 s8, s0, s8
	s_addc_u32 s9, s1, s9
	global_load_dword v2, v7, s[8:9]
	s_mov_b32 s7, 0xc2fc0000
	v_mov_b32_e32 v5, 0x42800000
	v_mov_b32_e32 v8, 0x1f800000
	s_cmp_lg_u64 s[2:3], 0
	s_cselect_b64 s[0:1], -1, 0
	v_lshlrev_b32_e32 v1, 1, v0
	s_waitcnt vmcnt(0)
	v_mul_f32_e32 v3, 0xbfb8aa3b, v2
	v_cmp_gt_f32_e32 vcc, s7, v3
	v_cndmask_b32_e32 v3, 0, v5, vcc
	v_fmac_f32_e32 v3, 0xbfb8aa3b, v2
	v_exp_f32_e32 v2, v3
	v_cndmask_b32_e32 v4, 1.0, v8, vcc
	v_mov_b32_e32 v3, s9
	v_fma_f32 v2, v2, v4, 1.0
	v_rcp_f32_e32 v6, v2
	v_add_co_u32_e32 v2, vcc, s8, v7
	v_addc_co_u32_e32 v3, vcc, 0, v3, vcc
	s_and_b64 vcc, exec, s[0:1]
	v_mov_b32_e32 v4, v6
	s_cbranch_vccz .LBB72_2
; %bb.1:
	global_load_ushort v4, v1, s[2:3]
	s_waitcnt vmcnt(0)
	v_lshlrev_b32_e32 v4, 16, v4
	v_add_f32_e32 v4, v6, v4
.LBB72_2:
	global_load_dword v2, v[2:3], off offset:256
	s_waitcnt vmcnt(0)
	v_mul_f32_e32 v3, 0xbfb8aa3b, v2
	v_cmp_gt_f32_e32 vcc, s7, v3
	v_cndmask_b32_e32 v5, 0, v5, vcc
	v_fmac_f32_e32 v5, 0xbfb8aa3b, v2
	v_exp_f32_e32 v2, v5
	v_cndmask_b32_e32 v3, 1.0, v8, vcc
	s_andn2_b64 vcc, exec, s[0:1]
	v_fma_f32 v2, v2, v3, 1.0
	v_rcp_f32_e32 v9, v2
	v_mov_b32_e32 v5, v9
	s_cbranch_vccnz .LBB72_4
; %bb.3:
	global_load_ushort v1, v1, s[2:3] offset:128
	s_waitcnt vmcnt(0)
	v_lshlrev_b32_e32 v1, 16, v1
	v_add_f32_e32 v5, v9, v1
.LBB72_4:
	s_load_dword s2, s[4:5], 0x28
	s_load_dwordx4 s[8:11], s[4:5], 0x10
	v_mov_b32_e32 v8, 0
	s_waitcnt lgkmcnt(0)
	s_cmp_gt_i32 s2, 0
	s_cbranch_scc0 .LBB72_10
; %bb.5:
	v_mbcnt_lo_u32_b32 v8, -1, 0
	v_add_u32_e32 v2, 64, v0
	v_cmp_lt_f32_e32 vcc, v4, v5
	v_mbcnt_hi_u32_b32 v8, -1, v8
	v_bfrev_b32_e32 v12, 0.5
	v_cndmask_b32_e32 v1, v2, v0, vcc
	v_cndmask_b32_e32 v2, v0, v2, vcc
	;; [unrolled: 1-line block ×6, first 2 shown]
	v_mov_b32_e32 v10, 0
	v_mov_b32_e32 v9, 0
	;; [unrolled: 1-line block ×3, first 2 shown]
	v_lshl_or_b32 v12, v8, 2, v12
	v_mov_b32_e32 v13, v0
	s_mov_b32 s3, s2
	v_mov_b32_e32 v8, 0
.LBB72_6:                               ; =>This Inner Loop Header: Depth=1
	v_cmp_eq_u32_e32 vcc, 1, v10
	v_cndmask_b32_e32 v14, v4, v3, vcc
	v_cmp_gt_u32_e64 s[0:1], 2, v10
	v_cndmask_b32_e64 v14, v11, v14, s[0:1]
	;;#ASMSTART
	v_max_f32 v18, v14, v14 quad_perm:[1,0,3,2] row_mask:0xf bank_mask:0xf bound_ctrl:1
	;;#ASMEND
	;;#ASMSTART
	v_max_f32 v19, v18, v18 quad_perm:[2,3,0,1] row_mask:0xf bank_mask:0xf bound_ctrl:1
	;;#ASMEND
	;;#ASMSTART
	v_max_f32 v18, v19, v19 row_half_mirror row_mask:0xf bank_mask:0xf bound_ctrl:1
	;;#ASMEND
	;;#ASMSTART
	v_max_f32 v19, v18, v18 row_mirror row_mask:0xf bank_mask:0xf bound_ctrl:1
	;;#ASMEND
	;;#ASMSTART
	v_max_f32 v18, v19, v19 row_ror:4 row_mask:0xf bank_mask:0xf bound_ctrl:1
	;;#ASMEND
	;;#ASMSTART
	v_max_f32 v19, v18, v18 row_ror:8 row_mask:0xf bank_mask:0xf bound_ctrl:1
	;;#ASMEND
	;;#ASMSTART
	v_max_f32 v18, v19, v19 row_bcast:15 row_mask:0xf bank_mask:0xf bound_ctrl:1
	;;#ASMEND
	;;#ASMSTART
	v_max_f32 v19, v18, v18 row_bcast:31 row_mask:0xf bank_mask:0xf bound_ctrl:1
	;;#ASMEND
	ds_bpermute_b32 v18, v12, v19
	v_cndmask_b32_e32 v15, v2, v1, vcc
	v_cndmask_b32_e32 v16, v6, v5, vcc
	v_cndmask_b32_e64 v17, 0, v15, s[0:1]
	s_waitcnt lgkmcnt(0)
	v_cmp_eq_f32_e32 vcc, v14, v18
	s_ff1_i32_b64 s7, vcc
	s_cmp_lg_u64 vcc, 0
	s_cselect_b32 s7, s7, 0
	v_readlane_b32 s7, v17, s7
	v_cmp_eq_u32_e32 vcc, s7, v15
	s_and_b64 vcc, s[0:1], vcc
	s_and_b32 s12, s7, 63
	v_cndmask_b32_e32 v15, 0, v16, vcc
	v_addc_co_u32_e32 v10, vcc, 0, v10, vcc
	v_readlane_b32 s0, v15, s12
	s_add_i32 s3, s3, -1
	v_mov_b32_e32 v14, s7
	v_mov_b32_e32 v15, s0
	v_cmp_eq_u32_e32 vcc, 0, v13
	s_cmp_eq_u32 s3, 0
	v_add_u32_e32 v13, -1, v13
	v_cndmask_b32_e32 v9, v9, v15, vcc
	v_cndmask_b32_e32 v8, v8, v14, vcc
	s_cbranch_scc0 .LBB72_6
; %bb.7:
	v_cmp_gt_i32_e32 vcc, s2, v0
	s_and_saveexec_b64 s[0:1], vcc
	s_cbranch_execz .LBB72_9
.LBB72_8:
	s_load_dword s2, s[4:5], 0x30
	s_load_dwordx2 s[0:1], s[4:5], 0x20
	s_ashr_i32 s3, s6, 31
	s_waitcnt lgkmcnt(0)
	v_mul_f32_e32 v0, s2, v9
	s_mul_i32 s1, s6, s1
	s_mul_hi_u32 s2, s6, s0
	s_add_i32 s1, s2, s1
	s_mul_i32 s3, s3, s0
	s_add_i32 s1, s1, s3
	s_mul_i32 s0, s6, s0
	s_lshl_b64 s[0:1], s[0:1], 2
	s_add_u32 s2, s8, s0
	s_addc_u32 s3, s9, s1
	s_add_u32 s0, s10, s0
	s_addc_u32 s1, s11, s1
	global_store_dword v7, v0, s[2:3]
	global_store_dword v7, v8, s[0:1]
.LBB72_9:
	s_endpgm
.LBB72_10:
	v_mov_b32_e32 v9, 0
	v_cmp_gt_i32_e32 vcc, s2, v0
	s_and_saveexec_b64 s[0:1], vcc
	s_cbranch_execnz .LBB72_8
	s_branch .LBB72_9
	.section	.rodata,"a",@progbits
	.p2align	6, 0x0
	.amdhsa_kernel _ZN5aiter24topk_softplus_kernel_optIf12hip_bfloat16Li128ELb0ELi1EEEvPKT_PKT0_PfPimiif
		.amdhsa_group_segment_fixed_size 0
		.amdhsa_private_segment_fixed_size 0
		.amdhsa_kernarg_size 52
		.amdhsa_user_sgpr_count 6
		.amdhsa_user_sgpr_private_segment_buffer 1
		.amdhsa_user_sgpr_dispatch_ptr 0
		.amdhsa_user_sgpr_queue_ptr 0
		.amdhsa_user_sgpr_kernarg_segment_ptr 1
		.amdhsa_user_sgpr_dispatch_id 0
		.amdhsa_user_sgpr_flat_scratch_init 0
		.amdhsa_user_sgpr_kernarg_preload_length 0
		.amdhsa_user_sgpr_kernarg_preload_offset 0
		.amdhsa_user_sgpr_private_segment_size 0
		.amdhsa_uses_dynamic_stack 0
		.amdhsa_system_sgpr_private_segment_wavefront_offset 0
		.amdhsa_system_sgpr_workgroup_id_x 1
		.amdhsa_system_sgpr_workgroup_id_y 0
		.amdhsa_system_sgpr_workgroup_id_z 0
		.amdhsa_system_sgpr_workgroup_info 0
		.amdhsa_system_vgpr_workitem_id 0
		.amdhsa_next_free_vgpr 20
		.amdhsa_next_free_sgpr 13
		.amdhsa_accum_offset 20
		.amdhsa_reserve_vcc 1
		.amdhsa_reserve_flat_scratch 0
		.amdhsa_float_round_mode_32 0
		.amdhsa_float_round_mode_16_64 0
		.amdhsa_float_denorm_mode_32 3
		.amdhsa_float_denorm_mode_16_64 3
		.amdhsa_dx10_clamp 1
		.amdhsa_ieee_mode 1
		.amdhsa_fp16_overflow 0
		.amdhsa_tg_split 0
		.amdhsa_exception_fp_ieee_invalid_op 0
		.amdhsa_exception_fp_denorm_src 0
		.amdhsa_exception_fp_ieee_div_zero 0
		.amdhsa_exception_fp_ieee_overflow 0
		.amdhsa_exception_fp_ieee_underflow 0
		.amdhsa_exception_fp_ieee_inexact 0
		.amdhsa_exception_int_div_zero 0
	.end_amdhsa_kernel
	.section	.text._ZN5aiter24topk_softplus_kernel_optIf12hip_bfloat16Li128ELb0ELi1EEEvPKT_PKT0_PfPimiif,"axG",@progbits,_ZN5aiter24topk_softplus_kernel_optIf12hip_bfloat16Li128ELb0ELi1EEEvPKT_PKT0_PfPimiif,comdat
.Lfunc_end72:
	.size	_ZN5aiter24topk_softplus_kernel_optIf12hip_bfloat16Li128ELb0ELi1EEEvPKT_PKT0_PfPimiif, .Lfunc_end72-_ZN5aiter24topk_softplus_kernel_optIf12hip_bfloat16Li128ELb0ELi1EEEvPKT_PKT0_PfPimiif
                                        ; -- End function
	.section	.AMDGPU.csdata,"",@progbits
; Kernel info:
; codeLenInByte = 708
; NumSgprs: 17
; NumVgprs: 20
; NumAgprs: 0
; TotalNumVgprs: 20
; ScratchSize: 0
; MemoryBound: 0
; FloatMode: 240
; IeeeMode: 1
; LDSByteSize: 0 bytes/workgroup (compile time only)
; SGPRBlocks: 2
; VGPRBlocks: 2
; NumSGPRsForWavesPerEU: 17
; NumVGPRsForWavesPerEU: 20
; AccumOffset: 20
; Occupancy: 8
; WaveLimiterHint : 0
; COMPUTE_PGM_RSRC2:SCRATCH_EN: 0
; COMPUTE_PGM_RSRC2:USER_SGPR: 6
; COMPUTE_PGM_RSRC2:TRAP_HANDLER: 0
; COMPUTE_PGM_RSRC2:TGID_X_EN: 1
; COMPUTE_PGM_RSRC2:TGID_Y_EN: 0
; COMPUTE_PGM_RSRC2:TGID_Z_EN: 0
; COMPUTE_PGM_RSRC2:TIDIG_COMP_CNT: 0
; COMPUTE_PGM_RSRC3_GFX90A:ACCUM_OFFSET: 4
; COMPUTE_PGM_RSRC3_GFX90A:TG_SPLIT: 0
	.section	.text._ZN5aiter24topk_softplus_kernel_optIf12hip_bfloat16Li256ELb1ELi1EEEvPKT_PKT0_PfPimiif,"axG",@progbits,_ZN5aiter24topk_softplus_kernel_optIf12hip_bfloat16Li256ELb1ELi1EEEvPKT_PKT0_PfPimiif,comdat
	.protected	_ZN5aiter24topk_softplus_kernel_optIf12hip_bfloat16Li256ELb1ELi1EEEvPKT_PKT0_PfPimiif ; -- Begin function _ZN5aiter24topk_softplus_kernel_optIf12hip_bfloat16Li256ELb1ELi1EEEvPKT_PKT0_PfPimiif
	.globl	_ZN5aiter24topk_softplus_kernel_optIf12hip_bfloat16Li256ELb1ELi1EEEvPKT_PKT0_PfPimiif
	.p2align	8
	.type	_ZN5aiter24topk_softplus_kernel_optIf12hip_bfloat16Li256ELb1ELi1EEEvPKT_PKT0_PfPimiif,@function
_ZN5aiter24topk_softplus_kernel_optIf12hip_bfloat16Li256ELb1ELi1EEEvPKT_PKT0_PfPimiif: ; @_ZN5aiter24topk_softplus_kernel_optIf12hip_bfloat16Li256ELb1ELi1EEEvPKT_PKT0_PfPimiif
; %bb.0:
	s_load_dwordx4 s[0:3], s[4:5], 0x0
	s_lshl_b32 s8, s6, 8
	s_ashr_i32 s9, s8, 31
	s_lshl_b64 s[8:9], s[8:9], 2
	v_lshlrev_b32_e32 v13, 2, v0
	s_waitcnt lgkmcnt(0)
	s_add_u32 s10, s0, s8
	s_addc_u32 s11, s1, s9
	global_load_dword v2, v13, s[10:11]
	s_mov_b32 s0, 0xc2fc0000
	v_mov_b32_e32 v3, 0x42800000
	v_mov_b32_e32 v6, 0x1f800000
	s_cmp_lg_u64 s[2:3], 0
	v_mov_b32_e32 v5, s11
	s_cselect_b64 s[8:9], -1, 0
	v_lshlrev_b32_e32 v1, 1, v0
	s_waitcnt vmcnt(0)
	v_mul_f32_e32 v4, 0xbfb8aa3b, v2
	v_cmp_gt_f32_e32 vcc, s0, v4
	v_cndmask_b32_e32 v4, 0, v3, vcc
	v_fmac_f32_e32 v4, 0xbfb8aa3b, v2
	v_exp_f32_e32 v2, v4
	v_cndmask_b32_e32 v4, 1.0, v6, vcc
	v_fma_f32 v2, v2, v4, 1.0
	v_rcp_f32_e32 v2, v2
	v_add_co_u32_e32 v4, vcc, s10, v13
	v_addc_co_u32_e32 v5, vcc, 0, v5, vcc
	s_and_b64 vcc, exec, s[8:9]
	v_mov_b32_e32 v10, v2
	s_cbranch_vccz .LBB73_2
; %bb.1:
	global_load_ushort v7, v1, s[2:3]
	s_waitcnt vmcnt(0)
	v_lshlrev_b32_e32 v7, 16, v7
	v_add_f32_e32 v10, v2, v7
.LBB73_2:
	global_load_dword v7, v[4:5], off offset:256
	s_waitcnt vmcnt(0)
	v_mul_f32_e32 v8, 0xbfb8aa3b, v7
	v_cmp_gt_f32_e32 vcc, s0, v8
	v_cndmask_b32_e32 v3, 0, v3, vcc
	v_fmac_f32_e32 v3, 0xbfb8aa3b, v7
	v_exp_f32_e32 v3, v3
	v_cndmask_b32_e32 v6, 1.0, v6, vcc
	s_andn2_b64 vcc, exec, s[8:9]
	v_fma_f32 v3, v3, v6, 1.0
	v_rcp_f32_e32 v9, v3
	v_cndmask_b32_e64 v3, 0, 1, s[8:9]
	v_cmp_ne_u32_e64 s[0:1], 1, v3
	v_mov_b32_e32 v12, v9
	s_cbranch_vccnz .LBB73_4
; %bb.3:
	global_load_ushort v3, v1, s[2:3] offset:128
	s_waitcnt vmcnt(0)
	v_lshlrev_b32_e32 v3, 16, v3
	v_add_f32_e32 v12, v9, v3
.LBB73_4:
	global_load_dword v6, v[4:5], off offset:512
	s_mov_b32 s7, 0xc2fc0000
	v_mov_b32_e32 v3, 0x1f800000
	s_waitcnt vmcnt(0)
	v_mul_f32_e32 v7, 0xbfb8aa3b, v6
	v_cmp_gt_f32_e32 vcc, s7, v7
	v_mov_b32_e32 v7, 0x42800000
	v_cndmask_b32_e32 v11, 0, v7, vcc
	v_fmac_f32_e32 v11, 0xbfb8aa3b, v6
	v_exp_f32_e32 v6, v11
	v_cndmask_b32_e32 v8, 1.0, v3, vcc
	s_and_b64 vcc, exec, s[0:1]
	v_fma_f32 v6, v6, v8, 1.0
	v_rcp_f32_e32 v8, v6
	v_mov_b32_e32 v6, v8
	s_cbranch_vccnz .LBB73_6
; %bb.5:
	global_load_ushort v6, v1, s[2:3] offset:256
	s_waitcnt vmcnt(0)
	v_lshlrev_b32_e32 v6, 16, v6
	v_add_f32_e32 v6, v8, v6
.LBB73_6:
	global_load_dword v4, v[4:5], off offset:768
	s_waitcnt vmcnt(0)
	v_mul_f32_e32 v5, 0xbfb8aa3b, v4
	v_cmp_gt_f32_e32 vcc, s7, v5
	v_cndmask_b32_e32 v5, 0, v7, vcc
	v_fmac_f32_e32 v5, 0xbfb8aa3b, v4
	v_exp_f32_e32 v4, v5
	v_cndmask_b32_e32 v3, 1.0, v3, vcc
	s_and_b64 vcc, exec, s[0:1]
	v_fma_f32 v3, v4, v3, 1.0
	v_rcp_f32_e32 v3, v3
	v_mov_b32_e32 v5, v3
	s_cbranch_vccnz .LBB73_8
; %bb.7:
	global_load_ushort v1, v1, s[2:3] offset:384
	s_waitcnt vmcnt(0)
	v_lshlrev_b32_e32 v1, 16, v1
	v_add_f32_e32 v5, v3, v1
.LBB73_8:
	v_add_u32_e32 v4, 64, v0
	v_cmp_lt_f32_e32 vcc, v10, v12
	v_add_u32_e32 v16, 0x80, v0
	v_add_u32_e32 v7, 0xc0, v0
	v_cndmask_b32_e32 v11, v9, v2, vcc
	v_cndmask_b32_e32 v2, v2, v9, vcc
	;; [unrolled: 1-line block ×6, first 2 shown]
	v_cmp_lt_f32_e32 vcc, v6, v5
	v_mov_b32_e32 v12, v6
	s_and_saveexec_b64 s[0:1], vcc
	s_xor_b64 s[0:1], exec, s[0:1]
; %bb.9:
	v_mov_b32_e32 v12, v16
	v_mov_b32_e32 v14, v6
	;; [unrolled: 1-line block ×4, first 2 shown]
	v_swap_b32 v8, v3
	v_swap_b32 v16, v7
	v_mov_b32_e32 v12, v5
	v_mov_b32_e32 v5, v14
; %bb.10:
	s_or_b64 exec, exec, s[0:1]
	v_cmp_lt_f32_e32 vcc, v15, v6
	v_cndmask_b32_e32 v14, v8, v2, vcc
	v_cndmask_b32_e32 v2, v2, v8, vcc
	;; [unrolled: 1-line block ×6, first 2 shown]
	v_cmp_lt_f32_e32 vcc, v9, v5
	v_mov_b32_e32 v15, v9
	s_and_saveexec_b64 s[0:1], vcc
; %bb.11:
	v_mov_b32_e32 v15, v1
	v_mov_b32_e32 v16, v9
	;; [unrolled: 1-line block ×4, first 2 shown]
	v_swap_b32 v11, v3
	v_swap_b32 v1, v7
	v_mov_b32_e32 v15, v5
	v_mov_b32_e32 v5, v16
; %bb.12:
	s_or_b64 exec, exec, s[0:1]
	s_load_dword s2, s[4:5], 0x28
	s_load_dwordx4 s[8:11], s[4:5], 0x10
	v_mov_b32_e32 v16, 0
	s_waitcnt lgkmcnt(0)
	s_cmp_lt_i32 s2, 1
	s_cbranch_scc1 .LBB73_18
; %bb.13:
	v_cmp_lt_f32_e32 vcc, v9, v12
	v_cndmask_b32_e32 v8, v10, v1, vcc
	v_cndmask_b32_e32 v1, v1, v10, vcc
	;; [unrolled: 1-line block ×6, first 2 shown]
	v_mbcnt_lo_u32_b32 v14, -1, 0
	v_mbcnt_hi_u32_b32 v14, -1, v14
	v_bfrev_b32_e32 v15, 0.5
	v_mov_b32_e32 v16, 0
	v_mov_b32_e32 v17, 0
	;; [unrolled: 1-line block ×3, first 2 shown]
	v_lshl_or_b32 v19, v14, 2, v15
	v_mov_b32_e32 v20, v0
	s_mov_b32 s3, s2
	v_mov_b32_e32 v14, 0
	v_mov_b32_e32 v15, 0
.LBB73_14:                              ; =>This Inner Loop Header: Depth=1
	v_cmp_eq_u32_e32 vcc, 1, v17
	v_cndmask_b32_e32 v21, v6, v9, vcc
	v_cmp_eq_u32_e64 s[0:1], 2, v17
	v_cndmask_b32_e64 v21, v21, v10, s[0:1]
	v_cndmask_b32_e32 v22, v4, v1, vcc
	v_cndmask_b32_e32 v23, v2, v11, vcc
	v_cmp_eq_u32_e32 vcc, 3, v17
	v_cndmask_b32_e32 v21, v21, v5, vcc
	v_cndmask_b32_e64 v22, v22, v8, s[0:1]
	v_cndmask_b32_e64 v23, v23, v12, s[0:1]
	v_cmp_gt_u32_e64 s[0:1], 4, v17
	v_cndmask_b32_e64 v21, v18, v21, s[0:1]
	;;#ASMSTART
	v_max_f32 v25, v21, v21 quad_perm:[1,0,3,2] row_mask:0xf bank_mask:0xf bound_ctrl:1
	;;#ASMEND
	;;#ASMSTART
	v_max_f32 v26, v25, v25 quad_perm:[2,3,0,1] row_mask:0xf bank_mask:0xf bound_ctrl:1
	;;#ASMEND
	;;#ASMSTART
	v_max_f32 v25, v26, v26 row_half_mirror row_mask:0xf bank_mask:0xf bound_ctrl:1
	;;#ASMEND
	;;#ASMSTART
	v_max_f32 v26, v25, v25 row_mirror row_mask:0xf bank_mask:0xf bound_ctrl:1
	;;#ASMEND
	;;#ASMSTART
	v_max_f32 v25, v26, v26 row_ror:4 row_mask:0xf bank_mask:0xf bound_ctrl:1
	;;#ASMEND
	;;#ASMSTART
	v_max_f32 v26, v25, v25 row_ror:8 row_mask:0xf bank_mask:0xf bound_ctrl:1
	;;#ASMEND
	;;#ASMSTART
	v_max_f32 v25, v26, v26 row_bcast:15 row_mask:0xf bank_mask:0xf bound_ctrl:1
	;;#ASMEND
	;;#ASMSTART
	v_max_f32 v26, v25, v25 row_bcast:31 row_mask:0xf bank_mask:0xf bound_ctrl:1
	;;#ASMEND
	ds_bpermute_b32 v25, v19, v26
	v_cndmask_b32_e32 v22, v22, v7, vcc
	v_cndmask_b32_e32 v23, v23, v3, vcc
	v_cndmask_b32_e64 v24, 0, v22, s[0:1]
	s_waitcnt lgkmcnt(0)
	v_cmp_eq_f32_e32 vcc, v21, v25
	s_ff1_i32_b64 s7, vcc
	s_cmp_lg_u64 vcc, 0
	s_cselect_b32 s7, s7, 0
	v_readlane_b32 s7, v24, s7
	v_cmp_eq_u32_e32 vcc, s7, v22
	s_and_b64 vcc, s[0:1], vcc
	s_and_b32 s12, s7, 63
	v_cndmask_b32_e32 v22, 0, v23, vcc
	v_addc_co_u32_e32 v17, vcc, 0, v17, vcc
	v_readlane_b32 s0, v22, s12
	s_add_i32 s3, s3, -1
	v_mov_b32_e32 v21, s7
	v_mov_b32_e32 v22, s0
	v_cmp_eq_u32_e32 vcc, 0, v20
	s_cmp_eq_u32 s3, 0
	v_add_f32_e32 v16, s0, v16
	v_add_u32_e32 v20, -1, v20
	v_cndmask_b32_e32 v15, v15, v22, vcc
	v_cndmask_b32_e32 v14, v14, v21, vcc
	s_cbranch_scc0 .LBB73_14
; %bb.15:
	v_cmp_gt_i32_e32 vcc, s2, v0
	s_and_saveexec_b64 s[0:1], vcc
	s_cbranch_execz .LBB73_17
.LBB73_16:
	s_load_dword s2, s[4:5], 0x30
	v_max_f32_e32 v0, v16, v16
	v_max_f32_e32 v0, 0x1e3ce508, v0
	s_waitcnt lgkmcnt(0)
	v_div_scale_f32 v1, s[0:1], v0, v0, s2
	v_rcp_f32_e32 v2, v1
	v_div_scale_f32 v3, vcc, s2, v0, s2
	s_load_dwordx2 s[0:1], s[4:5], 0x20
	v_fma_f32 v4, -v1, v2, 1.0
	v_fmac_f32_e32 v2, v4, v2
	v_mul_f32_e32 v4, v3, v2
	v_fma_f32 v5, -v1, v4, v3
	v_fmac_f32_e32 v4, v5, v2
	v_fma_f32 v1, -v1, v4, v3
	v_div_fmas_f32 v1, v1, v2, v4
	v_div_fixup_f32 v0, v1, v0, s2
	s_ashr_i32 s2, s6, 31
	s_waitcnt lgkmcnt(0)
	s_mul_i32 s1, s6, s1
	s_mul_hi_u32 s3, s6, s0
	s_add_i32 s1, s3, s1
	s_mul_i32 s2, s2, s0
	s_add_i32 s1, s1, s2
	s_mul_i32 s0, s6, s0
	s_lshl_b64 s[0:1], s[0:1], 2
	s_add_u32 s2, s8, s0
	s_addc_u32 s3, s9, s1
	s_add_u32 s0, s10, s0
	v_mul_f32_e32 v0, v15, v0
	s_addc_u32 s1, s11, s1
	global_store_dword v13, v0, s[2:3]
	global_store_dword v13, v14, s[0:1]
.LBB73_17:
	s_endpgm
.LBB73_18:
	v_mov_b32_e32 v14, 0
	v_mov_b32_e32 v15, 0
	v_cmp_gt_i32_e32 vcc, s2, v0
	s_and_saveexec_b64 s[0:1], vcc
	s_cbranch_execnz .LBB73_16
	s_branch .LBB73_17
	.section	.rodata,"a",@progbits
	.p2align	6, 0x0
	.amdhsa_kernel _ZN5aiter24topk_softplus_kernel_optIf12hip_bfloat16Li256ELb1ELi1EEEvPKT_PKT0_PfPimiif
		.amdhsa_group_segment_fixed_size 0
		.amdhsa_private_segment_fixed_size 0
		.amdhsa_kernarg_size 52
		.amdhsa_user_sgpr_count 6
		.amdhsa_user_sgpr_private_segment_buffer 1
		.amdhsa_user_sgpr_dispatch_ptr 0
		.amdhsa_user_sgpr_queue_ptr 0
		.amdhsa_user_sgpr_kernarg_segment_ptr 1
		.amdhsa_user_sgpr_dispatch_id 0
		.amdhsa_user_sgpr_flat_scratch_init 0
		.amdhsa_user_sgpr_kernarg_preload_length 0
		.amdhsa_user_sgpr_kernarg_preload_offset 0
		.amdhsa_user_sgpr_private_segment_size 0
		.amdhsa_uses_dynamic_stack 0
		.amdhsa_system_sgpr_private_segment_wavefront_offset 0
		.amdhsa_system_sgpr_workgroup_id_x 1
		.amdhsa_system_sgpr_workgroup_id_y 0
		.amdhsa_system_sgpr_workgroup_id_z 0
		.amdhsa_system_sgpr_workgroup_info 0
		.amdhsa_system_vgpr_workitem_id 0
		.amdhsa_next_free_vgpr 27
		.amdhsa_next_free_sgpr 13
		.amdhsa_accum_offset 28
		.amdhsa_reserve_vcc 1
		.amdhsa_reserve_flat_scratch 0
		.amdhsa_float_round_mode_32 0
		.amdhsa_float_round_mode_16_64 0
		.amdhsa_float_denorm_mode_32 3
		.amdhsa_float_denorm_mode_16_64 3
		.amdhsa_dx10_clamp 1
		.amdhsa_ieee_mode 1
		.amdhsa_fp16_overflow 0
		.amdhsa_tg_split 0
		.amdhsa_exception_fp_ieee_invalid_op 0
		.amdhsa_exception_fp_denorm_src 0
		.amdhsa_exception_fp_ieee_div_zero 0
		.amdhsa_exception_fp_ieee_overflow 0
		.amdhsa_exception_fp_ieee_underflow 0
		.amdhsa_exception_fp_ieee_inexact 0
		.amdhsa_exception_int_div_zero 0
	.end_amdhsa_kernel
	.section	.text._ZN5aiter24topk_softplus_kernel_optIf12hip_bfloat16Li256ELb1ELi1EEEvPKT_PKT0_PfPimiif,"axG",@progbits,_ZN5aiter24topk_softplus_kernel_optIf12hip_bfloat16Li256ELb1ELi1EEEvPKT_PKT0_PfPimiif,comdat
.Lfunc_end73:
	.size	_ZN5aiter24topk_softplus_kernel_optIf12hip_bfloat16Li256ELb1ELi1EEEvPKT_PKT0_PfPimiif, .Lfunc_end73-_ZN5aiter24topk_softplus_kernel_optIf12hip_bfloat16Li256ELb1ELi1EEEvPKT_PKT0_PfPimiif
                                        ; -- End function
	.section	.AMDGPU.csdata,"",@progbits
; Kernel info:
; codeLenInByte = 1244
; NumSgprs: 17
; NumVgprs: 27
; NumAgprs: 0
; TotalNumVgprs: 27
; ScratchSize: 0
; MemoryBound: 0
; FloatMode: 240
; IeeeMode: 1
; LDSByteSize: 0 bytes/workgroup (compile time only)
; SGPRBlocks: 2
; VGPRBlocks: 3
; NumSGPRsForWavesPerEU: 17
; NumVGPRsForWavesPerEU: 27
; AccumOffset: 28
; Occupancy: 8
; WaveLimiterHint : 0
; COMPUTE_PGM_RSRC2:SCRATCH_EN: 0
; COMPUTE_PGM_RSRC2:USER_SGPR: 6
; COMPUTE_PGM_RSRC2:TRAP_HANDLER: 0
; COMPUTE_PGM_RSRC2:TGID_X_EN: 1
; COMPUTE_PGM_RSRC2:TGID_Y_EN: 0
; COMPUTE_PGM_RSRC2:TGID_Z_EN: 0
; COMPUTE_PGM_RSRC2:TIDIG_COMP_CNT: 0
; COMPUTE_PGM_RSRC3_GFX90A:ACCUM_OFFSET: 6
; COMPUTE_PGM_RSRC3_GFX90A:TG_SPLIT: 0
	.section	.text._ZN5aiter24topk_softplus_kernel_optIf12hip_bfloat16Li256ELb0ELi1EEEvPKT_PKT0_PfPimiif,"axG",@progbits,_ZN5aiter24topk_softplus_kernel_optIf12hip_bfloat16Li256ELb0ELi1EEEvPKT_PKT0_PfPimiif,comdat
	.protected	_ZN5aiter24topk_softplus_kernel_optIf12hip_bfloat16Li256ELb0ELi1EEEvPKT_PKT0_PfPimiif ; -- Begin function _ZN5aiter24topk_softplus_kernel_optIf12hip_bfloat16Li256ELb0ELi1EEEvPKT_PKT0_PfPimiif
	.globl	_ZN5aiter24topk_softplus_kernel_optIf12hip_bfloat16Li256ELb0ELi1EEEvPKT_PKT0_PfPimiif
	.p2align	8
	.type	_ZN5aiter24topk_softplus_kernel_optIf12hip_bfloat16Li256ELb0ELi1EEEvPKT_PKT0_PfPimiif,@function
_ZN5aiter24topk_softplus_kernel_optIf12hip_bfloat16Li256ELb0ELi1EEEvPKT_PKT0_PfPimiif: ; @_ZN5aiter24topk_softplus_kernel_optIf12hip_bfloat16Li256ELb0ELi1EEEvPKT_PKT0_PfPimiif
; %bb.0:
	s_load_dwordx4 s[0:3], s[4:5], 0x0
	s_lshl_b32 s8, s6, 8
	s_ashr_i32 s9, s8, 31
	s_lshl_b64 s[8:9], s[8:9], 2
	v_lshlrev_b32_e32 v13, 2, v0
	s_waitcnt lgkmcnt(0)
	s_add_u32 s10, s0, s8
	s_addc_u32 s11, s1, s9
	global_load_dword v2, v13, s[10:11]
	s_mov_b32 s0, 0xc2fc0000
	v_mov_b32_e32 v3, 0x42800000
	v_mov_b32_e32 v6, 0x1f800000
	s_cmp_lg_u64 s[2:3], 0
	v_mov_b32_e32 v5, s11
	s_cselect_b64 s[8:9], -1, 0
	v_lshlrev_b32_e32 v1, 1, v0
	s_waitcnt vmcnt(0)
	v_mul_f32_e32 v4, 0xbfb8aa3b, v2
	v_cmp_gt_f32_e32 vcc, s0, v4
	v_cndmask_b32_e32 v4, 0, v3, vcc
	v_fmac_f32_e32 v4, 0xbfb8aa3b, v2
	v_exp_f32_e32 v2, v4
	v_cndmask_b32_e32 v4, 1.0, v6, vcc
	v_fma_f32 v2, v2, v4, 1.0
	v_rcp_f32_e32 v2, v2
	v_add_co_u32_e32 v4, vcc, s10, v13
	v_addc_co_u32_e32 v5, vcc, 0, v5, vcc
	s_and_b64 vcc, exec, s[8:9]
	v_mov_b32_e32 v10, v2
	s_cbranch_vccz .LBB74_2
; %bb.1:
	global_load_ushort v7, v1, s[2:3]
	s_waitcnt vmcnt(0)
	v_lshlrev_b32_e32 v7, 16, v7
	v_add_f32_e32 v10, v2, v7
.LBB74_2:
	global_load_dword v7, v[4:5], off offset:256
	s_waitcnt vmcnt(0)
	v_mul_f32_e32 v8, 0xbfb8aa3b, v7
	v_cmp_gt_f32_e32 vcc, s0, v8
	v_cndmask_b32_e32 v3, 0, v3, vcc
	v_fmac_f32_e32 v3, 0xbfb8aa3b, v7
	v_exp_f32_e32 v3, v3
	v_cndmask_b32_e32 v6, 1.0, v6, vcc
	s_andn2_b64 vcc, exec, s[8:9]
	v_fma_f32 v3, v3, v6, 1.0
	v_rcp_f32_e32 v9, v3
	v_cndmask_b32_e64 v3, 0, 1, s[8:9]
	v_cmp_ne_u32_e64 s[0:1], 1, v3
	v_mov_b32_e32 v12, v9
	s_cbranch_vccnz .LBB74_4
; %bb.3:
	global_load_ushort v3, v1, s[2:3] offset:128
	s_waitcnt vmcnt(0)
	v_lshlrev_b32_e32 v3, 16, v3
	v_add_f32_e32 v12, v9, v3
.LBB74_4:
	global_load_dword v6, v[4:5], off offset:512
	s_mov_b32 s7, 0xc2fc0000
	v_mov_b32_e32 v3, 0x1f800000
	s_waitcnt vmcnt(0)
	v_mul_f32_e32 v7, 0xbfb8aa3b, v6
	v_cmp_gt_f32_e32 vcc, s7, v7
	v_mov_b32_e32 v7, 0x42800000
	v_cndmask_b32_e32 v11, 0, v7, vcc
	v_fmac_f32_e32 v11, 0xbfb8aa3b, v6
	v_exp_f32_e32 v6, v11
	v_cndmask_b32_e32 v8, 1.0, v3, vcc
	s_and_b64 vcc, exec, s[0:1]
	v_fma_f32 v6, v6, v8, 1.0
	v_rcp_f32_e32 v8, v6
	v_mov_b32_e32 v6, v8
	s_cbranch_vccnz .LBB74_6
; %bb.5:
	global_load_ushort v6, v1, s[2:3] offset:256
	s_waitcnt vmcnt(0)
	v_lshlrev_b32_e32 v6, 16, v6
	v_add_f32_e32 v6, v8, v6
.LBB74_6:
	global_load_dword v4, v[4:5], off offset:768
	s_waitcnt vmcnt(0)
	v_mul_f32_e32 v5, 0xbfb8aa3b, v4
	v_cmp_gt_f32_e32 vcc, s7, v5
	v_cndmask_b32_e32 v5, 0, v7, vcc
	v_fmac_f32_e32 v5, 0xbfb8aa3b, v4
	v_exp_f32_e32 v4, v5
	v_cndmask_b32_e32 v3, 1.0, v3, vcc
	s_and_b64 vcc, exec, s[0:1]
	v_fma_f32 v3, v4, v3, 1.0
	v_rcp_f32_e32 v3, v3
	v_mov_b32_e32 v5, v3
	s_cbranch_vccnz .LBB74_8
; %bb.7:
	global_load_ushort v1, v1, s[2:3] offset:384
	s_waitcnt vmcnt(0)
	v_lshlrev_b32_e32 v1, 16, v1
	v_add_f32_e32 v5, v3, v1
.LBB74_8:
	v_add_u32_e32 v4, 64, v0
	v_cmp_lt_f32_e32 vcc, v10, v12
	v_add_u32_e32 v16, 0x80, v0
	v_add_u32_e32 v7, 0xc0, v0
	v_cndmask_b32_e32 v11, v9, v2, vcc
	v_cndmask_b32_e32 v2, v2, v9, vcc
	v_cndmask_b32_e32 v1, v4, v0, vcc
	v_cndmask_b32_e32 v4, v0, v4, vcc
	v_cndmask_b32_e32 v9, v12, v10, vcc
	v_cndmask_b32_e32 v15, v10, v12, vcc
	v_cmp_lt_f32_e32 vcc, v6, v5
	v_mov_b32_e32 v12, v6
	s_and_saveexec_b64 s[0:1], vcc
	s_xor_b64 s[0:1], exec, s[0:1]
; %bb.9:
	v_mov_b32_e32 v12, v16
	v_mov_b32_e32 v14, v6
	;; [unrolled: 1-line block ×4, first 2 shown]
	v_swap_b32 v8, v3
	v_swap_b32 v16, v7
	v_mov_b32_e32 v12, v5
	v_mov_b32_e32 v5, v14
; %bb.10:
	s_or_b64 exec, exec, s[0:1]
	v_cmp_lt_f32_e32 vcc, v15, v6
	v_cndmask_b32_e32 v14, v8, v2, vcc
	v_cndmask_b32_e32 v2, v2, v8, vcc
	;; [unrolled: 1-line block ×6, first 2 shown]
	v_cmp_lt_f32_e32 vcc, v9, v5
	v_mov_b32_e32 v15, v9
	s_and_saveexec_b64 s[0:1], vcc
; %bb.11:
	v_mov_b32_e32 v15, v1
	v_mov_b32_e32 v16, v9
	;; [unrolled: 1-line block ×4, first 2 shown]
	v_swap_b32 v11, v3
	v_swap_b32 v1, v7
	v_mov_b32_e32 v15, v5
	v_mov_b32_e32 v5, v16
; %bb.12:
	s_or_b64 exec, exec, s[0:1]
	s_load_dword s2, s[4:5], 0x28
	s_load_dwordx4 s[8:11], s[4:5], 0x10
	s_waitcnt lgkmcnt(0)
	s_cmp_lt_i32 s2, 1
	s_cbranch_scc1 .LBB74_18
; %bb.13:
	v_cmp_lt_f32_e32 vcc, v9, v12
	v_cndmask_b32_e32 v8, v10, v1, vcc
	v_cndmask_b32_e32 v1, v1, v10, vcc
	;; [unrolled: 1-line block ×6, first 2 shown]
	v_mbcnt_lo_u32_b32 v14, -1, 0
	v_mbcnt_hi_u32_b32 v14, -1, v14
	v_bfrev_b32_e32 v18, 0.5
	v_mov_b32_e32 v16, 0
	v_mov_b32_e32 v15, 0
	;; [unrolled: 1-line block ×3, first 2 shown]
	v_lshl_or_b32 v18, v14, 2, v18
	v_mov_b32_e32 v19, v0
	s_mov_b32 s3, s2
	v_mov_b32_e32 v14, 0
.LBB74_14:                              ; =>This Inner Loop Header: Depth=1
	v_cmp_eq_u32_e32 vcc, 1, v16
	v_cndmask_b32_e32 v20, v6, v9, vcc
	v_cmp_eq_u32_e64 s[0:1], 2, v16
	v_cndmask_b32_e64 v20, v20, v10, s[0:1]
	v_cndmask_b32_e32 v21, v4, v1, vcc
	v_cndmask_b32_e32 v22, v2, v11, vcc
	v_cmp_eq_u32_e32 vcc, 3, v16
	v_cndmask_b32_e32 v20, v20, v5, vcc
	v_cndmask_b32_e64 v21, v21, v8, s[0:1]
	v_cndmask_b32_e64 v22, v22, v12, s[0:1]
	v_cmp_gt_u32_e64 s[0:1], 4, v16
	v_cndmask_b32_e64 v20, v17, v20, s[0:1]
	;;#ASMSTART
	v_max_f32 v24, v20, v20 quad_perm:[1,0,3,2] row_mask:0xf bank_mask:0xf bound_ctrl:1
	;;#ASMEND
	;;#ASMSTART
	v_max_f32 v25, v24, v24 quad_perm:[2,3,0,1] row_mask:0xf bank_mask:0xf bound_ctrl:1
	;;#ASMEND
	;;#ASMSTART
	v_max_f32 v24, v25, v25 row_half_mirror row_mask:0xf bank_mask:0xf bound_ctrl:1
	;;#ASMEND
	;;#ASMSTART
	v_max_f32 v25, v24, v24 row_mirror row_mask:0xf bank_mask:0xf bound_ctrl:1
	;;#ASMEND
	;;#ASMSTART
	v_max_f32 v24, v25, v25 row_ror:4 row_mask:0xf bank_mask:0xf bound_ctrl:1
	;;#ASMEND
	;;#ASMSTART
	v_max_f32 v25, v24, v24 row_ror:8 row_mask:0xf bank_mask:0xf bound_ctrl:1
	;;#ASMEND
	;;#ASMSTART
	v_max_f32 v24, v25, v25 row_bcast:15 row_mask:0xf bank_mask:0xf bound_ctrl:1
	;;#ASMEND
	;;#ASMSTART
	v_max_f32 v25, v24, v24 row_bcast:31 row_mask:0xf bank_mask:0xf bound_ctrl:1
	;;#ASMEND
	ds_bpermute_b32 v24, v18, v25
	v_cndmask_b32_e32 v21, v21, v7, vcc
	v_cndmask_b32_e32 v22, v22, v3, vcc
	v_cndmask_b32_e64 v23, 0, v21, s[0:1]
	s_waitcnt lgkmcnt(0)
	v_cmp_eq_f32_e32 vcc, v20, v24
	s_ff1_i32_b64 s7, vcc
	s_cmp_lg_u64 vcc, 0
	s_cselect_b32 s7, s7, 0
	v_readlane_b32 s7, v23, s7
	v_cmp_eq_u32_e32 vcc, s7, v21
	s_and_b64 vcc, s[0:1], vcc
	s_and_b32 s12, s7, 63
	v_cndmask_b32_e32 v21, 0, v22, vcc
	v_addc_co_u32_e32 v16, vcc, 0, v16, vcc
	v_readlane_b32 s0, v21, s12
	s_add_i32 s3, s3, -1
	v_mov_b32_e32 v20, s7
	v_mov_b32_e32 v21, s0
	v_cmp_eq_u32_e32 vcc, 0, v19
	s_cmp_eq_u32 s3, 0
	v_add_u32_e32 v19, -1, v19
	v_cndmask_b32_e32 v15, v15, v21, vcc
	v_cndmask_b32_e32 v14, v14, v20, vcc
	s_cbranch_scc0 .LBB74_14
; %bb.15:
	v_cmp_gt_i32_e32 vcc, s2, v0
	s_and_saveexec_b64 s[0:1], vcc
	s_cbranch_execz .LBB74_17
.LBB74_16:
	s_load_dword s2, s[4:5], 0x30
	s_load_dwordx2 s[0:1], s[4:5], 0x20
	s_ashr_i32 s3, s6, 31
	s_waitcnt lgkmcnt(0)
	v_mul_f32_e32 v0, s2, v15
	s_mul_i32 s1, s6, s1
	s_mul_hi_u32 s2, s6, s0
	s_add_i32 s1, s2, s1
	s_mul_i32 s3, s3, s0
	s_add_i32 s1, s1, s3
	s_mul_i32 s0, s6, s0
	s_lshl_b64 s[0:1], s[0:1], 2
	s_add_u32 s2, s8, s0
	s_addc_u32 s3, s9, s1
	s_add_u32 s0, s10, s0
	s_addc_u32 s1, s11, s1
	global_store_dword v13, v0, s[2:3]
	global_store_dword v13, v14, s[0:1]
.LBB74_17:
	s_endpgm
.LBB74_18:
	v_mov_b32_e32 v14, 0
	v_mov_b32_e32 v15, 0
	v_cmp_gt_i32_e32 vcc, s2, v0
	s_and_saveexec_b64 s[0:1], vcc
	s_cbranch_execnz .LBB74_16
	s_branch .LBB74_17
	.section	.rodata,"a",@progbits
	.p2align	6, 0x0
	.amdhsa_kernel _ZN5aiter24topk_softplus_kernel_optIf12hip_bfloat16Li256ELb0ELi1EEEvPKT_PKT0_PfPimiif
		.amdhsa_group_segment_fixed_size 0
		.amdhsa_private_segment_fixed_size 0
		.amdhsa_kernarg_size 52
		.amdhsa_user_sgpr_count 6
		.amdhsa_user_sgpr_private_segment_buffer 1
		.amdhsa_user_sgpr_dispatch_ptr 0
		.amdhsa_user_sgpr_queue_ptr 0
		.amdhsa_user_sgpr_kernarg_segment_ptr 1
		.amdhsa_user_sgpr_dispatch_id 0
		.amdhsa_user_sgpr_flat_scratch_init 0
		.amdhsa_user_sgpr_kernarg_preload_length 0
		.amdhsa_user_sgpr_kernarg_preload_offset 0
		.amdhsa_user_sgpr_private_segment_size 0
		.amdhsa_uses_dynamic_stack 0
		.amdhsa_system_sgpr_private_segment_wavefront_offset 0
		.amdhsa_system_sgpr_workgroup_id_x 1
		.amdhsa_system_sgpr_workgroup_id_y 0
		.amdhsa_system_sgpr_workgroup_id_z 0
		.amdhsa_system_sgpr_workgroup_info 0
		.amdhsa_system_vgpr_workitem_id 0
		.amdhsa_next_free_vgpr 26
		.amdhsa_next_free_sgpr 13
		.amdhsa_accum_offset 28
		.amdhsa_reserve_vcc 1
		.amdhsa_reserve_flat_scratch 0
		.amdhsa_float_round_mode_32 0
		.amdhsa_float_round_mode_16_64 0
		.amdhsa_float_denorm_mode_32 3
		.amdhsa_float_denorm_mode_16_64 3
		.amdhsa_dx10_clamp 1
		.amdhsa_ieee_mode 1
		.amdhsa_fp16_overflow 0
		.amdhsa_tg_split 0
		.amdhsa_exception_fp_ieee_invalid_op 0
		.amdhsa_exception_fp_denorm_src 0
		.amdhsa_exception_fp_ieee_div_zero 0
		.amdhsa_exception_fp_ieee_overflow 0
		.amdhsa_exception_fp_ieee_underflow 0
		.amdhsa_exception_fp_ieee_inexact 0
		.amdhsa_exception_int_div_zero 0
	.end_amdhsa_kernel
	.section	.text._ZN5aiter24topk_softplus_kernel_optIf12hip_bfloat16Li256ELb0ELi1EEEvPKT_PKT0_PfPimiif,"axG",@progbits,_ZN5aiter24topk_softplus_kernel_optIf12hip_bfloat16Li256ELb0ELi1EEEvPKT_PKT0_PfPimiif,comdat
.Lfunc_end74:
	.size	_ZN5aiter24topk_softplus_kernel_optIf12hip_bfloat16Li256ELb0ELi1EEEvPKT_PKT0_PfPimiif, .Lfunc_end74-_ZN5aiter24topk_softplus_kernel_optIf12hip_bfloat16Li256ELb0ELi1EEEvPKT_PKT0_PfPimiif
                                        ; -- End function
	.section	.AMDGPU.csdata,"",@progbits
; Kernel info:
; codeLenInByte = 1144
; NumSgprs: 17
; NumVgprs: 26
; NumAgprs: 0
; TotalNumVgprs: 26
; ScratchSize: 0
; MemoryBound: 0
; FloatMode: 240
; IeeeMode: 1
; LDSByteSize: 0 bytes/workgroup (compile time only)
; SGPRBlocks: 2
; VGPRBlocks: 3
; NumSGPRsForWavesPerEU: 17
; NumVGPRsForWavesPerEU: 26
; AccumOffset: 28
; Occupancy: 8
; WaveLimiterHint : 0
; COMPUTE_PGM_RSRC2:SCRATCH_EN: 0
; COMPUTE_PGM_RSRC2:USER_SGPR: 6
; COMPUTE_PGM_RSRC2:TRAP_HANDLER: 0
; COMPUTE_PGM_RSRC2:TGID_X_EN: 1
; COMPUTE_PGM_RSRC2:TGID_Y_EN: 0
; COMPUTE_PGM_RSRC2:TGID_Z_EN: 0
; COMPUTE_PGM_RSRC2:TIDIG_COMP_CNT: 0
; COMPUTE_PGM_RSRC3_GFX90A:ACCUM_OFFSET: 6
; COMPUTE_PGM_RSRC3_GFX90A:TG_SPLIT: 0
	.section	.text._ZN5aiter24topk_softplus_kernel_optIf12hip_bfloat16Li384ELb1ELi1EEEvPKT_PKT0_PfPimiif,"axG",@progbits,_ZN5aiter24topk_softplus_kernel_optIf12hip_bfloat16Li384ELb1ELi1EEEvPKT_PKT0_PfPimiif,comdat
	.protected	_ZN5aiter24topk_softplus_kernel_optIf12hip_bfloat16Li384ELb1ELi1EEEvPKT_PKT0_PfPimiif ; -- Begin function _ZN5aiter24topk_softplus_kernel_optIf12hip_bfloat16Li384ELb1ELi1EEEvPKT_PKT0_PfPimiif
	.globl	_ZN5aiter24topk_softplus_kernel_optIf12hip_bfloat16Li384ELb1ELi1EEEvPKT_PKT0_PfPimiif
	.p2align	8
	.type	_ZN5aiter24topk_softplus_kernel_optIf12hip_bfloat16Li384ELb1ELi1EEEvPKT_PKT0_PfPimiif,@function
_ZN5aiter24topk_softplus_kernel_optIf12hip_bfloat16Li384ELb1ELi1EEEvPKT_PKT0_PfPimiif: ; @_ZN5aiter24topk_softplus_kernel_optIf12hip_bfloat16Li384ELb1ELi1EEEvPKT_PKT0_PfPimiif
; %bb.0:
	s_load_dwordx4 s[0:3], s[4:5], 0x0
	s_mul_i32 s8, s6, 0x180
	s_ashr_i32 s9, s8, 31
	s_lshl_b64 s[8:9], s[8:9], 2
	v_lshlrev_b32_e32 v19, 2, v0
	s_waitcnt lgkmcnt(0)
	s_add_u32 s10, s0, s8
	s_addc_u32 s11, s1, s9
	global_load_dword v1, v19, s[10:11]
	s_mov_b32 s0, 0xc2fc0000
	v_mov_b32_e32 v6, 0x42800000
	v_mov_b32_e32 v7, 0x1f800000
	s_cmp_lg_u64 s[2:3], 0
	v_mov_b32_e32 v3, s11
	s_cselect_b64 s[8:9], -1, 0
	v_lshlrev_b32_e32 v4, 1, v0
	s_waitcnt vmcnt(0)
	v_mul_f32_e32 v2, 0xbfb8aa3b, v1
	v_cmp_gt_f32_e32 vcc, s0, v2
	v_cndmask_b32_e32 v2, 0, v6, vcc
	v_fmac_f32_e32 v2, 0xbfb8aa3b, v1
	v_exp_f32_e32 v1, v2
	v_cndmask_b32_e32 v2, 1.0, v7, vcc
	v_fma_f32 v1, v1, v2, 1.0
	v_rcp_f32_e32 v1, v1
	v_add_co_u32_e32 v2, vcc, s10, v19
	v_addc_co_u32_e32 v3, vcc, 0, v3, vcc
	s_and_b64 vcc, exec, s[8:9]
	v_mov_b32_e32 v5, v1
	s_cbranch_vccz .LBB75_2
; %bb.1:
	global_load_ushort v5, v4, s[2:3]
	s_waitcnt vmcnt(0)
	v_lshlrev_b32_e32 v5, 16, v5
	v_add_f32_e32 v5, v1, v5
.LBB75_2:
	global_load_dword v8, v[2:3], off offset:256
	s_waitcnt vmcnt(0)
	v_mul_f32_e32 v9, 0xbfb8aa3b, v8
	v_cmp_gt_f32_e32 vcc, s0, v9
	v_cndmask_b32_e32 v6, 0, v6, vcc
	v_fmac_f32_e32 v6, 0xbfb8aa3b, v8
	v_exp_f32_e32 v6, v6
	v_cndmask_b32_e32 v7, 1.0, v7, vcc
	s_andn2_b64 vcc, exec, s[8:9]
	v_fma_f32 v6, v6, v7, 1.0
	v_rcp_f32_e32 v6, v6
	v_cndmask_b32_e64 v7, 0, 1, s[8:9]
	v_cmp_ne_u32_e64 s[0:1], 1, v7
	v_mov_b32_e32 v7, v6
	s_cbranch_vccnz .LBB75_4
; %bb.3:
	global_load_ushort v7, v4, s[2:3] offset:128
	s_waitcnt vmcnt(0)
	v_lshlrev_b32_e32 v7, 16, v7
	v_add_f32_e32 v7, v6, v7
.LBB75_4:
	global_load_dword v8, v[2:3], off offset:512
	s_mov_b32 s7, 0xc2fc0000
	v_mov_b32_e32 v11, 0x42800000
	v_mov_b32_e32 v10, 0x1f800000
	s_waitcnt vmcnt(0)
	v_mul_f32_e32 v9, 0xbfb8aa3b, v8
	v_cmp_gt_f32_e32 vcc, s7, v9
	v_cndmask_b32_e32 v12, 0, v11, vcc
	v_fmac_f32_e32 v12, 0xbfb8aa3b, v8
	v_exp_f32_e32 v8, v12
	v_cndmask_b32_e32 v9, 1.0, v10, vcc
	s_and_b64 vcc, exec, s[0:1]
	v_fma_f32 v8, v8, v9, 1.0
	v_rcp_f32_e32 v8, v8
	v_mov_b32_e32 v9, v8
	s_cbranch_vccnz .LBB75_6
; %bb.5:
	global_load_ushort v9, v4, s[2:3] offset:256
	s_waitcnt vmcnt(0)
	v_lshlrev_b32_e32 v9, 16, v9
	v_add_f32_e32 v9, v8, v9
.LBB75_6:
	global_load_dword v12, v[2:3], off offset:768
	s_waitcnt vmcnt(0)
	v_mul_f32_e32 v13, 0xbfb8aa3b, v12
	v_cmp_gt_f32_e32 vcc, s7, v13
	v_cndmask_b32_e32 v11, 0, v11, vcc
	v_fmac_f32_e32 v11, 0xbfb8aa3b, v12
	v_exp_f32_e32 v11, v11
	v_cndmask_b32_e32 v10, 1.0, v10, vcc
	s_and_b64 vcc, exec, s[0:1]
	v_fma_f32 v10, v11, v10, 1.0
	v_rcp_f32_e32 v10, v10
	v_mov_b32_e32 v11, v10
	s_cbranch_vccnz .LBB75_8
; %bb.7:
	global_load_ushort v11, v4, s[2:3] offset:384
	s_waitcnt vmcnt(0)
	v_lshlrev_b32_e32 v11, 16, v11
	v_add_f32_e32 v11, v10, v11
.LBB75_8:
	global_load_dword v12, v[2:3], off offset:1024
	v_mov_b32_e32 v15, 0x42800000
	v_mov_b32_e32 v14, 0x1f800000
	s_waitcnt vmcnt(0)
	v_mul_f32_e32 v13, 0xbfb8aa3b, v12
	v_cmp_gt_f32_e32 vcc, s7, v13
	v_cndmask_b32_e32 v16, 0, v15, vcc
	v_fmac_f32_e32 v16, 0xbfb8aa3b, v12
	v_exp_f32_e32 v12, v16
	v_cndmask_b32_e32 v13, 1.0, v14, vcc
	s_and_b64 vcc, exec, s[0:1]
	v_fma_f32 v12, v12, v13, 1.0
	v_rcp_f32_e32 v12, v12
	v_mov_b32_e32 v13, v12
	s_cbranch_vccnz .LBB75_10
; %bb.9:
	global_load_ushort v13, v4, s[2:3] offset:512
	s_waitcnt vmcnt(0)
	v_lshlrev_b32_e32 v13, 16, v13
	v_add_f32_e32 v13, v12, v13
.LBB75_10:
	global_load_dword v2, v[2:3], off offset:1280
	s_waitcnt vmcnt(0)
	v_mul_f32_e32 v3, 0xbfb8aa3b, v2
	v_cmp_gt_f32_e32 vcc, s7, v3
	v_cndmask_b32_e32 v3, 1.0, v14, vcc
	v_cndmask_b32_e32 v14, 0, v15, vcc
	v_fmac_f32_e32 v14, 0xbfb8aa3b, v2
	v_exp_f32_e32 v2, v14
	s_and_b64 vcc, exec, s[0:1]
	v_fma_f32 v2, v2, v3, 1.0
	v_rcp_f32_e32 v2, v2
	v_mov_b32_e32 v3, v2
	s_cbranch_vccnz .LBB75_12
; %bb.11:
	global_load_ushort v3, v4, s[2:3] offset:640
	s_waitcnt vmcnt(0)
	v_lshlrev_b32_e32 v3, 16, v3
	v_add_f32_e32 v3, v2, v3
.LBB75_12:
	v_add_u32_e32 v4, 64, v0
	v_cmp_lt_f32_e32 vcc, v5, v7
	v_add_u32_e32 v14, 0x80, v0
	v_add_u32_e32 v15, 0xc0, v0
	v_cndmask_b32_e32 v18, v6, v1, vcc
	v_cndmask_b32_e32 v1, v1, v6, vcc
	v_cndmask_b32_e32 v6, v4, v0, vcc
	v_cndmask_b32_e32 v4, v0, v4, vcc
	v_cndmask_b32_e32 v20, v7, v5, vcc
	v_cndmask_b32_e32 v5, v5, v7, vcc
	v_cmp_lt_f32_e32 vcc, v9, v11
	v_add_u32_e32 v16, 0x100, v0
	v_add_u32_e32 v17, 0x140, v0
	v_cndmask_b32_e32 v7, v10, v8, vcc
	v_cndmask_b32_e32 v8, v8, v10, vcc
	v_cndmask_b32_e32 v10, v15, v14, vcc
	v_cndmask_b32_e32 v14, v14, v15, vcc
	v_cndmask_b32_e32 v15, v11, v9, vcc
	v_cndmask_b32_e32 v9, v9, v11, vcc
	v_cmp_lt_f32_e32 vcc, v13, v3
	v_cndmask_b32_e32 v11, v2, v12, vcc
	v_cndmask_b32_e32 v2, v12, v2, vcc
	v_cndmask_b32_e32 v12, v17, v16, vcc
	v_cndmask_b32_e32 v16, v16, v17, vcc
	v_cndmask_b32_e32 v17, v3, v13, vcc
	v_cndmask_b32_e32 v3, v13, v3, vcc
	v_cmp_lt_f32_e32 vcc, v5, v9
	;; [unrolled: 7-line block ×7, first 2 shown]
	v_cndmask_b32_e32 v12, v23, v24, vcc
	v_cmp_lt_f32_e64 s[0:1], v26, v21
	v_cndmask_b32_e32 v5, v18, v9, vcc
	v_cndmask_b32_e32 v8, v9, v18, vcc
	v_cndmask_b32_e32 v7, v11, v22, vcc
	v_cndmask_b32_e64 v18, v3, v1, s[0:1]
	v_cndmask_b32_e64 v14, v13, v25, s[0:1]
	;; [unrolled: 1-line block ×3, first 2 shown]
	v_cmp_lt_f32_e64 s[2:3], v16, v12
	v_cndmask_b32_e32 v10, v22, v11, vcc
	v_cndmask_b32_e32 v9, v24, v23, vcc
	v_cndmask_b32_e64 v1, v1, v3, s[0:1]
	v_cndmask_b32_e64 v3, v25, v13, s[0:1]
	;; [unrolled: 1-line block ×3, first 2 shown]
	s_and_saveexec_b64 s[0:1], s[2:3]
	s_xor_b64 s[0:1], exec, s[0:1]
; %bb.13:
	v_mov_b32_e32 v13, v20
	v_mov_b32_e32 v21, v15
	;; [unrolled: 1-line block ×3, first 2 shown]
	v_swap_b32 v16, v12
	v_swap_b32 v20, v8
	;; [unrolled: 1-line block ×3, first 2 shown]
; %bb.14:
	s_or_b64 exec, exec, s[0:1]
	s_load_dword s7, s[4:5], 0x28
	s_load_dwordx4 s[16:19], s[4:5], 0x10
	v_mov_b32_e32 v22, 0
	s_waitcnt lgkmcnt(0)
	s_cmp_lt_i32 s7, 1
	s_cbranch_scc1 .LBB75_20
; %bb.15:
	v_cmp_lt_f32_e32 vcc, v17, v16
	v_cndmask_b32_e32 v13, v15, v14, vcc
	v_cndmask_b32_e32 v14, v14, v15, vcc
	;; [unrolled: 1-line block ×6, first 2 shown]
	v_mbcnt_lo_u32_b32 v20, -1, 0
	v_mbcnt_hi_u32_b32 v20, -1, v20
	v_bfrev_b32_e32 v21, 0.5
	v_mov_b32_e32 v22, 0
	v_mov_b32_e32 v23, 0
	;; [unrolled: 1-line block ×3, first 2 shown]
	v_lshl_or_b32 v25, v20, 2, v21
	v_mov_b32_e32 v26, v0
	s_mov_b32 s20, s7
	v_mov_b32_e32 v20, 0
	v_mov_b32_e32 v21, 0
.LBB75_16:                              ; =>This Inner Loop Header: Depth=1
	v_cmp_eq_u32_e32 vcc, 1, v23
	v_cndmask_b32_e32 v27, v6, v11, vcc
	v_cmp_eq_u32_e64 s[0:1], 2, v23
	v_cndmask_b32_e64 v27, v27, v16, s[0:1]
	v_cmp_eq_u32_e64 s[2:3], 3, v23
	v_cndmask_b32_e64 v27, v27, v15, s[2:3]
	;; [unrolled: 2-line block ×4, first 2 shown]
	v_cmp_gt_u32_e64 s[12:13], 6, v23
	v_cndmask_b32_e64 v27, v24, v27, s[12:13]
	;;#ASMSTART
	v_max_f32 v28, v27, v27 quad_perm:[1,0,3,2] row_mask:0xf bank_mask:0xf bound_ctrl:1
	;;#ASMEND
	;;#ASMSTART
	v_max_f32 v29, v28, v28 quad_perm:[2,3,0,1] row_mask:0xf bank_mask:0xf bound_ctrl:1
	;;#ASMEND
	;;#ASMSTART
	v_max_f32 v28, v29, v29 row_half_mirror row_mask:0xf bank_mask:0xf bound_ctrl:1
	;;#ASMEND
	;;#ASMSTART
	v_max_f32 v29, v28, v28 row_mirror row_mask:0xf bank_mask:0xf bound_ctrl:1
	;;#ASMEND
	;;#ASMSTART
	v_max_f32 v28, v29, v29 row_ror:4 row_mask:0xf bank_mask:0xf bound_ctrl:1
	;;#ASMEND
	;;#ASMSTART
	v_max_f32 v29, v28, v28 row_ror:8 row_mask:0xf bank_mask:0xf bound_ctrl:1
	;;#ASMEND
	;;#ASMSTART
	v_max_f32 v28, v29, v29 row_bcast:15 row_mask:0xf bank_mask:0xf bound_ctrl:1
	;;#ASMEND
	;;#ASMSTART
	v_max_f32 v29, v28, v28 row_bcast:31 row_mask:0xf bank_mask:0xf bound_ctrl:1
	;;#ASMEND
	ds_bpermute_b32 v28, v25, v29
	s_waitcnt lgkmcnt(0)
	v_cmp_eq_f32_e64 s[14:15], v27, v28
	v_cndmask_b32_e32 v27, v4, v3, vcc
	v_cndmask_b32_e64 v27, v27, v14, s[0:1]
	v_cndmask_b32_e64 v27, v27, v13, s[2:3]
	;; [unrolled: 1-line block ×4, first 2 shown]
	s_ff1_i32_b64 s21, s[14:15]
	s_cmp_lg_u64 s[14:15], 0
	s_cselect_b32 s14, s21, 0
	v_cndmask_b32_e64 v28, 0, v27, s[12:13]
	v_readlane_b32 s21, v28, s14
	v_cmp_eq_u32_e64 s[14:15], s21, v27
	v_cndmask_b32_e32 v27, v2, v1, vcc
	v_cndmask_b32_e64 v27, v27, v18, s[0:1]
	v_cndmask_b32_e64 v27, v27, v17, s[2:3]
	;; [unrolled: 1-line block ×4, first 2 shown]
	s_and_b64 vcc, s[12:13], s[14:15]
	s_and_b32 s0, s21, 63
	v_cndmask_b32_e32 v27, 0, v27, vcc
	v_readlane_b32 s2, v27, s0
	v_mov_b32_e32 v27, s2
	v_cmp_eq_u32_e64 s[0:1], 0, v26
	v_cndmask_b32_e64 v21, v21, v27, s[0:1]
	v_mov_b32_e32 v27, s21
	s_add_i32 s20, s20, -1
	v_cndmask_b32_e64 v20, v20, v27, s[0:1]
	v_addc_co_u32_e32 v23, vcc, 0, v23, vcc
	s_cmp_eq_u32 s20, 0
	v_add_f32_e32 v22, s2, v22
	v_add_u32_e32 v26, -1, v26
	s_cbranch_scc0 .LBB75_16
; %bb.17:
	v_cmp_gt_i32_e32 vcc, s7, v0
	s_and_saveexec_b64 s[0:1], vcc
	s_cbranch_execz .LBB75_19
.LBB75_18:
	s_load_dword s2, s[4:5], 0x30
	v_max_f32_e32 v0, v22, v22
	v_max_f32_e32 v0, 0x1e3ce508, v0
	s_waitcnt lgkmcnt(0)
	v_div_scale_f32 v1, s[0:1], v0, v0, s2
	v_rcp_f32_e32 v2, v1
	v_div_scale_f32 v3, vcc, s2, v0, s2
	s_load_dwordx2 s[0:1], s[4:5], 0x20
	v_fma_f32 v4, -v1, v2, 1.0
	v_fmac_f32_e32 v2, v4, v2
	v_mul_f32_e32 v4, v3, v2
	v_fma_f32 v5, -v1, v4, v3
	v_fmac_f32_e32 v4, v5, v2
	v_fma_f32 v1, -v1, v4, v3
	v_div_fmas_f32 v1, v1, v2, v4
	v_div_fixup_f32 v0, v1, v0, s2
	s_ashr_i32 s2, s6, 31
	s_waitcnt lgkmcnt(0)
	s_mul_i32 s1, s6, s1
	s_mul_hi_u32 s3, s6, s0
	s_add_i32 s1, s3, s1
	s_mul_i32 s2, s2, s0
	s_add_i32 s1, s1, s2
	s_mul_i32 s0, s6, s0
	s_lshl_b64 s[0:1], s[0:1], 2
	s_add_u32 s2, s16, s0
	s_addc_u32 s3, s17, s1
	s_add_u32 s0, s18, s0
	v_mul_f32_e32 v0, v21, v0
	s_addc_u32 s1, s19, s1
	global_store_dword v19, v0, s[2:3]
	global_store_dword v19, v20, s[0:1]
.LBB75_19:
	s_endpgm
.LBB75_20:
	v_mov_b32_e32 v20, 0
	v_mov_b32_e32 v21, 0
	v_cmp_gt_i32_e32 vcc, s7, v0
	s_and_saveexec_b64 s[0:1], vcc
	s_cbranch_execnz .LBB75_18
	s_branch .LBB75_19
	.section	.rodata,"a",@progbits
	.p2align	6, 0x0
	.amdhsa_kernel _ZN5aiter24topk_softplus_kernel_optIf12hip_bfloat16Li384ELb1ELi1EEEvPKT_PKT0_PfPimiif
		.amdhsa_group_segment_fixed_size 0
		.amdhsa_private_segment_fixed_size 0
		.amdhsa_kernarg_size 52
		.amdhsa_user_sgpr_count 6
		.amdhsa_user_sgpr_private_segment_buffer 1
		.amdhsa_user_sgpr_dispatch_ptr 0
		.amdhsa_user_sgpr_queue_ptr 0
		.amdhsa_user_sgpr_kernarg_segment_ptr 1
		.amdhsa_user_sgpr_dispatch_id 0
		.amdhsa_user_sgpr_flat_scratch_init 0
		.amdhsa_user_sgpr_kernarg_preload_length 0
		.amdhsa_user_sgpr_kernarg_preload_offset 0
		.amdhsa_user_sgpr_private_segment_size 0
		.amdhsa_uses_dynamic_stack 0
		.amdhsa_system_sgpr_private_segment_wavefront_offset 0
		.amdhsa_system_sgpr_workgroup_id_x 1
		.amdhsa_system_sgpr_workgroup_id_y 0
		.amdhsa_system_sgpr_workgroup_id_z 0
		.amdhsa_system_sgpr_workgroup_info 0
		.amdhsa_system_vgpr_workitem_id 0
		.amdhsa_next_free_vgpr 30
		.amdhsa_next_free_sgpr 22
		.amdhsa_accum_offset 32
		.amdhsa_reserve_vcc 1
		.amdhsa_reserve_flat_scratch 0
		.amdhsa_float_round_mode_32 0
		.amdhsa_float_round_mode_16_64 0
		.amdhsa_float_denorm_mode_32 3
		.amdhsa_float_denorm_mode_16_64 3
		.amdhsa_dx10_clamp 1
		.amdhsa_ieee_mode 1
		.amdhsa_fp16_overflow 0
		.amdhsa_tg_split 0
		.amdhsa_exception_fp_ieee_invalid_op 0
		.amdhsa_exception_fp_denorm_src 0
		.amdhsa_exception_fp_ieee_div_zero 0
		.amdhsa_exception_fp_ieee_overflow 0
		.amdhsa_exception_fp_ieee_underflow 0
		.amdhsa_exception_fp_ieee_inexact 0
		.amdhsa_exception_int_div_zero 0
	.end_amdhsa_kernel
	.section	.text._ZN5aiter24topk_softplus_kernel_optIf12hip_bfloat16Li384ELb1ELi1EEEvPKT_PKT0_PfPimiif,"axG",@progbits,_ZN5aiter24topk_softplus_kernel_optIf12hip_bfloat16Li384ELb1ELi1EEEvPKT_PKT0_PfPimiif,comdat
.Lfunc_end75:
	.size	_ZN5aiter24topk_softplus_kernel_optIf12hip_bfloat16Li384ELb1ELi1EEEvPKT_PKT0_PfPimiif, .Lfunc_end75-_ZN5aiter24topk_softplus_kernel_optIf12hip_bfloat16Li384ELb1ELi1EEEvPKT_PKT0_PfPimiif
                                        ; -- End function
	.section	.AMDGPU.csdata,"",@progbits
; Kernel info:
; codeLenInByte = 1752
; NumSgprs: 26
; NumVgprs: 30
; NumAgprs: 0
; TotalNumVgprs: 30
; ScratchSize: 0
; MemoryBound: 0
; FloatMode: 240
; IeeeMode: 1
; LDSByteSize: 0 bytes/workgroup (compile time only)
; SGPRBlocks: 3
; VGPRBlocks: 3
; NumSGPRsForWavesPerEU: 26
; NumVGPRsForWavesPerEU: 30
; AccumOffset: 32
; Occupancy: 8
; WaveLimiterHint : 0
; COMPUTE_PGM_RSRC2:SCRATCH_EN: 0
; COMPUTE_PGM_RSRC2:USER_SGPR: 6
; COMPUTE_PGM_RSRC2:TRAP_HANDLER: 0
; COMPUTE_PGM_RSRC2:TGID_X_EN: 1
; COMPUTE_PGM_RSRC2:TGID_Y_EN: 0
; COMPUTE_PGM_RSRC2:TGID_Z_EN: 0
; COMPUTE_PGM_RSRC2:TIDIG_COMP_CNT: 0
; COMPUTE_PGM_RSRC3_GFX90A:ACCUM_OFFSET: 7
; COMPUTE_PGM_RSRC3_GFX90A:TG_SPLIT: 0
	.section	.text._ZN5aiter24topk_softplus_kernel_optIf12hip_bfloat16Li384ELb0ELi1EEEvPKT_PKT0_PfPimiif,"axG",@progbits,_ZN5aiter24topk_softplus_kernel_optIf12hip_bfloat16Li384ELb0ELi1EEEvPKT_PKT0_PfPimiif,comdat
	.protected	_ZN5aiter24topk_softplus_kernel_optIf12hip_bfloat16Li384ELb0ELi1EEEvPKT_PKT0_PfPimiif ; -- Begin function _ZN5aiter24topk_softplus_kernel_optIf12hip_bfloat16Li384ELb0ELi1EEEvPKT_PKT0_PfPimiif
	.globl	_ZN5aiter24topk_softplus_kernel_optIf12hip_bfloat16Li384ELb0ELi1EEEvPKT_PKT0_PfPimiif
	.p2align	8
	.type	_ZN5aiter24topk_softplus_kernel_optIf12hip_bfloat16Li384ELb0ELi1EEEvPKT_PKT0_PfPimiif,@function
_ZN5aiter24topk_softplus_kernel_optIf12hip_bfloat16Li384ELb0ELi1EEEvPKT_PKT0_PfPimiif: ; @_ZN5aiter24topk_softplus_kernel_optIf12hip_bfloat16Li384ELb0ELi1EEEvPKT_PKT0_PfPimiif
; %bb.0:
	s_load_dwordx4 s[0:3], s[4:5], 0x0
	s_mul_i32 s8, s6, 0x180
	s_ashr_i32 s9, s8, 31
	s_lshl_b64 s[8:9], s[8:9], 2
	v_lshlrev_b32_e32 v19, 2, v0
	s_waitcnt lgkmcnt(0)
	s_add_u32 s10, s0, s8
	s_addc_u32 s11, s1, s9
	global_load_dword v1, v19, s[10:11]
	s_mov_b32 s0, 0xc2fc0000
	v_mov_b32_e32 v6, 0x42800000
	v_mov_b32_e32 v7, 0x1f800000
	s_cmp_lg_u64 s[2:3], 0
	v_mov_b32_e32 v3, s11
	s_cselect_b64 s[8:9], -1, 0
	v_lshlrev_b32_e32 v4, 1, v0
	s_waitcnt vmcnt(0)
	v_mul_f32_e32 v2, 0xbfb8aa3b, v1
	v_cmp_gt_f32_e32 vcc, s0, v2
	v_cndmask_b32_e32 v2, 0, v6, vcc
	v_fmac_f32_e32 v2, 0xbfb8aa3b, v1
	v_exp_f32_e32 v1, v2
	v_cndmask_b32_e32 v2, 1.0, v7, vcc
	v_fma_f32 v1, v1, v2, 1.0
	v_rcp_f32_e32 v1, v1
	v_add_co_u32_e32 v2, vcc, s10, v19
	v_addc_co_u32_e32 v3, vcc, 0, v3, vcc
	s_and_b64 vcc, exec, s[8:9]
	v_mov_b32_e32 v5, v1
	s_cbranch_vccz .LBB76_2
; %bb.1:
	global_load_ushort v5, v4, s[2:3]
	s_waitcnt vmcnt(0)
	v_lshlrev_b32_e32 v5, 16, v5
	v_add_f32_e32 v5, v1, v5
.LBB76_2:
	global_load_dword v8, v[2:3], off offset:256
	s_waitcnt vmcnt(0)
	v_mul_f32_e32 v9, 0xbfb8aa3b, v8
	v_cmp_gt_f32_e32 vcc, s0, v9
	v_cndmask_b32_e32 v6, 0, v6, vcc
	v_fmac_f32_e32 v6, 0xbfb8aa3b, v8
	v_exp_f32_e32 v6, v6
	v_cndmask_b32_e32 v7, 1.0, v7, vcc
	s_andn2_b64 vcc, exec, s[8:9]
	v_fma_f32 v6, v6, v7, 1.0
	v_rcp_f32_e32 v6, v6
	v_cndmask_b32_e64 v7, 0, 1, s[8:9]
	v_cmp_ne_u32_e64 s[0:1], 1, v7
	v_mov_b32_e32 v7, v6
	s_cbranch_vccnz .LBB76_4
; %bb.3:
	global_load_ushort v7, v4, s[2:3] offset:128
	s_waitcnt vmcnt(0)
	v_lshlrev_b32_e32 v7, 16, v7
	v_add_f32_e32 v7, v6, v7
.LBB76_4:
	global_load_dword v8, v[2:3], off offset:512
	s_mov_b32 s7, 0xc2fc0000
	v_mov_b32_e32 v11, 0x42800000
	v_mov_b32_e32 v10, 0x1f800000
	s_waitcnt vmcnt(0)
	v_mul_f32_e32 v9, 0xbfb8aa3b, v8
	v_cmp_gt_f32_e32 vcc, s7, v9
	v_cndmask_b32_e32 v12, 0, v11, vcc
	v_fmac_f32_e32 v12, 0xbfb8aa3b, v8
	v_exp_f32_e32 v8, v12
	v_cndmask_b32_e32 v9, 1.0, v10, vcc
	s_and_b64 vcc, exec, s[0:1]
	v_fma_f32 v8, v8, v9, 1.0
	v_rcp_f32_e32 v8, v8
	v_mov_b32_e32 v9, v8
	s_cbranch_vccnz .LBB76_6
; %bb.5:
	global_load_ushort v9, v4, s[2:3] offset:256
	s_waitcnt vmcnt(0)
	v_lshlrev_b32_e32 v9, 16, v9
	v_add_f32_e32 v9, v8, v9
.LBB76_6:
	global_load_dword v12, v[2:3], off offset:768
	s_waitcnt vmcnt(0)
	v_mul_f32_e32 v13, 0xbfb8aa3b, v12
	v_cmp_gt_f32_e32 vcc, s7, v13
	v_cndmask_b32_e32 v11, 0, v11, vcc
	v_fmac_f32_e32 v11, 0xbfb8aa3b, v12
	v_exp_f32_e32 v11, v11
	v_cndmask_b32_e32 v10, 1.0, v10, vcc
	s_and_b64 vcc, exec, s[0:1]
	v_fma_f32 v10, v11, v10, 1.0
	v_rcp_f32_e32 v10, v10
	v_mov_b32_e32 v11, v10
	s_cbranch_vccnz .LBB76_8
; %bb.7:
	global_load_ushort v11, v4, s[2:3] offset:384
	s_waitcnt vmcnt(0)
	v_lshlrev_b32_e32 v11, 16, v11
	v_add_f32_e32 v11, v10, v11
.LBB76_8:
	global_load_dword v12, v[2:3], off offset:1024
	v_mov_b32_e32 v15, 0x42800000
	v_mov_b32_e32 v14, 0x1f800000
	s_waitcnt vmcnt(0)
	v_mul_f32_e32 v13, 0xbfb8aa3b, v12
	v_cmp_gt_f32_e32 vcc, s7, v13
	v_cndmask_b32_e32 v16, 0, v15, vcc
	v_fmac_f32_e32 v16, 0xbfb8aa3b, v12
	v_exp_f32_e32 v12, v16
	v_cndmask_b32_e32 v13, 1.0, v14, vcc
	s_and_b64 vcc, exec, s[0:1]
	v_fma_f32 v12, v12, v13, 1.0
	v_rcp_f32_e32 v12, v12
	v_mov_b32_e32 v13, v12
	s_cbranch_vccnz .LBB76_10
; %bb.9:
	global_load_ushort v13, v4, s[2:3] offset:512
	s_waitcnt vmcnt(0)
	v_lshlrev_b32_e32 v13, 16, v13
	v_add_f32_e32 v13, v12, v13
.LBB76_10:
	global_load_dword v2, v[2:3], off offset:1280
	s_waitcnt vmcnt(0)
	v_mul_f32_e32 v3, 0xbfb8aa3b, v2
	v_cmp_gt_f32_e32 vcc, s7, v3
	v_cndmask_b32_e32 v3, 1.0, v14, vcc
	v_cndmask_b32_e32 v14, 0, v15, vcc
	v_fmac_f32_e32 v14, 0xbfb8aa3b, v2
	v_exp_f32_e32 v2, v14
	s_and_b64 vcc, exec, s[0:1]
	v_fma_f32 v2, v2, v3, 1.0
	v_rcp_f32_e32 v2, v2
	v_mov_b32_e32 v3, v2
	s_cbranch_vccnz .LBB76_12
; %bb.11:
	global_load_ushort v3, v4, s[2:3] offset:640
	s_waitcnt vmcnt(0)
	v_lshlrev_b32_e32 v3, 16, v3
	v_add_f32_e32 v3, v2, v3
.LBB76_12:
	v_add_u32_e32 v4, 64, v0
	v_cmp_lt_f32_e32 vcc, v5, v7
	v_add_u32_e32 v14, 0x80, v0
	v_add_u32_e32 v15, 0xc0, v0
	v_cndmask_b32_e32 v18, v6, v1, vcc
	v_cndmask_b32_e32 v1, v1, v6, vcc
	;; [unrolled: 1-line block ×6, first 2 shown]
	v_cmp_lt_f32_e32 vcc, v9, v11
	v_add_u32_e32 v16, 0x100, v0
	v_add_u32_e32 v17, 0x140, v0
	v_cndmask_b32_e32 v7, v10, v8, vcc
	v_cndmask_b32_e32 v8, v8, v10, vcc
	v_cndmask_b32_e32 v10, v15, v14, vcc
	v_cndmask_b32_e32 v14, v14, v15, vcc
	v_cndmask_b32_e32 v15, v11, v9, vcc
	v_cndmask_b32_e32 v9, v9, v11, vcc
	v_cmp_lt_f32_e32 vcc, v13, v3
	v_cndmask_b32_e32 v11, v2, v12, vcc
	v_cndmask_b32_e32 v2, v12, v2, vcc
	v_cndmask_b32_e32 v12, v17, v16, vcc
	v_cndmask_b32_e32 v16, v16, v17, vcc
	v_cndmask_b32_e32 v17, v3, v13, vcc
	v_cndmask_b32_e32 v3, v13, v3, vcc
	v_cmp_lt_f32_e32 vcc, v5, v9
	;; [unrolled: 7-line block ×7, first 2 shown]
	v_cndmask_b32_e32 v12, v23, v24, vcc
	v_cmp_lt_f32_e64 s[0:1], v26, v21
	v_cndmask_b32_e32 v5, v18, v9, vcc
	v_cndmask_b32_e32 v8, v9, v18, vcc
	;; [unrolled: 1-line block ×3, first 2 shown]
	v_cndmask_b32_e64 v18, v3, v1, s[0:1]
	v_cndmask_b32_e64 v14, v13, v25, s[0:1]
	;; [unrolled: 1-line block ×3, first 2 shown]
	v_cmp_lt_f32_e64 s[2:3], v16, v12
	v_cndmask_b32_e32 v10, v22, v11, vcc
	v_cndmask_b32_e32 v9, v24, v23, vcc
	v_cndmask_b32_e64 v1, v1, v3, s[0:1]
	v_cndmask_b32_e64 v3, v25, v13, s[0:1]
	;; [unrolled: 1-line block ×3, first 2 shown]
	s_and_saveexec_b64 s[0:1], s[2:3]
	s_xor_b64 s[0:1], exec, s[0:1]
; %bb.13:
	v_mov_b32_e32 v13, v20
	v_mov_b32_e32 v21, v15
	;; [unrolled: 1-line block ×3, first 2 shown]
	v_swap_b32 v16, v12
	v_swap_b32 v20, v8
	v_swap_b32 v15, v10
; %bb.14:
	s_or_b64 exec, exec, s[0:1]
	s_load_dword s7, s[4:5], 0x28
	s_load_dwordx4 s[16:19], s[4:5], 0x10
	s_waitcnt lgkmcnt(0)
	s_cmp_lt_i32 s7, 1
	s_cbranch_scc1 .LBB76_20
; %bb.15:
	v_cmp_lt_f32_e32 vcc, v17, v16
	v_cndmask_b32_e32 v13, v15, v14, vcc
	v_cndmask_b32_e32 v14, v14, v15, vcc
	v_cndmask_b32_e32 v15, v16, v17, vcc
	v_cndmask_b32_e32 v16, v17, v16, vcc
	v_cndmask_b32_e32 v17, v20, v18, vcc
	v_cndmask_b32_e32 v18, v18, v20, vcc
	v_mbcnt_lo_u32_b32 v20, -1, 0
	v_mbcnt_hi_u32_b32 v20, -1, v20
	v_bfrev_b32_e32 v24, 0.5
	v_mov_b32_e32 v22, 0
	v_mov_b32_e32 v21, 0
	;; [unrolled: 1-line block ×3, first 2 shown]
	v_lshl_or_b32 v24, v20, 2, v24
	v_mov_b32_e32 v25, v0
	s_mov_b32 s20, s7
	v_mov_b32_e32 v20, 0
.LBB76_16:                              ; =>This Inner Loop Header: Depth=1
	v_cmp_eq_u32_e32 vcc, 1, v22
	v_cndmask_b32_e32 v26, v6, v11, vcc
	v_cmp_eq_u32_e64 s[0:1], 2, v22
	v_cndmask_b32_e64 v26, v26, v16, s[0:1]
	v_cmp_eq_u32_e64 s[2:3], 3, v22
	v_cndmask_b32_e64 v26, v26, v15, s[2:3]
	;; [unrolled: 2-line block ×4, first 2 shown]
	v_cmp_gt_u32_e64 s[12:13], 6, v22
	v_cndmask_b32_e64 v26, v23, v26, s[12:13]
	;;#ASMSTART
	v_max_f32 v27, v26, v26 quad_perm:[1,0,3,2] row_mask:0xf bank_mask:0xf bound_ctrl:1
	;;#ASMEND
	;;#ASMSTART
	v_max_f32 v28, v27, v27 quad_perm:[2,3,0,1] row_mask:0xf bank_mask:0xf bound_ctrl:1
	;;#ASMEND
	;;#ASMSTART
	v_max_f32 v27, v28, v28 row_half_mirror row_mask:0xf bank_mask:0xf bound_ctrl:1
	;;#ASMEND
	;;#ASMSTART
	v_max_f32 v28, v27, v27 row_mirror row_mask:0xf bank_mask:0xf bound_ctrl:1
	;;#ASMEND
	;;#ASMSTART
	v_max_f32 v27, v28, v28 row_ror:4 row_mask:0xf bank_mask:0xf bound_ctrl:1
	;;#ASMEND
	;;#ASMSTART
	v_max_f32 v28, v27, v27 row_ror:8 row_mask:0xf bank_mask:0xf bound_ctrl:1
	;;#ASMEND
	;;#ASMSTART
	v_max_f32 v27, v28, v28 row_bcast:15 row_mask:0xf bank_mask:0xf bound_ctrl:1
	;;#ASMEND
	;;#ASMSTART
	v_max_f32 v28, v27, v27 row_bcast:31 row_mask:0xf bank_mask:0xf bound_ctrl:1
	;;#ASMEND
	ds_bpermute_b32 v27, v24, v28
	s_waitcnt lgkmcnt(0)
	v_cmp_eq_f32_e64 s[14:15], v26, v27
	v_cndmask_b32_e32 v26, v4, v3, vcc
	v_cndmask_b32_e64 v26, v26, v14, s[0:1]
	v_cndmask_b32_e64 v26, v26, v13, s[2:3]
	;; [unrolled: 1-line block ×4, first 2 shown]
	s_ff1_i32_b64 s21, s[14:15]
	s_cmp_lg_u64 s[14:15], 0
	s_cselect_b32 s14, s21, 0
	v_cndmask_b32_e64 v27, 0, v26, s[12:13]
	v_readlane_b32 s21, v27, s14
	v_cmp_eq_u32_e64 s[14:15], s21, v26
	v_cndmask_b32_e32 v26, v2, v1, vcc
	v_cndmask_b32_e64 v26, v26, v18, s[0:1]
	v_cndmask_b32_e64 v26, v26, v17, s[2:3]
	;; [unrolled: 1-line block ×4, first 2 shown]
	s_and_b64 vcc, s[12:13], s[14:15]
	s_and_b32 s0, s21, 63
	v_cndmask_b32_e32 v26, 0, v26, vcc
	v_readlane_b32 s0, v26, s0
	v_mov_b32_e32 v26, s0
	v_cmp_eq_u32_e64 s[0:1], 0, v25
	v_cndmask_b32_e64 v21, v21, v26, s[0:1]
	v_mov_b32_e32 v26, s21
	s_add_i32 s20, s20, -1
	v_cndmask_b32_e64 v20, v20, v26, s[0:1]
	v_addc_co_u32_e32 v22, vcc, 0, v22, vcc
	s_cmp_eq_u32 s20, 0
	v_add_u32_e32 v25, -1, v25
	s_cbranch_scc0 .LBB76_16
; %bb.17:
	v_cmp_gt_i32_e32 vcc, s7, v0
	s_and_saveexec_b64 s[0:1], vcc
	s_cbranch_execz .LBB76_19
.LBB76_18:
	s_load_dword s2, s[4:5], 0x30
	s_load_dwordx2 s[0:1], s[4:5], 0x20
	s_ashr_i32 s3, s6, 31
	s_waitcnt lgkmcnt(0)
	v_mul_f32_e32 v0, s2, v21
	s_mul_i32 s1, s6, s1
	s_mul_hi_u32 s2, s6, s0
	s_add_i32 s1, s2, s1
	s_mul_i32 s3, s3, s0
	s_add_i32 s1, s1, s3
	s_mul_i32 s0, s6, s0
	s_lshl_b64 s[0:1], s[0:1], 2
	s_add_u32 s2, s16, s0
	s_addc_u32 s3, s17, s1
	s_add_u32 s0, s18, s0
	s_addc_u32 s1, s19, s1
	global_store_dword v19, v0, s[2:3]
	global_store_dword v19, v20, s[0:1]
.LBB76_19:
	s_endpgm
.LBB76_20:
	v_mov_b32_e32 v20, 0
	v_mov_b32_e32 v21, 0
	v_cmp_gt_i32_e32 vcc, s7, v0
	s_and_saveexec_b64 s[0:1], vcc
	s_cbranch_execnz .LBB76_18
	s_branch .LBB76_19
	.section	.rodata,"a",@progbits
	.p2align	6, 0x0
	.amdhsa_kernel _ZN5aiter24topk_softplus_kernel_optIf12hip_bfloat16Li384ELb0ELi1EEEvPKT_PKT0_PfPimiif
		.amdhsa_group_segment_fixed_size 0
		.amdhsa_private_segment_fixed_size 0
		.amdhsa_kernarg_size 52
		.amdhsa_user_sgpr_count 6
		.amdhsa_user_sgpr_private_segment_buffer 1
		.amdhsa_user_sgpr_dispatch_ptr 0
		.amdhsa_user_sgpr_queue_ptr 0
		.amdhsa_user_sgpr_kernarg_segment_ptr 1
		.amdhsa_user_sgpr_dispatch_id 0
		.amdhsa_user_sgpr_flat_scratch_init 0
		.amdhsa_user_sgpr_kernarg_preload_length 0
		.amdhsa_user_sgpr_kernarg_preload_offset 0
		.amdhsa_user_sgpr_private_segment_size 0
		.amdhsa_uses_dynamic_stack 0
		.amdhsa_system_sgpr_private_segment_wavefront_offset 0
		.amdhsa_system_sgpr_workgroup_id_x 1
		.amdhsa_system_sgpr_workgroup_id_y 0
		.amdhsa_system_sgpr_workgroup_id_z 0
		.amdhsa_system_sgpr_workgroup_info 0
		.amdhsa_system_vgpr_workitem_id 0
		.amdhsa_next_free_vgpr 29
		.amdhsa_next_free_sgpr 22
		.amdhsa_accum_offset 32
		.amdhsa_reserve_vcc 1
		.amdhsa_reserve_flat_scratch 0
		.amdhsa_float_round_mode_32 0
		.amdhsa_float_round_mode_16_64 0
		.amdhsa_float_denorm_mode_32 3
		.amdhsa_float_denorm_mode_16_64 3
		.amdhsa_dx10_clamp 1
		.amdhsa_ieee_mode 1
		.amdhsa_fp16_overflow 0
		.amdhsa_tg_split 0
		.amdhsa_exception_fp_ieee_invalid_op 0
		.amdhsa_exception_fp_denorm_src 0
		.amdhsa_exception_fp_ieee_div_zero 0
		.amdhsa_exception_fp_ieee_overflow 0
		.amdhsa_exception_fp_ieee_underflow 0
		.amdhsa_exception_fp_ieee_inexact 0
		.amdhsa_exception_int_div_zero 0
	.end_amdhsa_kernel
	.section	.text._ZN5aiter24topk_softplus_kernel_optIf12hip_bfloat16Li384ELb0ELi1EEEvPKT_PKT0_PfPimiif,"axG",@progbits,_ZN5aiter24topk_softplus_kernel_optIf12hip_bfloat16Li384ELb0ELi1EEEvPKT_PKT0_PfPimiif,comdat
.Lfunc_end76:
	.size	_ZN5aiter24topk_softplus_kernel_optIf12hip_bfloat16Li384ELb0ELi1EEEvPKT_PKT0_PfPimiif, .Lfunc_end76-_ZN5aiter24topk_softplus_kernel_optIf12hip_bfloat16Li384ELb0ELi1EEEvPKT_PKT0_PfPimiif
                                        ; -- End function
	.section	.AMDGPU.csdata,"",@progbits
; Kernel info:
; codeLenInByte = 1652
; NumSgprs: 26
; NumVgprs: 29
; NumAgprs: 0
; TotalNumVgprs: 29
; ScratchSize: 0
; MemoryBound: 0
; FloatMode: 240
; IeeeMode: 1
; LDSByteSize: 0 bytes/workgroup (compile time only)
; SGPRBlocks: 3
; VGPRBlocks: 3
; NumSGPRsForWavesPerEU: 26
; NumVGPRsForWavesPerEU: 29
; AccumOffset: 32
; Occupancy: 8
; WaveLimiterHint : 0
; COMPUTE_PGM_RSRC2:SCRATCH_EN: 0
; COMPUTE_PGM_RSRC2:USER_SGPR: 6
; COMPUTE_PGM_RSRC2:TRAP_HANDLER: 0
; COMPUTE_PGM_RSRC2:TGID_X_EN: 1
; COMPUTE_PGM_RSRC2:TGID_Y_EN: 0
; COMPUTE_PGM_RSRC2:TGID_Z_EN: 0
; COMPUTE_PGM_RSRC2:TIDIG_COMP_CNT: 0
; COMPUTE_PGM_RSRC3_GFX90A:ACCUM_OFFSET: 7
; COMPUTE_PGM_RSRC3_GFX90A:TG_SPLIT: 0
	.section	.text._ZN5aiter20topk_softplus_kernelIf12hip_bfloat16Dv4_fLb1ELi1EEEvPKT_PKT0_PfPimiiif,"axG",@progbits,_ZN5aiter20topk_softplus_kernelIf12hip_bfloat16Dv4_fLb1ELi1EEEvPKT_PKT0_PfPimiiif,comdat
	.protected	_ZN5aiter20topk_softplus_kernelIf12hip_bfloat16Dv4_fLb1ELi1EEEvPKT_PKT0_PfPimiiif ; -- Begin function _ZN5aiter20topk_softplus_kernelIf12hip_bfloat16Dv4_fLb1ELi1EEEvPKT_PKT0_PfPimiiif
	.globl	_ZN5aiter20topk_softplus_kernelIf12hip_bfloat16Dv4_fLb1ELi1EEEvPKT_PKT0_PfPimiiif
	.p2align	8
	.type	_ZN5aiter20topk_softplus_kernelIf12hip_bfloat16Dv4_fLb1ELi1EEEvPKT_PKT0_PfPimiiif,@function
_ZN5aiter20topk_softplus_kernelIf12hip_bfloat16Dv4_fLb1ELi1EEEvPKT_PKT0_PfPimiiif: ; @_ZN5aiter20topk_softplus_kernelIf12hip_bfloat16Dv4_fLb1ELi1EEEvPKT_PKT0_PfPimiiif
; %bb.0:
	s_load_dwordx2 s[16:17], s[4:5], 0x28
	s_load_dwordx8 s[8:15], s[4:5], 0x0
	v_lshlrev_b32_e32 v1, 2, v0
	s_waitcnt lgkmcnt(0)
	s_ashr_i32 s0, s16, 31
	s_lshr_b32 s0, s0, 30
	s_add_i32 s0, s16, s0
	s_mul_i32 s18, s6, s16
	s_ashr_i32 s7, s0, 2
	s_ashr_i32 s19, s18, 31
	v_cmp_gt_i32_e64 s[0:1], s7, v0
	s_and_saveexec_b64 s[20:21], s[0:1]
	s_cbranch_execz .LBB77_11
; %bb.1:
	s_load_dword s25, s[4:5], 0x44
	s_cmp_lg_u64 s[10:11], 0
	s_cselect_b64 s[2:3], -1, 0
	v_lshlrev_b32_e32 v2, 4, v0
	v_add_u32_e32 v12, 0, v2
	s_waitcnt lgkmcnt(0)
	s_and_b32 s25, s25, 0xffff
	s_add_u32 s26, s10, 2
	s_addc_u32 s27, s11, 0
	s_add_u32 s28, s10, 4
	s_addc_u32 s29, s11, 0
	;; [unrolled: 2-line block ×3, first 2 shown]
	s_lshl_b64 s[34:35], s[18:19], 2
	s_add_u32 s33, s8, s34
	s_addc_u32 s34, s9, s35
	v_mov_b32_e32 v3, s34
	v_add_co_u32_e32 v6, vcc, s33, v2
	v_cndmask_b32_e64 v2, 0, 1, s[2:3]
	s_mov_b64 s[22:23], 0
	s_mov_b32 s24, 0
	v_addc_co_u32_e32 v7, vcc, 0, v3, vcc
	s_lshl_b32 s33, s25, 4
	v_lshlrev_b32_e32 v8, 2, v0
	s_lshl_b32 s34, s25, 2
	v_mov_b32_e32 v9, 0
	s_mov_b32 s35, 0xc2fc0000
	v_mov_b32_e32 v13, 0x1f800000
	v_mov_b32_e32 v14, 0x42800000
	v_cmp_ne_u32_e64 s[2:3], 1, v2
	v_mov_b32_e32 v15, v0
	s_branch .LBB77_3
.LBB77_2:                               ;   in Loop: Header=BB77_3 Depth=1
	ds_write_b128 v12, v[2:5]
	v_mov_b32_e32 v2, s24
	v_add_co_u32_e32 v6, vcc, s33, v6
	v_add_u32_e32 v15, s25, v15
	v_addc_co_u32_e32 v7, vcc, v7, v2, vcc
	v_cmp_le_i32_e32 vcc, s7, v15
	v_add_u32_e32 v8, s34, v8
	s_or_b64 s[22:23], vcc, s[22:23]
	v_add_u32_e32 v12, s33, v12
	s_andn2_b64 exec, exec, s[22:23]
	s_cbranch_execz .LBB77_11
.LBB77_3:                               ; =>This Inner Loop Header: Depth=1
	global_load_dwordx4 v[2:5], v[6:7], off
	s_waitcnt vmcnt(0)
	v_mul_f32_e32 v10, 0xbfb8aa3b, v2
	v_cmp_gt_f32_e32 vcc, s35, v10
	v_cndmask_b32_e32 v11, 0, v14, vcc
	v_fmac_f32_e32 v11, 0xbfb8aa3b, v2
	v_exp_f32_e32 v2, v11
	v_cndmask_b32_e32 v10, 1.0, v13, vcc
	s_and_b64 vcc, exec, s[2:3]
	v_fma_f32 v2, v2, v10, 1.0
	v_rcp_f32_e32 v2, v2
	v_lshlrev_b64 v[10:11], 1, v[8:9]
	s_cbranch_vccnz .LBB77_5
; %bb.4:                                ;   in Loop: Header=BB77_3 Depth=1
	v_mov_b32_e32 v17, s11
	v_add_co_u32_e32 v16, vcc, s10, v10
	v_addc_co_u32_e32 v17, vcc, v17, v11, vcc
	global_load_ushort v16, v[16:17], off
	s_waitcnt vmcnt(0)
	v_lshlrev_b32_e32 v16, 16, v16
	v_add_f32_e32 v2, v2, v16
.LBB77_5:                               ;   in Loop: Header=BB77_3 Depth=1
	v_mul_f32_e32 v16, 0xbfb8aa3b, v3
	v_cmp_gt_f32_e32 vcc, s35, v16
	v_cndmask_b32_e32 v17, 0, v14, vcc
	v_fmac_f32_e32 v17, 0xbfb8aa3b, v3
	v_exp_f32_e32 v3, v17
	v_cndmask_b32_e32 v16, 1.0, v13, vcc
	s_and_b64 vcc, exec, s[2:3]
	v_fma_f32 v3, v3, v16, 1.0
	v_rcp_f32_e32 v3, v3
	s_cbranch_vccnz .LBB77_7
; %bb.6:                                ;   in Loop: Header=BB77_3 Depth=1
	v_mov_b32_e32 v17, s27
	v_add_co_u32_e32 v16, vcc, s26, v10
	v_addc_co_u32_e32 v17, vcc, v17, v11, vcc
	global_load_ushort v16, v[16:17], off
	s_waitcnt vmcnt(0)
	v_lshlrev_b32_e32 v16, 16, v16
	v_add_f32_e32 v3, v3, v16
.LBB77_7:                               ;   in Loop: Header=BB77_3 Depth=1
	v_mul_f32_e32 v16, 0xbfb8aa3b, v4
	v_cmp_gt_f32_e32 vcc, s35, v16
	v_cndmask_b32_e32 v17, 0, v14, vcc
	v_fmac_f32_e32 v17, 0xbfb8aa3b, v4
	v_exp_f32_e32 v4, v17
	v_cndmask_b32_e32 v16, 1.0, v13, vcc
	s_and_b64 vcc, exec, s[2:3]
	v_fma_f32 v4, v4, v16, 1.0
	v_rcp_f32_e32 v4, v4
	;; [unrolled: 19-line block ×3, first 2 shown]
	s_cbranch_vccnz .LBB77_2
; %bb.10:                               ;   in Loop: Header=BB77_3 Depth=1
	v_mov_b32_e32 v16, s31
	v_add_co_u32_e32 v10, vcc, s30, v10
	v_addc_co_u32_e32 v11, vcc, v16, v11, vcc
	global_load_ushort v10, v[10:11], off
	s_waitcnt vmcnt(0)
	v_lshlrev_b32_e32 v10, 16, v10
	v_add_f32_e32 v5, v5, v10
	s_branch .LBB77_2
.LBB77_11:
	s_or_b64 exec, exec, s[20:21]
	v_lshl_add_u32 v2, s7, 2, v0
	v_cmp_gt_i32_e32 vcc, s16, v2
	s_and_saveexec_b64 s[20:21], vcc
	s_cbranch_execz .LBB77_16
; %bb.12:
	s_lshl_b64 s[2:3], s[18:19], 2
	s_load_dword s19, s[4:5], 0x44
	s_add_u32 s18, s8, s2
	s_addc_u32 s23, s9, s3
	s_cmp_lg_u64 s[10:11], 0
	s_cselect_b64 s[2:3], -1, 0
	s_lshl_b32 s22, s7, 4
	s_waitcnt lgkmcnt(0)
	s_and_b32 s19, s19, 0xffff
	s_add_i32 s22, s22, 0
	v_cndmask_b32_e64 v3, 0, 1, s[2:3]
	s_mov_b64 s[8:9], 0
	v_lshl_add_u32 v4, v0, 2, s22
	s_lshl_b32 s22, s19, 2
	v_mov_b32_e32 v5, s23
	s_mov_b32 s23, 0xc2fc0000
	v_mov_b32_e32 v6, 0x42800000
	v_mov_b32_e32 v7, 0x1f800000
	v_cmp_ne_u32_e64 s[2:3], 1, v3
	s_branch .LBB77_14
.LBB77_13:                              ;   in Loop: Header=BB77_14 Depth=1
	v_add_u32_e32 v2, s19, v2
	v_cmp_le_i32_e32 vcc, s16, v2
	s_or_b64 s[8:9], vcc, s[8:9]
	v_add_u32_e32 v4, s22, v4
	s_andn2_b64 exec, exec, s[8:9]
	s_cbranch_execz .LBB77_16
.LBB77_14:                              ; =>This Inner Loop Header: Depth=1
	v_ashrrev_i32_e32 v3, 31, v2
	v_lshlrev_b64 v[8:9], 2, v[2:3]
	v_add_co_u32_e32 v8, vcc, s18, v8
	v_addc_co_u32_e32 v9, vcc, v5, v9, vcc
	global_load_dword v8, v[8:9], off
	s_waitcnt vmcnt(0)
	v_mul_f32_e32 v9, 0xbfb8aa3b, v8
	v_cmp_gt_f32_e32 vcc, s23, v9
	v_cndmask_b32_e32 v9, 0, v6, vcc
	v_fmac_f32_e32 v9, 0xbfb8aa3b, v8
	v_exp_f32_e32 v8, v9
	v_cndmask_b32_e32 v9, 1.0, v7, vcc
	s_and_b64 vcc, exec, s[2:3]
	v_fma_f32 v8, v8, v9, 1.0
	v_rcp_f32_e32 v8, v8
	ds_write_b32 v4, v8
	s_cbranch_vccnz .LBB77_13
; %bb.15:                               ;   in Loop: Header=BB77_14 Depth=1
	v_lshlrev_b64 v[10:11], 1, v[2:3]
	v_mov_b32_e32 v3, s11
	v_add_co_u32_e32 v10, vcc, s10, v10
	v_addc_co_u32_e32 v11, vcc, v3, v11, vcc
	global_load_ushort v3, v[10:11], off
	s_waitcnt vmcnt(0)
	v_lshlrev_b32_e32 v3, 16, v3
	v_add_f32_e32 v3, v8, v3
	ds_write_b32 v4, v3
	s_branch .LBB77_13
.LBB77_16:
	s_or_b64 exec, exec, s[20:21]
	s_cmp_lt_i32 s17, 1
	v_mov_b32_e32 v3, 0
	s_waitcnt lgkmcnt(0)
	s_barrier
	s_cbranch_scc1 .LBB77_25
; %bb.17:
	s_add_u32 s2, s4, 56
	s_addc_u32 s3, s5, 0
	v_mbcnt_lo_u32_b32 v2, -1, 0
	s_cmp_lg_u64 s[10:11], 0
	v_mbcnt_hi_u32_b32 v2, -1, v2
	v_bfrev_b32_e32 v4, 0.5
	s_cselect_b64 s[8:9], -1, 0
	v_lshl_add_u32 v5, v0, 4, 0
	s_mov_b32 s16, 0
	v_mov_b32_e32 v3, 0
	v_lshl_or_b32 v6, v2, 2, v4
	v_mov_b32_e32 v7, 0
	v_mov_b32_e32 v8, 0xff800000
	v_mov_b32_e32 v2, 0
	v_mov_b32_e32 v4, 0
	s_branch .LBB77_19
.LBB77_18:                              ;   in Loop: Header=BB77_19 Depth=1
	s_lshl_b32 s19, s18, 2
	s_add_i32 s19, s19, 0
	v_mov_b32_e32 v9, s19
	ds_write_b32 v9, v8
	v_mov_b32_e32 v9, s18
	v_cmp_eq_u32_e32 vcc, s16, v0
	s_add_i32 s16, s16, 1
	v_cndmask_b32_e32 v2, v2, v9, vcc
	v_cndmask_b32_e32 v3, v3, v11, vcc
	s_cmp_eq_u32 s16, s17
	v_add_f32_e32 v4, v4, v11
	s_cbranch_scc1 .LBB77_26
.LBB77_19:                              ; =>This Loop Header: Depth=1
                                        ;     Child Loop BB77_21 Depth 2
	v_mov_b32_e32 v9, s16
	v_mov_b32_e32 v10, 0xff800000
	s_and_saveexec_b64 s[18:19], s[0:1]
	s_cbranch_execz .LBB77_23
; %bb.20:                               ;   in Loop: Header=BB77_19 Depth=1
	s_load_dword s22, s[2:3], 0xc
	s_mov_b64 s[20:21], 0
	v_mov_b32_e32 v9, s16
	v_mov_b32_e32 v10, 0xff800000
	;; [unrolled: 1-line block ×3, first 2 shown]
	s_waitcnt lgkmcnt(0)
	s_and_b32 s22, s22, 0xffff
	s_lshl_b32 s23, s22, 2
	s_lshl_b32 s24, s22, 4
	v_mov_b32_e32 v12, v1
	v_mov_b32_e32 v13, v0
.LBB77_21:                              ;   Parent Loop BB77_19 Depth=1
                                        ; =>  This Inner Loop Header: Depth=2
	ds_read_b128 v[14:17], v11
	v_add_u32_e32 v13, s22, v13
	v_cmp_le_i32_e32 vcc, s7, v13
	s_or_b64 s[20:21], vcc, s[20:21]
	v_add_u32_e32 v18, 1, v12
	s_waitcnt lgkmcnt(0)
	v_cmp_gt_f32_e32 vcc, v14, v10
	v_cndmask_b32_e32 v10, v10, v14, vcc
	v_cndmask_b32_e32 v9, v9, v12, vcc
	v_cmp_gt_f32_e32 vcc, v15, v10
	v_cndmask_b32_e32 v10, v10, v15, vcc
	v_cndmask_b32_e32 v9, v9, v18, vcc
	v_cmp_gt_f32_e32 vcc, v16, v10
	v_add_u32_e32 v19, 2, v12
	v_cndmask_b32_e32 v10, v10, v16, vcc
	v_add_u32_e32 v20, 3, v12
	v_cndmask_b32_e32 v9, v9, v19, vcc
	v_cmp_gt_f32_e32 vcc, v17, v10
	v_add_u32_e32 v11, s24, v11
	v_add_u32_e32 v12, s23, v12
	v_cndmask_b32_e32 v10, v10, v17, vcc
	v_cndmask_b32_e32 v9, v9, v20, vcc
	s_andn2_b64 exec, exec, s[20:21]
	s_cbranch_execnz .LBB77_21
; %bb.22:                               ;   in Loop: Header=BB77_19 Depth=1
	s_or_b64 exec, exec, s[20:21]
.LBB77_23:                              ;   in Loop: Header=BB77_19 Depth=1
	s_or_b64 exec, exec, s[18:19]
	;;#ASMSTART
	v_max_f32 v11, v10, v10 quad_perm:[1,0,3,2] row_mask:0xf bank_mask:0xf bound_ctrl:1
	;;#ASMEND
	;;#ASMSTART
	v_max_f32 v12, v11, v11 quad_perm:[2,3,0,1] row_mask:0xf bank_mask:0xf bound_ctrl:1
	;;#ASMEND
	;;#ASMSTART
	v_max_f32 v11, v12, v12 row_half_mirror row_mask:0xf bank_mask:0xf bound_ctrl:1
	;;#ASMEND
	;;#ASMSTART
	v_max_f32 v12, v11, v11 row_mirror row_mask:0xf bank_mask:0xf bound_ctrl:1
	;;#ASMEND
	;;#ASMSTART
	v_max_f32 v11, v12, v12 row_ror:4 row_mask:0xf bank_mask:0xf bound_ctrl:1
	;;#ASMEND
	;;#ASMSTART
	v_max_f32 v12, v11, v11 row_ror:8 row_mask:0xf bank_mask:0xf bound_ctrl:1
	;;#ASMEND
	;;#ASMSTART
	v_max_f32 v11, v12, v12 row_bcast:15 row_mask:0xf bank_mask:0xf bound_ctrl:1
	;;#ASMEND
	;;#ASMSTART
	v_max_f32 v12, v11, v11 row_bcast:31 row_mask:0xf bank_mask:0xf bound_ctrl:1
	;;#ASMEND
	ds_bpermute_b32 v11, v6, v12
	s_waitcnt lgkmcnt(0)
	v_cmp_eq_f32_e32 vcc, v10, v11
	s_ff1_i32_b64 s18, vcc
	s_cmp_lg_u64 vcc, 0
	s_cselect_b32 s18, s18, 0
	s_and_b64 vcc, exec, s[8:9]
	v_readlane_b32 s18, v9, s18
	s_cbranch_vccz .LBB77_18
; %bb.24:                               ;   in Loop: Header=BB77_19 Depth=1
	s_ashr_i32 s19, s18, 31
	s_lshl_b64 s[20:21], s[18:19], 1
	s_add_u32 s20, s10, s20
	s_addc_u32 s21, s11, s21
	global_load_ushort v9, v7, s[20:21]
	s_waitcnt vmcnt(0)
	v_lshlrev_b32_e32 v9, 16, v9
	v_sub_f32_e32 v11, v11, v9
	s_branch .LBB77_18
.LBB77_25:
	v_mov_b32_e32 v2, 0
	v_mov_b32_e32 v4, 0
.LBB77_26:
	v_cmp_gt_i32_e32 vcc, s17, v0
	s_and_saveexec_b64 s[0:1], vcc
	s_cbranch_execz .LBB77_29
; %bb.27:
	s_load_dword s2, s[4:5], 0x34
	v_max_f32_e32 v1, v4, v4
	v_max_f32_e32 v1, 0x1e3ce508, v1
	s_load_dword s3, s[4:5], 0x44
	s_waitcnt lgkmcnt(0)
	v_div_scale_f32 v4, s[0:1], v1, v1, s2
	s_load_dwordx2 s[0:1], s[4:5], 0x20
	v_rcp_f32_e32 v5, v4
	v_div_scale_f32 v6, vcc, s2, v1, s2
	s_and_b32 s3, s3, 0xffff
	v_fma_f32 v7, -v4, v5, 1.0
	v_fmac_f32_e32 v5, v7, v5
	v_mul_f32_e32 v7, v6, v5
	v_fma_f32 v8, -v4, v7, v6
	v_fmac_f32_e32 v7, v8, v5
	v_fma_f32 v4, -v4, v7, v6
	v_div_fmas_f32 v4, v4, v5, v7
	v_div_fixup_f32 v1, v4, v1, s2
	s_ashr_i32 s2, s6, 31
	s_waitcnt lgkmcnt(0)
	s_mul_i32 s1, s6, s1
	s_mul_hi_u32 s4, s6, s0
	s_add_i32 s1, s4, s1
	s_mul_i32 s2, s2, s0
	s_add_i32 s4, s1, s2
	v_mul_f32_e32 v1, v3, v1
	s_mul_i32 s2, s6, s0
	s_mov_b64 s[0:1], 0
	v_mov_b32_e32 v3, s4
	v_mov_b32_e32 v4, s13
	;; [unrolled: 1-line block ×3, first 2 shown]
.LBB77_28:                              ; =>This Inner Loop Header: Depth=1
	v_ashrrev_i32_e32 v7, 31, v0
	v_add_co_u32_e32 v6, vcc, s2, v0
	v_addc_co_u32_e32 v7, vcc, v3, v7, vcc
	v_add_u32_e32 v0, s3, v0
	v_cmp_le_i32_e32 vcc, s17, v0
	v_lshlrev_b64 v[6:7], 2, v[6:7]
	s_or_b64 s[0:1], vcc, s[0:1]
	v_add_co_u32_e32 v8, vcc, s12, v6
	v_addc_co_u32_e32 v9, vcc, v4, v7, vcc
	v_add_co_u32_e32 v6, vcc, s14, v6
	v_addc_co_u32_e32 v7, vcc, v5, v7, vcc
	global_store_dword v[8:9], v1, off
	global_store_dword v[6:7], v2, off
	s_andn2_b64 exec, exec, s[0:1]
	s_cbranch_execnz .LBB77_28
.LBB77_29:
	s_endpgm
	.section	.rodata,"a",@progbits
	.p2align	6, 0x0
	.amdhsa_kernel _ZN5aiter20topk_softplus_kernelIf12hip_bfloat16Dv4_fLb1ELi1EEEvPKT_PKT0_PfPimiiif
		.amdhsa_group_segment_fixed_size 0
		.amdhsa_private_segment_fixed_size 0
		.amdhsa_kernarg_size 312
		.amdhsa_user_sgpr_count 6
		.amdhsa_user_sgpr_private_segment_buffer 1
		.amdhsa_user_sgpr_dispatch_ptr 0
		.amdhsa_user_sgpr_queue_ptr 0
		.amdhsa_user_sgpr_kernarg_segment_ptr 1
		.amdhsa_user_sgpr_dispatch_id 0
		.amdhsa_user_sgpr_flat_scratch_init 0
		.amdhsa_user_sgpr_kernarg_preload_length 0
		.amdhsa_user_sgpr_kernarg_preload_offset 0
		.amdhsa_user_sgpr_private_segment_size 0
		.amdhsa_uses_dynamic_stack 0
		.amdhsa_system_sgpr_private_segment_wavefront_offset 0
		.amdhsa_system_sgpr_workgroup_id_x 1
		.amdhsa_system_sgpr_workgroup_id_y 0
		.amdhsa_system_sgpr_workgroup_id_z 0
		.amdhsa_system_sgpr_workgroup_info 0
		.amdhsa_system_vgpr_workitem_id 0
		.amdhsa_next_free_vgpr 21
		.amdhsa_next_free_sgpr 36
		.amdhsa_accum_offset 24
		.amdhsa_reserve_vcc 1
		.amdhsa_reserve_flat_scratch 0
		.amdhsa_float_round_mode_32 0
		.amdhsa_float_round_mode_16_64 0
		.amdhsa_float_denorm_mode_32 3
		.amdhsa_float_denorm_mode_16_64 3
		.amdhsa_dx10_clamp 1
		.amdhsa_ieee_mode 1
		.amdhsa_fp16_overflow 0
		.amdhsa_tg_split 0
		.amdhsa_exception_fp_ieee_invalid_op 0
		.amdhsa_exception_fp_denorm_src 0
		.amdhsa_exception_fp_ieee_div_zero 0
		.amdhsa_exception_fp_ieee_overflow 0
		.amdhsa_exception_fp_ieee_underflow 0
		.amdhsa_exception_fp_ieee_inexact 0
		.amdhsa_exception_int_div_zero 0
	.end_amdhsa_kernel
	.section	.text._ZN5aiter20topk_softplus_kernelIf12hip_bfloat16Dv4_fLb1ELi1EEEvPKT_PKT0_PfPimiiif,"axG",@progbits,_ZN5aiter20topk_softplus_kernelIf12hip_bfloat16Dv4_fLb1ELi1EEEvPKT_PKT0_PfPimiiif,comdat
.Lfunc_end77:
	.size	_ZN5aiter20topk_softplus_kernelIf12hip_bfloat16Dv4_fLb1ELi1EEEvPKT_PKT0_PfPimiiif, .Lfunc_end77-_ZN5aiter20topk_softplus_kernelIf12hip_bfloat16Dv4_fLb1ELi1EEEvPKT_PKT0_PfPimiiif
                                        ; -- End function
	.section	.AMDGPU.csdata,"",@progbits
; Kernel info:
; codeLenInByte = 1692
; NumSgprs: 40
; NumVgprs: 21
; NumAgprs: 0
; TotalNumVgprs: 21
; ScratchSize: 0
; MemoryBound: 0
; FloatMode: 240
; IeeeMode: 1
; LDSByteSize: 0 bytes/workgroup (compile time only)
; SGPRBlocks: 4
; VGPRBlocks: 2
; NumSGPRsForWavesPerEU: 40
; NumVGPRsForWavesPerEU: 21
; AccumOffset: 24
; Occupancy: 8
; WaveLimiterHint : 0
; COMPUTE_PGM_RSRC2:SCRATCH_EN: 0
; COMPUTE_PGM_RSRC2:USER_SGPR: 6
; COMPUTE_PGM_RSRC2:TRAP_HANDLER: 0
; COMPUTE_PGM_RSRC2:TGID_X_EN: 1
; COMPUTE_PGM_RSRC2:TGID_Y_EN: 0
; COMPUTE_PGM_RSRC2:TGID_Z_EN: 0
; COMPUTE_PGM_RSRC2:TIDIG_COMP_CNT: 0
; COMPUTE_PGM_RSRC3_GFX90A:ACCUM_OFFSET: 5
; COMPUTE_PGM_RSRC3_GFX90A:TG_SPLIT: 0
	.section	.text._ZN5aiter20topk_softplus_kernelIf12hip_bfloat16Dv4_fLb0ELi1EEEvPKT_PKT0_PfPimiiif,"axG",@progbits,_ZN5aiter20topk_softplus_kernelIf12hip_bfloat16Dv4_fLb0ELi1EEEvPKT_PKT0_PfPimiiif,comdat
	.protected	_ZN5aiter20topk_softplus_kernelIf12hip_bfloat16Dv4_fLb0ELi1EEEvPKT_PKT0_PfPimiiif ; -- Begin function _ZN5aiter20topk_softplus_kernelIf12hip_bfloat16Dv4_fLb0ELi1EEEvPKT_PKT0_PfPimiiif
	.globl	_ZN5aiter20topk_softplus_kernelIf12hip_bfloat16Dv4_fLb0ELi1EEEvPKT_PKT0_PfPimiiif
	.p2align	8
	.type	_ZN5aiter20topk_softplus_kernelIf12hip_bfloat16Dv4_fLb0ELi1EEEvPKT_PKT0_PfPimiiif,@function
_ZN5aiter20topk_softplus_kernelIf12hip_bfloat16Dv4_fLb0ELi1EEEvPKT_PKT0_PfPimiiif: ; @_ZN5aiter20topk_softplus_kernelIf12hip_bfloat16Dv4_fLb0ELi1EEEvPKT_PKT0_PfPimiiif
; %bb.0:
	s_load_dwordx2 s[16:17], s[4:5], 0x28
	s_load_dwordx8 s[8:15], s[4:5], 0x0
	v_lshlrev_b32_e32 v1, 2, v0
	s_waitcnt lgkmcnt(0)
	s_ashr_i32 s0, s16, 31
	s_lshr_b32 s0, s0, 30
	s_add_i32 s0, s16, s0
	s_mul_i32 s18, s6, s16
	s_ashr_i32 s7, s0, 2
	s_ashr_i32 s19, s18, 31
	v_cmp_gt_i32_e64 s[0:1], s7, v0
	s_and_saveexec_b64 s[20:21], s[0:1]
	s_cbranch_execz .LBB78_11
; %bb.1:
	s_load_dword s25, s[4:5], 0x44
	s_cmp_lg_u64 s[10:11], 0
	s_cselect_b64 s[2:3], -1, 0
	v_lshlrev_b32_e32 v2, 4, v0
	v_add_u32_e32 v12, 0, v2
	s_waitcnt lgkmcnt(0)
	s_and_b32 s25, s25, 0xffff
	s_add_u32 s26, s10, 2
	s_addc_u32 s27, s11, 0
	s_add_u32 s28, s10, 4
	s_addc_u32 s29, s11, 0
	;; [unrolled: 2-line block ×3, first 2 shown]
	s_lshl_b64 s[34:35], s[18:19], 2
	s_add_u32 s33, s8, s34
	s_addc_u32 s34, s9, s35
	v_mov_b32_e32 v3, s34
	v_add_co_u32_e32 v6, vcc, s33, v2
	v_cndmask_b32_e64 v2, 0, 1, s[2:3]
	s_mov_b64 s[22:23], 0
	s_mov_b32 s24, 0
	v_addc_co_u32_e32 v7, vcc, 0, v3, vcc
	s_lshl_b32 s33, s25, 4
	v_lshlrev_b32_e32 v8, 2, v0
	s_lshl_b32 s34, s25, 2
	v_mov_b32_e32 v9, 0
	s_mov_b32 s35, 0xc2fc0000
	v_mov_b32_e32 v13, 0x1f800000
	v_mov_b32_e32 v14, 0x42800000
	v_cmp_ne_u32_e64 s[2:3], 1, v2
	v_mov_b32_e32 v15, v0
	s_branch .LBB78_3
.LBB78_2:                               ;   in Loop: Header=BB78_3 Depth=1
	ds_write_b128 v12, v[2:5]
	v_mov_b32_e32 v2, s24
	v_add_co_u32_e32 v6, vcc, s33, v6
	v_add_u32_e32 v15, s25, v15
	v_addc_co_u32_e32 v7, vcc, v7, v2, vcc
	v_cmp_le_i32_e32 vcc, s7, v15
	v_add_u32_e32 v8, s34, v8
	s_or_b64 s[22:23], vcc, s[22:23]
	v_add_u32_e32 v12, s33, v12
	s_andn2_b64 exec, exec, s[22:23]
	s_cbranch_execz .LBB78_11
.LBB78_3:                               ; =>This Inner Loop Header: Depth=1
	global_load_dwordx4 v[2:5], v[6:7], off
	s_waitcnt vmcnt(0)
	v_mul_f32_e32 v10, 0xbfb8aa3b, v2
	v_cmp_gt_f32_e32 vcc, s35, v10
	v_cndmask_b32_e32 v11, 0, v14, vcc
	v_fmac_f32_e32 v11, 0xbfb8aa3b, v2
	v_exp_f32_e32 v2, v11
	v_cndmask_b32_e32 v10, 1.0, v13, vcc
	s_and_b64 vcc, exec, s[2:3]
	v_fma_f32 v2, v2, v10, 1.0
	v_rcp_f32_e32 v2, v2
	v_lshlrev_b64 v[10:11], 1, v[8:9]
	s_cbranch_vccnz .LBB78_5
; %bb.4:                                ;   in Loop: Header=BB78_3 Depth=1
	v_mov_b32_e32 v17, s11
	v_add_co_u32_e32 v16, vcc, s10, v10
	v_addc_co_u32_e32 v17, vcc, v17, v11, vcc
	global_load_ushort v16, v[16:17], off
	s_waitcnt vmcnt(0)
	v_lshlrev_b32_e32 v16, 16, v16
	v_add_f32_e32 v2, v2, v16
.LBB78_5:                               ;   in Loop: Header=BB78_3 Depth=1
	v_mul_f32_e32 v16, 0xbfb8aa3b, v3
	v_cmp_gt_f32_e32 vcc, s35, v16
	v_cndmask_b32_e32 v17, 0, v14, vcc
	v_fmac_f32_e32 v17, 0xbfb8aa3b, v3
	v_exp_f32_e32 v3, v17
	v_cndmask_b32_e32 v16, 1.0, v13, vcc
	s_and_b64 vcc, exec, s[2:3]
	v_fma_f32 v3, v3, v16, 1.0
	v_rcp_f32_e32 v3, v3
	s_cbranch_vccnz .LBB78_7
; %bb.6:                                ;   in Loop: Header=BB78_3 Depth=1
	v_mov_b32_e32 v17, s27
	v_add_co_u32_e32 v16, vcc, s26, v10
	v_addc_co_u32_e32 v17, vcc, v17, v11, vcc
	global_load_ushort v16, v[16:17], off
	s_waitcnt vmcnt(0)
	v_lshlrev_b32_e32 v16, 16, v16
	v_add_f32_e32 v3, v3, v16
.LBB78_7:                               ;   in Loop: Header=BB78_3 Depth=1
	v_mul_f32_e32 v16, 0xbfb8aa3b, v4
	v_cmp_gt_f32_e32 vcc, s35, v16
	v_cndmask_b32_e32 v17, 0, v14, vcc
	v_fmac_f32_e32 v17, 0xbfb8aa3b, v4
	v_exp_f32_e32 v4, v17
	v_cndmask_b32_e32 v16, 1.0, v13, vcc
	s_and_b64 vcc, exec, s[2:3]
	v_fma_f32 v4, v4, v16, 1.0
	v_rcp_f32_e32 v4, v4
	;; [unrolled: 19-line block ×3, first 2 shown]
	s_cbranch_vccnz .LBB78_2
; %bb.10:                               ;   in Loop: Header=BB78_3 Depth=1
	v_mov_b32_e32 v16, s31
	v_add_co_u32_e32 v10, vcc, s30, v10
	v_addc_co_u32_e32 v11, vcc, v16, v11, vcc
	global_load_ushort v10, v[10:11], off
	s_waitcnt vmcnt(0)
	v_lshlrev_b32_e32 v10, 16, v10
	v_add_f32_e32 v5, v5, v10
	s_branch .LBB78_2
.LBB78_11:
	s_or_b64 exec, exec, s[20:21]
	v_lshl_add_u32 v2, s7, 2, v0
	v_cmp_gt_i32_e32 vcc, s16, v2
	s_and_saveexec_b64 s[20:21], vcc
	s_cbranch_execz .LBB78_16
; %bb.12:
	s_lshl_b64 s[2:3], s[18:19], 2
	s_load_dword s19, s[4:5], 0x44
	s_add_u32 s18, s8, s2
	s_addc_u32 s23, s9, s3
	s_cmp_lg_u64 s[10:11], 0
	s_cselect_b64 s[2:3], -1, 0
	s_lshl_b32 s22, s7, 4
	s_waitcnt lgkmcnt(0)
	s_and_b32 s19, s19, 0xffff
	s_add_i32 s22, s22, 0
	v_cndmask_b32_e64 v3, 0, 1, s[2:3]
	s_mov_b64 s[8:9], 0
	v_lshl_add_u32 v4, v0, 2, s22
	s_lshl_b32 s22, s19, 2
	v_mov_b32_e32 v5, s23
	s_mov_b32 s23, 0xc2fc0000
	v_mov_b32_e32 v6, 0x42800000
	v_mov_b32_e32 v7, 0x1f800000
	v_cmp_ne_u32_e64 s[2:3], 1, v3
	s_branch .LBB78_14
.LBB78_13:                              ;   in Loop: Header=BB78_14 Depth=1
	v_add_u32_e32 v2, s19, v2
	v_cmp_le_i32_e32 vcc, s16, v2
	s_or_b64 s[8:9], vcc, s[8:9]
	v_add_u32_e32 v4, s22, v4
	s_andn2_b64 exec, exec, s[8:9]
	s_cbranch_execz .LBB78_16
.LBB78_14:                              ; =>This Inner Loop Header: Depth=1
	v_ashrrev_i32_e32 v3, 31, v2
	v_lshlrev_b64 v[8:9], 2, v[2:3]
	v_add_co_u32_e32 v8, vcc, s18, v8
	v_addc_co_u32_e32 v9, vcc, v5, v9, vcc
	global_load_dword v8, v[8:9], off
	s_waitcnt vmcnt(0)
	v_mul_f32_e32 v9, 0xbfb8aa3b, v8
	v_cmp_gt_f32_e32 vcc, s23, v9
	v_cndmask_b32_e32 v9, 0, v6, vcc
	v_fmac_f32_e32 v9, 0xbfb8aa3b, v8
	v_exp_f32_e32 v8, v9
	v_cndmask_b32_e32 v9, 1.0, v7, vcc
	s_and_b64 vcc, exec, s[2:3]
	v_fma_f32 v8, v8, v9, 1.0
	v_rcp_f32_e32 v8, v8
	ds_write_b32 v4, v8
	s_cbranch_vccnz .LBB78_13
; %bb.15:                               ;   in Loop: Header=BB78_14 Depth=1
	v_lshlrev_b64 v[10:11], 1, v[2:3]
	v_mov_b32_e32 v3, s11
	v_add_co_u32_e32 v10, vcc, s10, v10
	v_addc_co_u32_e32 v11, vcc, v3, v11, vcc
	global_load_ushort v3, v[10:11], off
	s_waitcnt vmcnt(0)
	v_lshlrev_b32_e32 v3, 16, v3
	v_add_f32_e32 v3, v8, v3
	ds_write_b32 v4, v3
	s_branch .LBB78_13
.LBB78_16:
	s_or_b64 exec, exec, s[20:21]
	s_cmp_lt_i32 s17, 1
	s_waitcnt lgkmcnt(0)
	s_barrier
	s_cbranch_scc1 .LBB78_25
; %bb.17:
	s_add_u32 s2, s4, 56
	s_addc_u32 s3, s5, 0
	v_mbcnt_lo_u32_b32 v3, -1, 0
	s_cmp_lg_u64 s[10:11], 0
	v_mbcnt_hi_u32_b32 v3, -1, v3
	v_bfrev_b32_e32 v6, 0.5
	s_cselect_b64 s[8:9], -1, 0
	s_mov_b32 s16, 0
	v_mov_b32_e32 v2, 0
	v_lshl_add_u32 v4, v0, 4, 0
	v_mov_b32_e32 v5, 0
	v_lshl_or_b32 v6, v3, 2, v6
	v_mov_b32_e32 v7, 0xff800000
	v_mov_b32_e32 v3, 0
	s_branch .LBB78_19
.LBB78_18:                              ;   in Loop: Header=BB78_19 Depth=1
	s_lshl_b32 s19, s18, 2
	s_add_i32 s19, s19, 0
	v_mov_b32_e32 v8, s19
	ds_write_b32 v8, v7
	v_mov_b32_e32 v8, s18
	v_cmp_eq_u32_e32 vcc, s16, v0
	s_add_i32 s16, s16, 1
	v_cndmask_b32_e32 v2, v2, v8, vcc
	s_cmp_eq_u32 s16, s17
	v_cndmask_b32_e32 v3, v3, v10, vcc
	s_cbranch_scc1 .LBB78_26
.LBB78_19:                              ; =>This Loop Header: Depth=1
                                        ;     Child Loop BB78_21 Depth 2
	v_mov_b32_e32 v8, s16
	v_mov_b32_e32 v9, 0xff800000
	s_and_saveexec_b64 s[18:19], s[0:1]
	s_cbranch_execz .LBB78_23
; %bb.20:                               ;   in Loop: Header=BB78_19 Depth=1
	s_load_dword s22, s[2:3], 0xc
	s_mov_b64 s[20:21], 0
	v_mov_b32_e32 v8, s16
	v_mov_b32_e32 v9, 0xff800000
	;; [unrolled: 1-line block ×3, first 2 shown]
	s_waitcnt lgkmcnt(0)
	s_and_b32 s22, s22, 0xffff
	s_lshl_b32 s23, s22, 2
	s_lshl_b32 s24, s22, 4
	v_mov_b32_e32 v11, v1
	v_mov_b32_e32 v12, v0
.LBB78_21:                              ;   Parent Loop BB78_19 Depth=1
                                        ; =>  This Inner Loop Header: Depth=2
	ds_read_b128 v[14:17], v10
	v_add_u32_e32 v12, s22, v12
	v_cmp_le_i32_e32 vcc, s7, v12
	s_or_b64 s[20:21], vcc, s[20:21]
	v_add_u32_e32 v13, 1, v11
	s_waitcnt lgkmcnt(0)
	v_cmp_gt_f32_e32 vcc, v14, v9
	v_cndmask_b32_e32 v9, v9, v14, vcc
	v_cndmask_b32_e32 v8, v8, v11, vcc
	v_cmp_gt_f32_e32 vcc, v15, v9
	v_cndmask_b32_e32 v9, v9, v15, vcc
	v_cndmask_b32_e32 v8, v8, v13, vcc
	v_cmp_gt_f32_e32 vcc, v16, v9
	v_add_u32_e32 v18, 2, v11
	v_cndmask_b32_e32 v9, v9, v16, vcc
	v_add_u32_e32 v19, 3, v11
	v_cndmask_b32_e32 v8, v8, v18, vcc
	v_cmp_gt_f32_e32 vcc, v17, v9
	v_add_u32_e32 v10, s24, v10
	v_add_u32_e32 v11, s23, v11
	v_cndmask_b32_e32 v9, v9, v17, vcc
	v_cndmask_b32_e32 v8, v8, v19, vcc
	s_andn2_b64 exec, exec, s[20:21]
	s_cbranch_execnz .LBB78_21
; %bb.22:                               ;   in Loop: Header=BB78_19 Depth=1
	s_or_b64 exec, exec, s[20:21]
.LBB78_23:                              ;   in Loop: Header=BB78_19 Depth=1
	s_or_b64 exec, exec, s[18:19]
	;;#ASMSTART
	v_max_f32 v10, v9, v9 quad_perm:[1,0,3,2] row_mask:0xf bank_mask:0xf bound_ctrl:1
	;;#ASMEND
	;;#ASMSTART
	v_max_f32 v11, v10, v10 quad_perm:[2,3,0,1] row_mask:0xf bank_mask:0xf bound_ctrl:1
	;;#ASMEND
	;;#ASMSTART
	v_max_f32 v10, v11, v11 row_half_mirror row_mask:0xf bank_mask:0xf bound_ctrl:1
	;;#ASMEND
	;;#ASMSTART
	v_max_f32 v11, v10, v10 row_mirror row_mask:0xf bank_mask:0xf bound_ctrl:1
	;;#ASMEND
	;;#ASMSTART
	v_max_f32 v10, v11, v11 row_ror:4 row_mask:0xf bank_mask:0xf bound_ctrl:1
	;;#ASMEND
	;;#ASMSTART
	v_max_f32 v11, v10, v10 row_ror:8 row_mask:0xf bank_mask:0xf bound_ctrl:1
	;;#ASMEND
	;;#ASMSTART
	v_max_f32 v10, v11, v11 row_bcast:15 row_mask:0xf bank_mask:0xf bound_ctrl:1
	;;#ASMEND
	;;#ASMSTART
	v_max_f32 v11, v10, v10 row_bcast:31 row_mask:0xf bank_mask:0xf bound_ctrl:1
	;;#ASMEND
	ds_bpermute_b32 v10, v6, v11
	s_waitcnt lgkmcnt(0)
	v_cmp_eq_f32_e32 vcc, v9, v10
	s_ff1_i32_b64 s18, vcc
	s_cmp_lg_u64 vcc, 0
	s_cselect_b32 s18, s18, 0
	s_and_b64 vcc, exec, s[8:9]
	v_readlane_b32 s18, v8, s18
	s_cbranch_vccz .LBB78_18
; %bb.24:                               ;   in Loop: Header=BB78_19 Depth=1
	s_ashr_i32 s19, s18, 31
	s_lshl_b64 s[20:21], s[18:19], 1
	s_add_u32 s20, s10, s20
	s_addc_u32 s21, s11, s21
	global_load_ushort v8, v5, s[20:21]
	s_waitcnt vmcnt(0)
	v_lshlrev_b32_e32 v8, 16, v8
	v_sub_f32_e32 v10, v10, v8
	s_branch .LBB78_18
.LBB78_25:
	v_mov_b32_e32 v3, 0
	v_mov_b32_e32 v2, 0
.LBB78_26:
	v_cmp_gt_i32_e32 vcc, s17, v0
	s_and_saveexec_b64 s[0:1], vcc
	s_cbranch_execz .LBB78_29
; %bb.27:
	s_load_dword s2, s[4:5], 0x34
	s_load_dwordx2 s[0:1], s[4:5], 0x20
	s_ashr_i32 s3, s6, 31
	s_load_dword s4, s[4:5], 0x44
	v_mov_b32_e32 v4, s13
	s_waitcnt lgkmcnt(0)
	v_mul_f32_e32 v1, s2, v3
	s_mul_i32 s1, s6, s1
	s_mul_hi_u32 s2, s6, s0
	s_add_i32 s1, s2, s1
	s_mul_i32 s3, s3, s0
	s_add_i32 s5, s1, s3
	s_mul_i32 s2, s6, s0
	s_and_b32 s3, s4, 0xffff
	s_mov_b64 s[0:1], 0
	v_mov_b32_e32 v3, s5
	v_mov_b32_e32 v5, s15
.LBB78_28:                              ; =>This Inner Loop Header: Depth=1
	v_ashrrev_i32_e32 v7, 31, v0
	v_add_co_u32_e32 v6, vcc, s2, v0
	v_addc_co_u32_e32 v7, vcc, v3, v7, vcc
	v_add_u32_e32 v0, s3, v0
	v_cmp_le_i32_e32 vcc, s17, v0
	v_lshlrev_b64 v[6:7], 2, v[6:7]
	s_or_b64 s[0:1], vcc, s[0:1]
	v_add_co_u32_e32 v8, vcc, s12, v6
	v_addc_co_u32_e32 v9, vcc, v4, v7, vcc
	v_add_co_u32_e32 v6, vcc, s14, v6
	v_addc_co_u32_e32 v7, vcc, v5, v7, vcc
	global_store_dword v[8:9], v1, off
	global_store_dword v[6:7], v2, off
	s_andn2_b64 exec, exec, s[0:1]
	s_cbranch_execnz .LBB78_28
.LBB78_29:
	s_endpgm
	.section	.rodata,"a",@progbits
	.p2align	6, 0x0
	.amdhsa_kernel _ZN5aiter20topk_softplus_kernelIf12hip_bfloat16Dv4_fLb0ELi1EEEvPKT_PKT0_PfPimiiif
		.amdhsa_group_segment_fixed_size 0
		.amdhsa_private_segment_fixed_size 0
		.amdhsa_kernarg_size 312
		.amdhsa_user_sgpr_count 6
		.amdhsa_user_sgpr_private_segment_buffer 1
		.amdhsa_user_sgpr_dispatch_ptr 0
		.amdhsa_user_sgpr_queue_ptr 0
		.amdhsa_user_sgpr_kernarg_segment_ptr 1
		.amdhsa_user_sgpr_dispatch_id 0
		.amdhsa_user_sgpr_flat_scratch_init 0
		.amdhsa_user_sgpr_kernarg_preload_length 0
		.amdhsa_user_sgpr_kernarg_preload_offset 0
		.amdhsa_user_sgpr_private_segment_size 0
		.amdhsa_uses_dynamic_stack 0
		.amdhsa_system_sgpr_private_segment_wavefront_offset 0
		.amdhsa_system_sgpr_workgroup_id_x 1
		.amdhsa_system_sgpr_workgroup_id_y 0
		.amdhsa_system_sgpr_workgroup_id_z 0
		.amdhsa_system_sgpr_workgroup_info 0
		.amdhsa_system_vgpr_workitem_id 0
		.amdhsa_next_free_vgpr 20
		.amdhsa_next_free_sgpr 36
		.amdhsa_accum_offset 20
		.amdhsa_reserve_vcc 1
		.amdhsa_reserve_flat_scratch 0
		.amdhsa_float_round_mode_32 0
		.amdhsa_float_round_mode_16_64 0
		.amdhsa_float_denorm_mode_32 3
		.amdhsa_float_denorm_mode_16_64 3
		.amdhsa_dx10_clamp 1
		.amdhsa_ieee_mode 1
		.amdhsa_fp16_overflow 0
		.amdhsa_tg_split 0
		.amdhsa_exception_fp_ieee_invalid_op 0
		.amdhsa_exception_fp_denorm_src 0
		.amdhsa_exception_fp_ieee_div_zero 0
		.amdhsa_exception_fp_ieee_overflow 0
		.amdhsa_exception_fp_ieee_underflow 0
		.amdhsa_exception_fp_ieee_inexact 0
		.amdhsa_exception_int_div_zero 0
	.end_amdhsa_kernel
	.section	.text._ZN5aiter20topk_softplus_kernelIf12hip_bfloat16Dv4_fLb0ELi1EEEvPKT_PKT0_PfPimiiif,"axG",@progbits,_ZN5aiter20topk_softplus_kernelIf12hip_bfloat16Dv4_fLb0ELi1EEEvPKT_PKT0_PfPimiiif,comdat
.Lfunc_end78:
	.size	_ZN5aiter20topk_softplus_kernelIf12hip_bfloat16Dv4_fLb0ELi1EEEvPKT_PKT0_PfPimiiif, .Lfunc_end78-_ZN5aiter20topk_softplus_kernelIf12hip_bfloat16Dv4_fLb0ELi1EEEvPKT_PKT0_PfPimiiif
                                        ; -- End function
	.section	.AMDGPU.csdata,"",@progbits
; Kernel info:
; codeLenInByte = 1592
; NumSgprs: 40
; NumVgprs: 20
; NumAgprs: 0
; TotalNumVgprs: 20
; ScratchSize: 0
; MemoryBound: 0
; FloatMode: 240
; IeeeMode: 1
; LDSByteSize: 0 bytes/workgroup (compile time only)
; SGPRBlocks: 4
; VGPRBlocks: 2
; NumSGPRsForWavesPerEU: 40
; NumVGPRsForWavesPerEU: 20
; AccumOffset: 20
; Occupancy: 8
; WaveLimiterHint : 0
; COMPUTE_PGM_RSRC2:SCRATCH_EN: 0
; COMPUTE_PGM_RSRC2:USER_SGPR: 6
; COMPUTE_PGM_RSRC2:TRAP_HANDLER: 0
; COMPUTE_PGM_RSRC2:TGID_X_EN: 1
; COMPUTE_PGM_RSRC2:TGID_Y_EN: 0
; COMPUTE_PGM_RSRC2:TGID_Z_EN: 0
; COMPUTE_PGM_RSRC2:TIDIG_COMP_CNT: 0
; COMPUTE_PGM_RSRC3_GFX90A:ACCUM_OFFSET: 4
; COMPUTE_PGM_RSRC3_GFX90A:TG_SPLIT: 0
	.section	.text._ZN5aiter20topk_softplus_kernelIf12hip_bfloat16Dv2_fLb1ELi1EEEvPKT_PKT0_PfPimiiif,"axG",@progbits,_ZN5aiter20topk_softplus_kernelIf12hip_bfloat16Dv2_fLb1ELi1EEEvPKT_PKT0_PfPimiiif,comdat
	.protected	_ZN5aiter20topk_softplus_kernelIf12hip_bfloat16Dv2_fLb1ELi1EEEvPKT_PKT0_PfPimiiif ; -- Begin function _ZN5aiter20topk_softplus_kernelIf12hip_bfloat16Dv2_fLb1ELi1EEEvPKT_PKT0_PfPimiiif
	.globl	_ZN5aiter20topk_softplus_kernelIf12hip_bfloat16Dv2_fLb1ELi1EEEvPKT_PKT0_PfPimiiif
	.p2align	8
	.type	_ZN5aiter20topk_softplus_kernelIf12hip_bfloat16Dv2_fLb1ELi1EEEvPKT_PKT0_PfPimiiif,@function
_ZN5aiter20topk_softplus_kernelIf12hip_bfloat16Dv2_fLb1ELi1EEEvPKT_PKT0_PfPimiiif: ; @_ZN5aiter20topk_softplus_kernelIf12hip_bfloat16Dv2_fLb1ELi1EEEvPKT_PKT0_PfPimiiif
; %bb.0:
	s_load_dwordx2 s[16:17], s[4:5], 0x28
	s_load_dwordx8 s[8:15], s[4:5], 0x0
	s_waitcnt lgkmcnt(0)
	s_lshr_b32 s0, s16, 31
	s_add_i32 s0, s16, s0
	s_mul_i32 s18, s6, s16
	s_ashr_i32 s7, s0, 1
	s_ashr_i32 s19, s18, 31
	v_cmp_gt_i32_e64 s[0:1], s7, v0
	s_and_saveexec_b64 s[20:21], s[0:1]
	s_cbranch_execz .LBB79_7
; %bb.1:
	s_load_dword s24, s[4:5], 0x44
	s_cmp_lg_u64 s[10:11], 0
	s_cselect_b64 s[2:3], -1, 0
	s_lshl_b64 s[26:27], s[18:19], 2
	v_lshlrev_b32_e32 v1, 3, v0
	s_waitcnt lgkmcnt(0)
	s_and_b32 s24, s24, 0xffff
	s_add_u32 s25, s8, s26
	s_addc_u32 s26, s9, s27
	v_mov_b32_e32 v3, s26
	v_add_co_u32_e32 v2, vcc, s25, v1
	v_addc_co_u32_e32 v3, vcc, 0, v3, vcc
	v_lshlrev_b32_e32 v4, 2, v0
	v_mov_b32_e32 v5, s11
	v_add_co_u32_e32 v4, vcc, s10, v4
	v_addc_co_u32_e32 v5, vcc, 0, v5, vcc
	s_mov_b32 s28, 0
	v_add_co_u32_e32 v4, vcc, 2, v4
	v_cndmask_b32_e64 v6, 0, 1, s[2:3]
	s_mov_b64 s[22:23], 0
	s_lshl_b32 s25, s24, 3
	v_addc_co_u32_e32 v5, vcc, 0, v5, vcc
	s_lshl_b32 s26, s24, 2
	v_add_u32_e32 v1, 0, v1
	s_mov_b32 s27, 0xc2fc0000
	v_mov_b32_e32 v8, 0x1f800000
	v_mov_b32_e32 v9, 0x42800000
	v_cmp_ne_u32_e64 s[2:3], 1, v6
	v_mov_b32_e32 v10, s28
	v_mov_b32_e32 v11, s28
	;; [unrolled: 1-line block ×3, first 2 shown]
	s_branch .LBB79_3
.LBB79_2:                               ;   in Loop: Header=BB79_3 Depth=1
	v_add_co_u32_e32 v2, vcc, s25, v2
	v_addc_co_u32_e32 v3, vcc, v3, v10, vcc
	v_add_co_u32_e32 v4, vcc, s26, v4
	v_add_u32_e32 v12, s24, v12
	v_addc_co_u32_e32 v5, vcc, v5, v11, vcc
	v_cmp_le_i32_e32 vcc, s7, v12
	ds_write_b64 v1, v[6:7]
	s_or_b64 s[22:23], vcc, s[22:23]
	v_add_u32_e32 v1, s25, v1
	s_andn2_b64 exec, exec, s[22:23]
	s_cbranch_execz .LBB79_7
.LBB79_3:                               ; =>This Inner Loop Header: Depth=1
	global_load_dwordx2 v[6:7], v[2:3], off
	s_waitcnt vmcnt(0)
	v_mul_f32_e32 v13, 0xbfb8aa3b, v6
	v_cmp_gt_f32_e32 vcc, s27, v13
	v_cndmask_b32_e32 v14, 0, v9, vcc
	v_fmac_f32_e32 v14, 0xbfb8aa3b, v6
	v_exp_f32_e32 v6, v14
	v_cndmask_b32_e32 v13, 1.0, v8, vcc
	s_and_b64 vcc, exec, s[2:3]
	v_fma_f32 v6, v6, v13, 1.0
	v_rcp_f32_e32 v6, v6
	s_cbranch_vccnz .LBB79_5
; %bb.4:                                ;   in Loop: Header=BB79_3 Depth=1
	global_load_ushort v13, v[4:5], off offset:-2
	s_waitcnt vmcnt(0)
	v_lshlrev_b32_e32 v13, 16, v13
	v_add_f32_e32 v6, v6, v13
.LBB79_5:                               ;   in Loop: Header=BB79_3 Depth=1
	v_mul_f32_e32 v13, 0xbfb8aa3b, v7
	v_cmp_gt_f32_e32 vcc, s27, v13
	v_cndmask_b32_e32 v14, 0, v9, vcc
	v_fmac_f32_e32 v14, 0xbfb8aa3b, v7
	v_exp_f32_e32 v7, v14
	v_cndmask_b32_e32 v13, 1.0, v8, vcc
	s_and_b64 vcc, exec, s[2:3]
	v_fma_f32 v7, v7, v13, 1.0
	v_rcp_f32_e32 v7, v7
	s_cbranch_vccnz .LBB79_2
; %bb.6:                                ;   in Loop: Header=BB79_3 Depth=1
	global_load_ushort v13, v[4:5], off
	s_waitcnt vmcnt(0)
	v_lshlrev_b32_e32 v13, 16, v13
	v_add_f32_e32 v7, v7, v13
	s_branch .LBB79_2
.LBB79_7:
	s_or_b64 exec, exec, s[20:21]
	v_lshl_add_u32 v2, s7, 1, v0
	v_cmp_gt_i32_e32 vcc, s16, v2
	s_and_saveexec_b64 s[20:21], vcc
	s_cbranch_execz .LBB79_12
; %bb.8:
	s_lshl_b64 s[2:3], s[18:19], 2
	s_load_dword s19, s[4:5], 0x44
	s_add_u32 s18, s8, s2
	s_addc_u32 s23, s9, s3
	s_cmp_lg_u64 s[10:11], 0
	s_cselect_b64 s[2:3], -1, 0
	s_lshl_b32 s22, s7, 3
	s_waitcnt lgkmcnt(0)
	s_and_b32 s19, s19, 0xffff
	s_add_i32 s22, s22, 0
	v_cndmask_b32_e64 v3, 0, 1, s[2:3]
	s_mov_b64 s[8:9], 0
	v_lshl_add_u32 v1, v0, 2, s22
	s_lshl_b32 s22, s19, 2
	v_mov_b32_e32 v4, s23
	s_mov_b32 s23, 0xc2fc0000
	v_mov_b32_e32 v5, 0x42800000
	v_mov_b32_e32 v6, 0x1f800000
	v_cmp_ne_u32_e64 s[2:3], 1, v3
	s_branch .LBB79_10
.LBB79_9:                               ;   in Loop: Header=BB79_10 Depth=1
	v_add_u32_e32 v2, s19, v2
	v_cmp_le_i32_e32 vcc, s16, v2
	s_or_b64 s[8:9], vcc, s[8:9]
	v_add_u32_e32 v1, s22, v1
	s_andn2_b64 exec, exec, s[8:9]
	s_cbranch_execz .LBB79_12
.LBB79_10:                              ; =>This Inner Loop Header: Depth=1
	v_ashrrev_i32_e32 v3, 31, v2
	v_lshlrev_b64 v[8:9], 2, v[2:3]
	v_add_co_u32_e32 v8, vcc, s18, v8
	v_addc_co_u32_e32 v9, vcc, v4, v9, vcc
	global_load_dword v7, v[8:9], off
	s_waitcnt vmcnt(0)
	v_mul_f32_e32 v8, 0xbfb8aa3b, v7
	v_cmp_gt_f32_e32 vcc, s23, v8
	v_cndmask_b32_e32 v8, 0, v5, vcc
	v_fmac_f32_e32 v8, 0xbfb8aa3b, v7
	v_exp_f32_e32 v7, v8
	v_cndmask_b32_e32 v8, 1.0, v6, vcc
	s_and_b64 vcc, exec, s[2:3]
	v_fma_f32 v7, v7, v8, 1.0
	v_rcp_f32_e32 v7, v7
	ds_write_b32 v1, v7
	s_cbranch_vccnz .LBB79_9
; %bb.11:                               ;   in Loop: Header=BB79_10 Depth=1
	v_lshlrev_b64 v[8:9], 1, v[2:3]
	v_mov_b32_e32 v3, s11
	v_add_co_u32_e32 v8, vcc, s10, v8
	v_addc_co_u32_e32 v9, vcc, v3, v9, vcc
	global_load_ushort v3, v[8:9], off
	s_waitcnt vmcnt(0)
	v_lshlrev_b32_e32 v3, 16, v3
	v_add_f32_e32 v3, v7, v3
	ds_write_b32 v1, v3
	s_branch .LBB79_9
.LBB79_12:
	s_or_b64 exec, exec, s[20:21]
	s_cmp_lt_i32 s17, 1
	v_mov_b32_e32 v2, 0
	s_waitcnt lgkmcnt(0)
	s_barrier
	s_cbranch_scc1 .LBB79_21
; %bb.13:
	s_add_u32 s2, s4, 56
	s_addc_u32 s3, s5, 0
	v_mbcnt_lo_u32_b32 v1, -1, 0
	s_cmp_lg_u64 s[10:11], 0
	v_mbcnt_hi_u32_b32 v1, -1, v1
	v_bfrev_b32_e32 v3, 0.5
	s_cselect_b64 s[8:9], -1, 0
	v_lshlrev_b32_e32 v4, 1, v0
	v_lshl_add_u32 v5, v0, 3, 0
	s_mov_b32 s16, 0
	v_mov_b32_e32 v2, 0
	v_lshl_or_b32 v6, v1, 2, v3
	v_mov_b32_e32 v7, 0
	v_mov_b32_e32 v8, 0xff800000
	;; [unrolled: 1-line block ×4, first 2 shown]
	s_branch .LBB79_15
.LBB79_14:                              ;   in Loop: Header=BB79_15 Depth=1
	s_lshl_b32 s19, s18, 2
	s_add_i32 s19, s19, 0
	v_mov_b32_e32 v9, s19
	ds_write_b32 v9, v8
	v_mov_b32_e32 v9, s18
	v_cmp_eq_u32_e32 vcc, s16, v0
	s_add_i32 s16, s16, 1
	v_cndmask_b32_e32 v1, v1, v9, vcc
	v_cndmask_b32_e32 v2, v2, v11, vcc
	s_cmp_eq_u32 s16, s17
	v_add_f32_e32 v3, v3, v11
	s_cbranch_scc1 .LBB79_22
.LBB79_15:                              ; =>This Loop Header: Depth=1
                                        ;     Child Loop BB79_17 Depth 2
	v_mov_b32_e32 v9, s16
	v_mov_b32_e32 v10, 0xff800000
	s_and_saveexec_b64 s[18:19], s[0:1]
	s_cbranch_execz .LBB79_19
; %bb.16:                               ;   in Loop: Header=BB79_15 Depth=1
	s_load_dword s22, s[2:3], 0xc
	s_mov_b64 s[20:21], 0
	v_mov_b32_e32 v9, s16
	v_mov_b32_e32 v10, 0xff800000
	;; [unrolled: 1-line block ×3, first 2 shown]
	s_waitcnt lgkmcnt(0)
	s_and_b32 s22, s22, 0xffff
	s_lshl_b32 s23, s22, 1
	s_lshl_b32 s24, s22, 3
	v_mov_b32_e32 v12, v4
	v_mov_b32_e32 v13, v0
.LBB79_17:                              ;   Parent Loop BB79_15 Depth=1
                                        ; =>  This Inner Loop Header: Depth=2
	ds_read_b64 v[14:15], v11
	v_add_u32_e32 v13, s22, v13
	v_cmp_le_i32_e32 vcc, s7, v13
	s_or_b64 s[20:21], vcc, s[20:21]
	v_add_u32_e32 v16, 1, v12
	s_waitcnt lgkmcnt(0)
	v_cmp_gt_f32_e32 vcc, v14, v10
	v_cndmask_b32_e32 v10, v10, v14, vcc
	v_cndmask_b32_e32 v9, v9, v12, vcc
	v_cmp_gt_f32_e32 vcc, v15, v10
	v_add_u32_e32 v11, s24, v11
	v_cndmask_b32_e32 v10, v10, v15, vcc
	v_add_u32_e32 v12, s23, v12
	v_cndmask_b32_e32 v9, v9, v16, vcc
	s_andn2_b64 exec, exec, s[20:21]
	s_cbranch_execnz .LBB79_17
; %bb.18:                               ;   in Loop: Header=BB79_15 Depth=1
	s_or_b64 exec, exec, s[20:21]
.LBB79_19:                              ;   in Loop: Header=BB79_15 Depth=1
	s_or_b64 exec, exec, s[18:19]
	;;#ASMSTART
	v_max_f32 v11, v10, v10 quad_perm:[1,0,3,2] row_mask:0xf bank_mask:0xf bound_ctrl:1
	;;#ASMEND
	;;#ASMSTART
	v_max_f32 v12, v11, v11 quad_perm:[2,3,0,1] row_mask:0xf bank_mask:0xf bound_ctrl:1
	;;#ASMEND
	;;#ASMSTART
	v_max_f32 v11, v12, v12 row_half_mirror row_mask:0xf bank_mask:0xf bound_ctrl:1
	;;#ASMEND
	;;#ASMSTART
	v_max_f32 v12, v11, v11 row_mirror row_mask:0xf bank_mask:0xf bound_ctrl:1
	;;#ASMEND
	;;#ASMSTART
	v_max_f32 v11, v12, v12 row_ror:4 row_mask:0xf bank_mask:0xf bound_ctrl:1
	;;#ASMEND
	;;#ASMSTART
	v_max_f32 v12, v11, v11 row_ror:8 row_mask:0xf bank_mask:0xf bound_ctrl:1
	;;#ASMEND
	;;#ASMSTART
	v_max_f32 v11, v12, v12 row_bcast:15 row_mask:0xf bank_mask:0xf bound_ctrl:1
	;;#ASMEND
	;;#ASMSTART
	v_max_f32 v12, v11, v11 row_bcast:31 row_mask:0xf bank_mask:0xf bound_ctrl:1
	;;#ASMEND
	ds_bpermute_b32 v11, v6, v12
	s_waitcnt lgkmcnt(0)
	v_cmp_eq_f32_e32 vcc, v10, v11
	s_ff1_i32_b64 s18, vcc
	s_cmp_lg_u64 vcc, 0
	s_cselect_b32 s18, s18, 0
	s_and_b64 vcc, exec, s[8:9]
	v_readlane_b32 s18, v9, s18
	s_cbranch_vccz .LBB79_14
; %bb.20:                               ;   in Loop: Header=BB79_15 Depth=1
	s_ashr_i32 s19, s18, 31
	s_lshl_b64 s[20:21], s[18:19], 1
	s_add_u32 s20, s10, s20
	s_addc_u32 s21, s11, s21
	global_load_ushort v9, v7, s[20:21]
	s_waitcnt vmcnt(0)
	v_lshlrev_b32_e32 v9, 16, v9
	v_sub_f32_e32 v11, v11, v9
	s_branch .LBB79_14
.LBB79_21:
	v_mov_b32_e32 v1, 0
	v_mov_b32_e32 v3, 0
.LBB79_22:
	v_cmp_gt_i32_e32 vcc, s17, v0
	s_and_saveexec_b64 s[0:1], vcc
	s_cbranch_execz .LBB79_25
; %bb.23:
	s_load_dword s2, s[4:5], 0x34
	v_max_f32_e32 v3, v3, v3
	v_max_f32_e32 v3, 0x1e3ce508, v3
	s_load_dword s3, s[4:5], 0x44
	s_waitcnt lgkmcnt(0)
	v_div_scale_f32 v4, s[0:1], v3, v3, s2
	s_load_dwordx2 s[0:1], s[4:5], 0x20
	v_rcp_f32_e32 v5, v4
	v_div_scale_f32 v6, vcc, s2, v3, s2
	s_and_b32 s3, s3, 0xffff
	v_fma_f32 v7, -v4, v5, 1.0
	v_fmac_f32_e32 v5, v7, v5
	v_mul_f32_e32 v7, v6, v5
	v_fma_f32 v8, -v4, v7, v6
	v_fmac_f32_e32 v7, v8, v5
	v_fma_f32 v4, -v4, v7, v6
	v_div_fmas_f32 v4, v4, v5, v7
	v_div_fixup_f32 v3, v4, v3, s2
	s_ashr_i32 s2, s6, 31
	s_waitcnt lgkmcnt(0)
	s_mul_i32 s1, s6, s1
	s_mul_hi_u32 s4, s6, s0
	s_add_i32 s1, s4, s1
	s_mul_i32 s2, s2, s0
	s_add_i32 s4, s1, s2
	v_mul_f32_e32 v2, v2, v3
	s_mul_i32 s2, s6, s0
	s_mov_b64 s[0:1], 0
	v_mov_b32_e32 v3, s4
	v_mov_b32_e32 v4, s13
	;; [unrolled: 1-line block ×3, first 2 shown]
.LBB79_24:                              ; =>This Inner Loop Header: Depth=1
	v_ashrrev_i32_e32 v7, 31, v0
	v_add_co_u32_e32 v6, vcc, s2, v0
	v_addc_co_u32_e32 v7, vcc, v3, v7, vcc
	v_add_u32_e32 v0, s3, v0
	v_cmp_le_i32_e32 vcc, s17, v0
	v_lshlrev_b64 v[6:7], 2, v[6:7]
	s_or_b64 s[0:1], vcc, s[0:1]
	v_add_co_u32_e32 v8, vcc, s12, v6
	v_addc_co_u32_e32 v9, vcc, v4, v7, vcc
	v_add_co_u32_e32 v6, vcc, s14, v6
	v_addc_co_u32_e32 v7, vcc, v5, v7, vcc
	global_store_dword v[8:9], v2, off
	global_store_dword v[6:7], v1, off
	s_andn2_b64 exec, exec, s[0:1]
	s_cbranch_execnz .LBB79_24
.LBB79_25:
	s_endpgm
	.section	.rodata,"a",@progbits
	.p2align	6, 0x0
	.amdhsa_kernel _ZN5aiter20topk_softplus_kernelIf12hip_bfloat16Dv2_fLb1ELi1EEEvPKT_PKT0_PfPimiiif
		.amdhsa_group_segment_fixed_size 0
		.amdhsa_private_segment_fixed_size 0
		.amdhsa_kernarg_size 312
		.amdhsa_user_sgpr_count 6
		.amdhsa_user_sgpr_private_segment_buffer 1
		.amdhsa_user_sgpr_dispatch_ptr 0
		.amdhsa_user_sgpr_queue_ptr 0
		.amdhsa_user_sgpr_kernarg_segment_ptr 1
		.amdhsa_user_sgpr_dispatch_id 0
		.amdhsa_user_sgpr_flat_scratch_init 0
		.amdhsa_user_sgpr_kernarg_preload_length 0
		.amdhsa_user_sgpr_kernarg_preload_offset 0
		.amdhsa_user_sgpr_private_segment_size 0
		.amdhsa_uses_dynamic_stack 0
		.amdhsa_system_sgpr_private_segment_wavefront_offset 0
		.amdhsa_system_sgpr_workgroup_id_x 1
		.amdhsa_system_sgpr_workgroup_id_y 0
		.amdhsa_system_sgpr_workgroup_id_z 0
		.amdhsa_system_sgpr_workgroup_info 0
		.amdhsa_system_vgpr_workitem_id 0
		.amdhsa_next_free_vgpr 17
		.amdhsa_next_free_sgpr 29
		.amdhsa_accum_offset 20
		.amdhsa_reserve_vcc 1
		.amdhsa_reserve_flat_scratch 0
		.amdhsa_float_round_mode_32 0
		.amdhsa_float_round_mode_16_64 0
		.amdhsa_float_denorm_mode_32 3
		.amdhsa_float_denorm_mode_16_64 3
		.amdhsa_dx10_clamp 1
		.amdhsa_ieee_mode 1
		.amdhsa_fp16_overflow 0
		.amdhsa_tg_split 0
		.amdhsa_exception_fp_ieee_invalid_op 0
		.amdhsa_exception_fp_denorm_src 0
		.amdhsa_exception_fp_ieee_div_zero 0
		.amdhsa_exception_fp_ieee_overflow 0
		.amdhsa_exception_fp_ieee_underflow 0
		.amdhsa_exception_fp_ieee_inexact 0
		.amdhsa_exception_int_div_zero 0
	.end_amdhsa_kernel
	.section	.text._ZN5aiter20topk_softplus_kernelIf12hip_bfloat16Dv2_fLb1ELi1EEEvPKT_PKT0_PfPimiiif,"axG",@progbits,_ZN5aiter20topk_softplus_kernelIf12hip_bfloat16Dv2_fLb1ELi1EEEvPKT_PKT0_PfPimiiif,comdat
.Lfunc_end79:
	.size	_ZN5aiter20topk_softplus_kernelIf12hip_bfloat16Dv2_fLb1ELi1EEEvPKT_PKT0_PfPimiiif, .Lfunc_end79-_ZN5aiter20topk_softplus_kernelIf12hip_bfloat16Dv2_fLb1ELi1EEEvPKT_PKT0_PfPimiiif
                                        ; -- End function
	.section	.AMDGPU.csdata,"",@progbits
; Kernel info:
; codeLenInByte = 1456
; NumSgprs: 33
; NumVgprs: 17
; NumAgprs: 0
; TotalNumVgprs: 17
; ScratchSize: 0
; MemoryBound: 0
; FloatMode: 240
; IeeeMode: 1
; LDSByteSize: 0 bytes/workgroup (compile time only)
; SGPRBlocks: 4
; VGPRBlocks: 2
; NumSGPRsForWavesPerEU: 33
; NumVGPRsForWavesPerEU: 17
; AccumOffset: 20
; Occupancy: 8
; WaveLimiterHint : 0
; COMPUTE_PGM_RSRC2:SCRATCH_EN: 0
; COMPUTE_PGM_RSRC2:USER_SGPR: 6
; COMPUTE_PGM_RSRC2:TRAP_HANDLER: 0
; COMPUTE_PGM_RSRC2:TGID_X_EN: 1
; COMPUTE_PGM_RSRC2:TGID_Y_EN: 0
; COMPUTE_PGM_RSRC2:TGID_Z_EN: 0
; COMPUTE_PGM_RSRC2:TIDIG_COMP_CNT: 0
; COMPUTE_PGM_RSRC3_GFX90A:ACCUM_OFFSET: 4
; COMPUTE_PGM_RSRC3_GFX90A:TG_SPLIT: 0
	.section	.text._ZN5aiter20topk_softplus_kernelIf12hip_bfloat16Dv2_fLb0ELi1EEEvPKT_PKT0_PfPimiiif,"axG",@progbits,_ZN5aiter20topk_softplus_kernelIf12hip_bfloat16Dv2_fLb0ELi1EEEvPKT_PKT0_PfPimiiif,comdat
	.protected	_ZN5aiter20topk_softplus_kernelIf12hip_bfloat16Dv2_fLb0ELi1EEEvPKT_PKT0_PfPimiiif ; -- Begin function _ZN5aiter20topk_softplus_kernelIf12hip_bfloat16Dv2_fLb0ELi1EEEvPKT_PKT0_PfPimiiif
	.globl	_ZN5aiter20topk_softplus_kernelIf12hip_bfloat16Dv2_fLb0ELi1EEEvPKT_PKT0_PfPimiiif
	.p2align	8
	.type	_ZN5aiter20topk_softplus_kernelIf12hip_bfloat16Dv2_fLb0ELi1EEEvPKT_PKT0_PfPimiiif,@function
_ZN5aiter20topk_softplus_kernelIf12hip_bfloat16Dv2_fLb0ELi1EEEvPKT_PKT0_PfPimiiif: ; @_ZN5aiter20topk_softplus_kernelIf12hip_bfloat16Dv2_fLb0ELi1EEEvPKT_PKT0_PfPimiiif
; %bb.0:
	s_load_dwordx2 s[16:17], s[4:5], 0x28
	s_load_dwordx8 s[8:15], s[4:5], 0x0
	s_waitcnt lgkmcnt(0)
	s_lshr_b32 s0, s16, 31
	s_add_i32 s0, s16, s0
	s_mul_i32 s18, s6, s16
	s_ashr_i32 s7, s0, 1
	s_ashr_i32 s19, s18, 31
	v_cmp_gt_i32_e64 s[0:1], s7, v0
	s_and_saveexec_b64 s[20:21], s[0:1]
	s_cbranch_execz .LBB80_7
; %bb.1:
	s_load_dword s24, s[4:5], 0x44
	s_cmp_lg_u64 s[10:11], 0
	s_cselect_b64 s[2:3], -1, 0
	s_lshl_b64 s[26:27], s[18:19], 2
	v_lshlrev_b32_e32 v1, 3, v0
	s_waitcnt lgkmcnt(0)
	s_and_b32 s24, s24, 0xffff
	s_add_u32 s25, s8, s26
	s_addc_u32 s26, s9, s27
	v_mov_b32_e32 v3, s26
	v_add_co_u32_e32 v2, vcc, s25, v1
	v_addc_co_u32_e32 v3, vcc, 0, v3, vcc
	v_lshlrev_b32_e32 v4, 2, v0
	v_mov_b32_e32 v5, s11
	v_add_co_u32_e32 v4, vcc, s10, v4
	v_addc_co_u32_e32 v5, vcc, 0, v5, vcc
	s_mov_b32 s28, 0
	v_add_co_u32_e32 v4, vcc, 2, v4
	v_cndmask_b32_e64 v6, 0, 1, s[2:3]
	s_mov_b64 s[22:23], 0
	s_lshl_b32 s25, s24, 3
	v_addc_co_u32_e32 v5, vcc, 0, v5, vcc
	s_lshl_b32 s26, s24, 2
	v_add_u32_e32 v1, 0, v1
	s_mov_b32 s27, 0xc2fc0000
	v_mov_b32_e32 v8, 0x1f800000
	v_mov_b32_e32 v9, 0x42800000
	v_cmp_ne_u32_e64 s[2:3], 1, v6
	v_mov_b32_e32 v10, s28
	v_mov_b32_e32 v11, s28
	v_mov_b32_e32 v12, v0
	s_branch .LBB80_3
.LBB80_2:                               ;   in Loop: Header=BB80_3 Depth=1
	v_add_co_u32_e32 v2, vcc, s25, v2
	v_addc_co_u32_e32 v3, vcc, v3, v10, vcc
	v_add_co_u32_e32 v4, vcc, s26, v4
	v_add_u32_e32 v12, s24, v12
	v_addc_co_u32_e32 v5, vcc, v5, v11, vcc
	v_cmp_le_i32_e32 vcc, s7, v12
	ds_write_b64 v1, v[6:7]
	s_or_b64 s[22:23], vcc, s[22:23]
	v_add_u32_e32 v1, s25, v1
	s_andn2_b64 exec, exec, s[22:23]
	s_cbranch_execz .LBB80_7
.LBB80_3:                               ; =>This Inner Loop Header: Depth=1
	global_load_dwordx2 v[6:7], v[2:3], off
	s_waitcnt vmcnt(0)
	v_mul_f32_e32 v13, 0xbfb8aa3b, v6
	v_cmp_gt_f32_e32 vcc, s27, v13
	v_cndmask_b32_e32 v14, 0, v9, vcc
	v_fmac_f32_e32 v14, 0xbfb8aa3b, v6
	v_exp_f32_e32 v6, v14
	v_cndmask_b32_e32 v13, 1.0, v8, vcc
	s_and_b64 vcc, exec, s[2:3]
	v_fma_f32 v6, v6, v13, 1.0
	v_rcp_f32_e32 v6, v6
	s_cbranch_vccnz .LBB80_5
; %bb.4:                                ;   in Loop: Header=BB80_3 Depth=1
	global_load_ushort v13, v[4:5], off offset:-2
	s_waitcnt vmcnt(0)
	v_lshlrev_b32_e32 v13, 16, v13
	v_add_f32_e32 v6, v6, v13
.LBB80_5:                               ;   in Loop: Header=BB80_3 Depth=1
	v_mul_f32_e32 v13, 0xbfb8aa3b, v7
	v_cmp_gt_f32_e32 vcc, s27, v13
	v_cndmask_b32_e32 v14, 0, v9, vcc
	v_fmac_f32_e32 v14, 0xbfb8aa3b, v7
	v_exp_f32_e32 v7, v14
	v_cndmask_b32_e32 v13, 1.0, v8, vcc
	s_and_b64 vcc, exec, s[2:3]
	v_fma_f32 v7, v7, v13, 1.0
	v_rcp_f32_e32 v7, v7
	s_cbranch_vccnz .LBB80_2
; %bb.6:                                ;   in Loop: Header=BB80_3 Depth=1
	global_load_ushort v13, v[4:5], off
	s_waitcnt vmcnt(0)
	v_lshlrev_b32_e32 v13, 16, v13
	v_add_f32_e32 v7, v7, v13
	s_branch .LBB80_2
.LBB80_7:
	s_or_b64 exec, exec, s[20:21]
	v_lshl_add_u32 v2, s7, 1, v0
	v_cmp_gt_i32_e32 vcc, s16, v2
	s_and_saveexec_b64 s[20:21], vcc
	s_cbranch_execz .LBB80_12
; %bb.8:
	s_lshl_b64 s[2:3], s[18:19], 2
	s_load_dword s19, s[4:5], 0x44
	s_add_u32 s18, s8, s2
	s_addc_u32 s23, s9, s3
	s_cmp_lg_u64 s[10:11], 0
	s_cselect_b64 s[2:3], -1, 0
	s_lshl_b32 s22, s7, 3
	s_waitcnt lgkmcnt(0)
	s_and_b32 s19, s19, 0xffff
	s_add_i32 s22, s22, 0
	v_cndmask_b32_e64 v3, 0, 1, s[2:3]
	s_mov_b64 s[8:9], 0
	v_lshl_add_u32 v1, v0, 2, s22
	s_lshl_b32 s22, s19, 2
	v_mov_b32_e32 v4, s23
	s_mov_b32 s23, 0xc2fc0000
	v_mov_b32_e32 v5, 0x42800000
	v_mov_b32_e32 v6, 0x1f800000
	v_cmp_ne_u32_e64 s[2:3], 1, v3
	s_branch .LBB80_10
.LBB80_9:                               ;   in Loop: Header=BB80_10 Depth=1
	v_add_u32_e32 v2, s19, v2
	v_cmp_le_i32_e32 vcc, s16, v2
	s_or_b64 s[8:9], vcc, s[8:9]
	v_add_u32_e32 v1, s22, v1
	s_andn2_b64 exec, exec, s[8:9]
	s_cbranch_execz .LBB80_12
.LBB80_10:                              ; =>This Inner Loop Header: Depth=1
	v_ashrrev_i32_e32 v3, 31, v2
	v_lshlrev_b64 v[8:9], 2, v[2:3]
	v_add_co_u32_e32 v8, vcc, s18, v8
	v_addc_co_u32_e32 v9, vcc, v4, v9, vcc
	global_load_dword v7, v[8:9], off
	s_waitcnt vmcnt(0)
	v_mul_f32_e32 v8, 0xbfb8aa3b, v7
	v_cmp_gt_f32_e32 vcc, s23, v8
	v_cndmask_b32_e32 v8, 0, v5, vcc
	v_fmac_f32_e32 v8, 0xbfb8aa3b, v7
	v_exp_f32_e32 v7, v8
	v_cndmask_b32_e32 v8, 1.0, v6, vcc
	s_and_b64 vcc, exec, s[2:3]
	v_fma_f32 v7, v7, v8, 1.0
	v_rcp_f32_e32 v7, v7
	ds_write_b32 v1, v7
	s_cbranch_vccnz .LBB80_9
; %bb.11:                               ;   in Loop: Header=BB80_10 Depth=1
	v_lshlrev_b64 v[8:9], 1, v[2:3]
	v_mov_b32_e32 v3, s11
	v_add_co_u32_e32 v8, vcc, s10, v8
	v_addc_co_u32_e32 v9, vcc, v3, v9, vcc
	global_load_ushort v3, v[8:9], off
	s_waitcnt vmcnt(0)
	v_lshlrev_b32_e32 v3, 16, v3
	v_add_f32_e32 v3, v7, v3
	ds_write_b32 v1, v3
	s_branch .LBB80_9
.LBB80_12:
	s_or_b64 exec, exec, s[20:21]
	s_cmp_lt_i32 s17, 1
	s_waitcnt lgkmcnt(0)
	s_barrier
	s_cbranch_scc1 .LBB80_21
; %bb.13:
	s_add_u32 s2, s4, 56
	s_addc_u32 s3, s5, 0
	v_mbcnt_lo_u32_b32 v2, -1, 0
	s_cmp_lg_u64 s[10:11], 0
	v_mbcnt_hi_u32_b32 v2, -1, v2
	v_bfrev_b32_e32 v6, 0.5
	s_cselect_b64 s[8:9], -1, 0
	v_lshlrev_b32_e32 v3, 1, v0
	s_mov_b32 s16, 0
	v_mov_b32_e32 v1, 0
	v_lshl_add_u32 v4, v0, 3, 0
	v_mov_b32_e32 v5, 0
	v_lshl_or_b32 v6, v2, 2, v6
	v_mov_b32_e32 v7, 0xff800000
	v_mov_b32_e32 v2, 0
	s_branch .LBB80_15
.LBB80_14:                              ;   in Loop: Header=BB80_15 Depth=1
	s_lshl_b32 s19, s18, 2
	s_add_i32 s19, s19, 0
	v_mov_b32_e32 v8, s19
	ds_write_b32 v8, v7
	v_mov_b32_e32 v8, s18
	v_cmp_eq_u32_e32 vcc, s16, v0
	s_add_i32 s16, s16, 1
	v_cndmask_b32_e32 v1, v1, v8, vcc
	s_cmp_eq_u32 s16, s17
	v_cndmask_b32_e32 v2, v2, v10, vcc
	s_cbranch_scc1 .LBB80_22
.LBB80_15:                              ; =>This Loop Header: Depth=1
                                        ;     Child Loop BB80_17 Depth 2
	v_mov_b32_e32 v8, s16
	v_mov_b32_e32 v9, 0xff800000
	s_and_saveexec_b64 s[18:19], s[0:1]
	s_cbranch_execz .LBB80_19
; %bb.16:                               ;   in Loop: Header=BB80_15 Depth=1
	s_load_dword s22, s[2:3], 0xc
	s_mov_b64 s[20:21], 0
	v_mov_b32_e32 v8, s16
	v_mov_b32_e32 v9, 0xff800000
	;; [unrolled: 1-line block ×3, first 2 shown]
	s_waitcnt lgkmcnt(0)
	s_and_b32 s22, s22, 0xffff
	s_lshl_b32 s23, s22, 1
	s_lshl_b32 s24, s22, 3
	v_mov_b32_e32 v11, v3
	v_mov_b32_e32 v12, v0
.LBB80_17:                              ;   Parent Loop BB80_15 Depth=1
                                        ; =>  This Inner Loop Header: Depth=2
	ds_read_b64 v[14:15], v10
	v_add_u32_e32 v12, s22, v12
	v_cmp_le_i32_e32 vcc, s7, v12
	s_or_b64 s[20:21], vcc, s[20:21]
	v_add_u32_e32 v13, 1, v11
	s_waitcnt lgkmcnt(0)
	v_cmp_gt_f32_e32 vcc, v14, v9
	v_cndmask_b32_e32 v9, v9, v14, vcc
	v_cndmask_b32_e32 v8, v8, v11, vcc
	v_cmp_gt_f32_e32 vcc, v15, v9
	v_add_u32_e32 v10, s24, v10
	v_cndmask_b32_e32 v9, v9, v15, vcc
	v_add_u32_e32 v11, s23, v11
	v_cndmask_b32_e32 v8, v8, v13, vcc
	s_andn2_b64 exec, exec, s[20:21]
	s_cbranch_execnz .LBB80_17
; %bb.18:                               ;   in Loop: Header=BB80_15 Depth=1
	s_or_b64 exec, exec, s[20:21]
.LBB80_19:                              ;   in Loop: Header=BB80_15 Depth=1
	s_or_b64 exec, exec, s[18:19]
	;;#ASMSTART
	v_max_f32 v10, v9, v9 quad_perm:[1,0,3,2] row_mask:0xf bank_mask:0xf bound_ctrl:1
	;;#ASMEND
	;;#ASMSTART
	v_max_f32 v11, v10, v10 quad_perm:[2,3,0,1] row_mask:0xf bank_mask:0xf bound_ctrl:1
	;;#ASMEND
	;;#ASMSTART
	v_max_f32 v10, v11, v11 row_half_mirror row_mask:0xf bank_mask:0xf bound_ctrl:1
	;;#ASMEND
	;;#ASMSTART
	v_max_f32 v11, v10, v10 row_mirror row_mask:0xf bank_mask:0xf bound_ctrl:1
	;;#ASMEND
	;;#ASMSTART
	v_max_f32 v10, v11, v11 row_ror:4 row_mask:0xf bank_mask:0xf bound_ctrl:1
	;;#ASMEND
	;;#ASMSTART
	v_max_f32 v11, v10, v10 row_ror:8 row_mask:0xf bank_mask:0xf bound_ctrl:1
	;;#ASMEND
	;;#ASMSTART
	v_max_f32 v10, v11, v11 row_bcast:15 row_mask:0xf bank_mask:0xf bound_ctrl:1
	;;#ASMEND
	;;#ASMSTART
	v_max_f32 v11, v10, v10 row_bcast:31 row_mask:0xf bank_mask:0xf bound_ctrl:1
	;;#ASMEND
	ds_bpermute_b32 v10, v6, v11
	s_waitcnt lgkmcnt(0)
	v_cmp_eq_f32_e32 vcc, v9, v10
	s_ff1_i32_b64 s18, vcc
	s_cmp_lg_u64 vcc, 0
	s_cselect_b32 s18, s18, 0
	s_and_b64 vcc, exec, s[8:9]
	v_readlane_b32 s18, v8, s18
	s_cbranch_vccz .LBB80_14
; %bb.20:                               ;   in Loop: Header=BB80_15 Depth=1
	s_ashr_i32 s19, s18, 31
	s_lshl_b64 s[20:21], s[18:19], 1
	s_add_u32 s20, s10, s20
	s_addc_u32 s21, s11, s21
	global_load_ushort v8, v5, s[20:21]
	s_waitcnt vmcnt(0)
	v_lshlrev_b32_e32 v8, 16, v8
	v_sub_f32_e32 v10, v10, v8
	s_branch .LBB80_14
.LBB80_21:
	v_mov_b32_e32 v2, 0
	v_mov_b32_e32 v1, 0
.LBB80_22:
	v_cmp_gt_i32_e32 vcc, s17, v0
	s_and_saveexec_b64 s[0:1], vcc
	s_cbranch_execz .LBB80_25
; %bb.23:
	s_load_dword s2, s[4:5], 0x34
	s_load_dwordx2 s[0:1], s[4:5], 0x20
	s_ashr_i32 s3, s6, 31
	s_load_dword s4, s[4:5], 0x44
	v_mov_b32_e32 v4, s13
	s_waitcnt lgkmcnt(0)
	v_mul_f32_e32 v2, s2, v2
	s_mul_i32 s1, s6, s1
	s_mul_hi_u32 s2, s6, s0
	s_add_i32 s1, s2, s1
	s_mul_i32 s3, s3, s0
	s_add_i32 s5, s1, s3
	s_mul_i32 s2, s6, s0
	s_and_b32 s3, s4, 0xffff
	s_mov_b64 s[0:1], 0
	v_mov_b32_e32 v3, s5
	v_mov_b32_e32 v5, s15
.LBB80_24:                              ; =>This Inner Loop Header: Depth=1
	v_ashrrev_i32_e32 v7, 31, v0
	v_add_co_u32_e32 v6, vcc, s2, v0
	v_addc_co_u32_e32 v7, vcc, v3, v7, vcc
	v_add_u32_e32 v0, s3, v0
	v_cmp_le_i32_e32 vcc, s17, v0
	v_lshlrev_b64 v[6:7], 2, v[6:7]
	s_or_b64 s[0:1], vcc, s[0:1]
	v_add_co_u32_e32 v8, vcc, s12, v6
	v_addc_co_u32_e32 v9, vcc, v4, v7, vcc
	v_add_co_u32_e32 v6, vcc, s14, v6
	v_addc_co_u32_e32 v7, vcc, v5, v7, vcc
	global_store_dword v[8:9], v2, off
	global_store_dword v[6:7], v1, off
	s_andn2_b64 exec, exec, s[0:1]
	s_cbranch_execnz .LBB80_24
.LBB80_25:
	s_endpgm
	.section	.rodata,"a",@progbits
	.p2align	6, 0x0
	.amdhsa_kernel _ZN5aiter20topk_softplus_kernelIf12hip_bfloat16Dv2_fLb0ELi1EEEvPKT_PKT0_PfPimiiif
		.amdhsa_group_segment_fixed_size 0
		.amdhsa_private_segment_fixed_size 0
		.amdhsa_kernarg_size 312
		.amdhsa_user_sgpr_count 6
		.amdhsa_user_sgpr_private_segment_buffer 1
		.amdhsa_user_sgpr_dispatch_ptr 0
		.amdhsa_user_sgpr_queue_ptr 0
		.amdhsa_user_sgpr_kernarg_segment_ptr 1
		.amdhsa_user_sgpr_dispatch_id 0
		.amdhsa_user_sgpr_flat_scratch_init 0
		.amdhsa_user_sgpr_kernarg_preload_length 0
		.amdhsa_user_sgpr_kernarg_preload_offset 0
		.amdhsa_user_sgpr_private_segment_size 0
		.amdhsa_uses_dynamic_stack 0
		.amdhsa_system_sgpr_private_segment_wavefront_offset 0
		.amdhsa_system_sgpr_workgroup_id_x 1
		.amdhsa_system_sgpr_workgroup_id_y 0
		.amdhsa_system_sgpr_workgroup_id_z 0
		.amdhsa_system_sgpr_workgroup_info 0
		.amdhsa_system_vgpr_workitem_id 0
		.amdhsa_next_free_vgpr 16
		.amdhsa_next_free_sgpr 29
		.amdhsa_accum_offset 16
		.amdhsa_reserve_vcc 1
		.amdhsa_reserve_flat_scratch 0
		.amdhsa_float_round_mode_32 0
		.amdhsa_float_round_mode_16_64 0
		.amdhsa_float_denorm_mode_32 3
		.amdhsa_float_denorm_mode_16_64 3
		.amdhsa_dx10_clamp 1
		.amdhsa_ieee_mode 1
		.amdhsa_fp16_overflow 0
		.amdhsa_tg_split 0
		.amdhsa_exception_fp_ieee_invalid_op 0
		.amdhsa_exception_fp_denorm_src 0
		.amdhsa_exception_fp_ieee_div_zero 0
		.amdhsa_exception_fp_ieee_overflow 0
		.amdhsa_exception_fp_ieee_underflow 0
		.amdhsa_exception_fp_ieee_inexact 0
		.amdhsa_exception_int_div_zero 0
	.end_amdhsa_kernel
	.section	.text._ZN5aiter20topk_softplus_kernelIf12hip_bfloat16Dv2_fLb0ELi1EEEvPKT_PKT0_PfPimiiif,"axG",@progbits,_ZN5aiter20topk_softplus_kernelIf12hip_bfloat16Dv2_fLb0ELi1EEEvPKT_PKT0_PfPimiiif,comdat
.Lfunc_end80:
	.size	_ZN5aiter20topk_softplus_kernelIf12hip_bfloat16Dv2_fLb0ELi1EEEvPKT_PKT0_PfPimiiif, .Lfunc_end80-_ZN5aiter20topk_softplus_kernelIf12hip_bfloat16Dv2_fLb0ELi1EEEvPKT_PKT0_PfPimiiif
                                        ; -- End function
	.section	.AMDGPU.csdata,"",@progbits
; Kernel info:
; codeLenInByte = 1356
; NumSgprs: 33
; NumVgprs: 16
; NumAgprs: 0
; TotalNumVgprs: 16
; ScratchSize: 0
; MemoryBound: 0
; FloatMode: 240
; IeeeMode: 1
; LDSByteSize: 0 bytes/workgroup (compile time only)
; SGPRBlocks: 4
; VGPRBlocks: 1
; NumSGPRsForWavesPerEU: 33
; NumVGPRsForWavesPerEU: 16
; AccumOffset: 16
; Occupancy: 8
; WaveLimiterHint : 0
; COMPUTE_PGM_RSRC2:SCRATCH_EN: 0
; COMPUTE_PGM_RSRC2:USER_SGPR: 6
; COMPUTE_PGM_RSRC2:TRAP_HANDLER: 0
; COMPUTE_PGM_RSRC2:TGID_X_EN: 1
; COMPUTE_PGM_RSRC2:TGID_Y_EN: 0
; COMPUTE_PGM_RSRC2:TGID_Z_EN: 0
; COMPUTE_PGM_RSRC2:TIDIG_COMP_CNT: 0
; COMPUTE_PGM_RSRC3_GFX90A:ACCUM_OFFSET: 3
; COMPUTE_PGM_RSRC3_GFX90A:TG_SPLIT: 0
	.section	.text._ZN5aiter20topk_softplus_kernelIf12hip_bfloat16Dv1_fLb1ELi1EEEvPKT_PKT0_PfPimiiif,"axG",@progbits,_ZN5aiter20topk_softplus_kernelIf12hip_bfloat16Dv1_fLb1ELi1EEEvPKT_PKT0_PfPimiiif,comdat
	.protected	_ZN5aiter20topk_softplus_kernelIf12hip_bfloat16Dv1_fLb1ELi1EEEvPKT_PKT0_PfPimiiif ; -- Begin function _ZN5aiter20topk_softplus_kernelIf12hip_bfloat16Dv1_fLb1ELi1EEEvPKT_PKT0_PfPimiiif
	.globl	_ZN5aiter20topk_softplus_kernelIf12hip_bfloat16Dv1_fLb1ELi1EEEvPKT_PKT0_PfPimiiif
	.p2align	8
	.type	_ZN5aiter20topk_softplus_kernelIf12hip_bfloat16Dv1_fLb1ELi1EEEvPKT_PKT0_PfPimiiif,@function
_ZN5aiter20topk_softplus_kernelIf12hip_bfloat16Dv1_fLb1ELi1EEEvPKT_PKT0_PfPimiiif: ; @_ZN5aiter20topk_softplus_kernelIf12hip_bfloat16Dv1_fLb1ELi1EEEvPKT_PKT0_PfPimiiif
; %bb.0:
	s_load_dwordx2 s[16:17], s[4:5], 0x28
	s_load_dwordx8 s[8:15], s[4:5], 0x0
	v_lshl_add_u32 v1, v0, 2, 0
	s_waitcnt lgkmcnt(0)
	s_mul_i32 s2, s6, s16
	s_ashr_i32 s3, s2, 31
	s_lshl_b64 s[2:3], s[2:3], 2
	s_add_u32 s7, s8, s2
	v_cmp_gt_i32_e64 s[0:1], s16, v0
	s_addc_u32 s20, s9, s3
	s_and_saveexec_b64 s[8:9], s[0:1]
	s_cbranch_execz .LBB81_5
; %bb.1:
	s_load_dword s21, s[4:5], 0x44
	s_cmp_lg_u64 s[10:11], 0
	s_cselect_b64 s[2:3], -1, 0
	v_cndmask_b32_e64 v2, 0, 1, s[2:3]
	s_mov_b64 s[18:19], 0
	s_waitcnt lgkmcnt(0)
	s_and_b32 s21, s21, 0xffff
	v_lshl_add_u32 v4, v0, 2, 0
	s_lshl_b32 s22, s21, 2
	v_mov_b32_e32 v5, s20
	s_mov_b32 s23, 0xc2fc0000
	v_mov_b32_e32 v6, 0x42800000
	v_mov_b32_e32 v7, 0x1f800000
	v_cmp_ne_u32_e64 s[2:3], 1, v2
	v_mov_b32_e32 v2, v0
	s_branch .LBB81_3
.LBB81_2:                               ;   in Loop: Header=BB81_3 Depth=1
	v_add_u32_e32 v2, s21, v2
	v_cmp_le_i32_e32 vcc, s16, v2
	ds_write_b32 v4, v8
	s_or_b64 s[18:19], vcc, s[18:19]
	v_add_u32_e32 v4, s22, v4
	s_andn2_b64 exec, exec, s[18:19]
	s_cbranch_execz .LBB81_5
.LBB81_3:                               ; =>This Inner Loop Header: Depth=1
	v_ashrrev_i32_e32 v3, 31, v2
	v_lshlrev_b64 v[8:9], 2, v[2:3]
	v_add_co_u32_e32 v8, vcc, s7, v8
	v_addc_co_u32_e32 v9, vcc, v5, v9, vcc
	global_load_dword v8, v[8:9], off
	s_waitcnt vmcnt(0)
	v_mul_f32_e32 v9, 0xbfb8aa3b, v8
	v_cmp_gt_f32_e32 vcc, s23, v9
	v_cndmask_b32_e32 v9, 0, v6, vcc
	v_fmac_f32_e32 v9, 0xbfb8aa3b, v8
	v_exp_f32_e32 v8, v9
	v_cndmask_b32_e32 v9, 1.0, v7, vcc
	s_and_b64 vcc, exec, s[2:3]
	v_fma_f32 v8, v8, v9, 1.0
	v_rcp_f32_e32 v8, v8
	s_cbranch_vccnz .LBB81_2
; %bb.4:                                ;   in Loop: Header=BB81_3 Depth=1
	v_lshlrev_b64 v[10:11], 1, v[2:3]
	v_mov_b32_e32 v3, s11
	v_add_co_u32_e32 v10, vcc, s10, v10
	v_addc_co_u32_e32 v11, vcc, v3, v11, vcc
	global_load_ushort v3, v[10:11], off
	s_waitcnt vmcnt(0)
	v_lshlrev_b32_e32 v3, 16, v3
	v_add_f32_e32 v8, v8, v3
	s_branch .LBB81_2
.LBB81_5:
	s_or_b64 exec, exec, s[8:9]
	v_add_u32_e32 v2, s16, v0
	v_cmp_gt_i32_e32 vcc, s16, v2
	s_and_saveexec_b64 s[8:9], vcc
	s_cbranch_execz .LBB81_10
; %bb.6:
	s_load_dword s21, s[4:5], 0x44
	s_cmp_lg_u64 s[10:11], 0
	s_cselect_b64 s[2:3], -1, 0
	v_cndmask_b32_e64 v3, 0, 1, s[2:3]
	s_mov_b64 s[18:19], 0
	s_waitcnt lgkmcnt(0)
	s_and_b32 s21, s21, 0xffff
	v_lshl_add_u32 v4, v2, 2, 0
	s_lshl_b32 s22, s21, 2
	v_mov_b32_e32 v5, s20
	s_mov_b32 s20, 0xc2fc0000
	v_mov_b32_e32 v6, 0x42800000
	v_mov_b32_e32 v7, 0x1f800000
	v_cmp_ne_u32_e64 s[2:3], 1, v3
	s_branch .LBB81_8
.LBB81_7:                               ;   in Loop: Header=BB81_8 Depth=1
	v_add_u32_e32 v2, s21, v2
	v_cmp_le_i32_e32 vcc, s16, v2
	s_or_b64 s[18:19], vcc, s[18:19]
	v_add_u32_e32 v4, s22, v4
	s_andn2_b64 exec, exec, s[18:19]
	s_cbranch_execz .LBB81_10
.LBB81_8:                               ; =>This Inner Loop Header: Depth=1
	v_ashrrev_i32_e32 v3, 31, v2
	v_lshlrev_b64 v[8:9], 2, v[2:3]
	v_add_co_u32_e32 v8, vcc, s7, v8
	v_addc_co_u32_e32 v9, vcc, v5, v9, vcc
	global_load_dword v8, v[8:9], off
	s_waitcnt vmcnt(0)
	v_mul_f32_e32 v9, 0xbfb8aa3b, v8
	v_cmp_gt_f32_e32 vcc, s20, v9
	v_cndmask_b32_e32 v9, 0, v6, vcc
	v_fmac_f32_e32 v9, 0xbfb8aa3b, v8
	v_exp_f32_e32 v8, v9
	v_cndmask_b32_e32 v9, 1.0, v7, vcc
	s_and_b64 vcc, exec, s[2:3]
	v_fma_f32 v8, v8, v9, 1.0
	v_rcp_f32_e32 v8, v8
	ds_write_b32 v4, v8
	s_cbranch_vccnz .LBB81_7
; %bb.9:                                ;   in Loop: Header=BB81_8 Depth=1
	v_lshlrev_b64 v[10:11], 1, v[2:3]
	v_mov_b32_e32 v3, s11
	v_add_co_u32_e32 v10, vcc, s10, v10
	v_addc_co_u32_e32 v11, vcc, v3, v11, vcc
	global_load_ushort v3, v[10:11], off
	s_waitcnt vmcnt(0)
	v_lshlrev_b32_e32 v3, 16, v3
	v_add_f32_e32 v3, v8, v3
	ds_write_b32 v4, v3
	s_branch .LBB81_7
.LBB81_10:
	s_or_b64 exec, exec, s[8:9]
	s_cmp_lt_i32 s17, 1
	v_mov_b32_e32 v3, 0
	s_waitcnt lgkmcnt(0)
	s_barrier
	s_cbranch_scc1 .LBB81_19
; %bb.11:
	s_add_u32 s2, s4, 56
	s_addc_u32 s3, s5, 0
	v_mbcnt_lo_u32_b32 v2, -1, 0
	s_cmp_lg_u64 s[10:11], 0
	v_mbcnt_hi_u32_b32 v2, -1, v2
	v_bfrev_b32_e32 v4, 0.5
	s_cselect_b64 s[8:9], -1, 0
	s_mov_b32 s7, 0
	v_mov_b32_e32 v3, 0
	v_lshl_or_b32 v5, v2, 2, v4
	v_mov_b32_e32 v6, 0
	v_mov_b32_e32 v7, 0xff800000
	;; [unrolled: 1-line block ×4, first 2 shown]
	s_branch .LBB81_13
.LBB81_12:                              ;   in Loop: Header=BB81_13 Depth=1
	s_lshl_b32 s19, s18, 2
	s_add_i32 s19, s19, 0
	v_mov_b32_e32 v8, s19
	ds_write_b32 v8, v7
	v_mov_b32_e32 v8, s18
	v_cmp_eq_u32_e32 vcc, s7, v0
	s_add_i32 s7, s7, 1
	v_cndmask_b32_e32 v2, v2, v8, vcc
	v_cndmask_b32_e32 v3, v3, v10, vcc
	s_cmp_eq_u32 s7, s17
	v_add_f32_e32 v4, v4, v10
	s_cbranch_scc1 .LBB81_20
.LBB81_13:                              ; =>This Loop Header: Depth=1
                                        ;     Child Loop BB81_15 Depth 2
	v_mov_b32_e32 v8, s7
	v_mov_b32_e32 v9, 0xff800000
	s_and_saveexec_b64 s[18:19], s[0:1]
	s_cbranch_execz .LBB81_17
; %bb.14:                               ;   in Loop: Header=BB81_13 Depth=1
	s_load_dword s22, s[2:3], 0xc
	s_mov_b64 s[20:21], 0
	v_mov_b32_e32 v8, s7
	v_mov_b32_e32 v9, 0xff800000
	;; [unrolled: 1-line block ×3, first 2 shown]
	s_waitcnt lgkmcnt(0)
	s_and_b32 s22, s22, 0xffff
	s_lshl_b32 s23, s22, 2
	v_mov_b32_e32 v11, v0
.LBB81_15:                              ;   Parent Loop BB81_13 Depth=1
                                        ; =>  This Inner Loop Header: Depth=2
	ds_read_b32 v12, v10
	v_add_u32_e32 v10, s23, v10
	s_waitcnt lgkmcnt(0)
	v_cmp_gt_f32_e32 vcc, v12, v9
	v_cndmask_b32_e32 v8, v8, v11, vcc
	v_add_u32_e32 v11, s22, v11
	v_cndmask_b32_e32 v9, v9, v12, vcc
	v_cmp_le_i32_e32 vcc, s16, v11
	s_or_b64 s[20:21], vcc, s[20:21]
	s_andn2_b64 exec, exec, s[20:21]
	s_cbranch_execnz .LBB81_15
; %bb.16:                               ;   in Loop: Header=BB81_13 Depth=1
	s_or_b64 exec, exec, s[20:21]
.LBB81_17:                              ;   in Loop: Header=BB81_13 Depth=1
	s_or_b64 exec, exec, s[18:19]
	;;#ASMSTART
	v_max_f32 v10, v9, v9 quad_perm:[1,0,3,2] row_mask:0xf bank_mask:0xf bound_ctrl:1
	;;#ASMEND
	;;#ASMSTART
	v_max_f32 v11, v10, v10 quad_perm:[2,3,0,1] row_mask:0xf bank_mask:0xf bound_ctrl:1
	;;#ASMEND
	;;#ASMSTART
	v_max_f32 v10, v11, v11 row_half_mirror row_mask:0xf bank_mask:0xf bound_ctrl:1
	;;#ASMEND
	;;#ASMSTART
	v_max_f32 v11, v10, v10 row_mirror row_mask:0xf bank_mask:0xf bound_ctrl:1
	;;#ASMEND
	;;#ASMSTART
	v_max_f32 v10, v11, v11 row_ror:4 row_mask:0xf bank_mask:0xf bound_ctrl:1
	;;#ASMEND
	;;#ASMSTART
	v_max_f32 v11, v10, v10 row_ror:8 row_mask:0xf bank_mask:0xf bound_ctrl:1
	;;#ASMEND
	;;#ASMSTART
	v_max_f32 v10, v11, v11 row_bcast:15 row_mask:0xf bank_mask:0xf bound_ctrl:1
	;;#ASMEND
	;;#ASMSTART
	v_max_f32 v11, v10, v10 row_bcast:31 row_mask:0xf bank_mask:0xf bound_ctrl:1
	;;#ASMEND
	ds_bpermute_b32 v10, v5, v11
	s_waitcnt lgkmcnt(0)
	v_cmp_eq_f32_e32 vcc, v9, v10
	s_ff1_i32_b64 s18, vcc
	s_cmp_lg_u64 vcc, 0
	s_cselect_b32 s18, s18, 0
	s_and_b64 vcc, exec, s[8:9]
	v_readlane_b32 s18, v8, s18
	s_cbranch_vccz .LBB81_12
; %bb.18:                               ;   in Loop: Header=BB81_13 Depth=1
	s_ashr_i32 s19, s18, 31
	s_lshl_b64 s[20:21], s[18:19], 1
	s_add_u32 s20, s10, s20
	s_addc_u32 s21, s11, s21
	global_load_ushort v8, v6, s[20:21]
	s_waitcnt vmcnt(0)
	v_lshlrev_b32_e32 v8, 16, v8
	v_sub_f32_e32 v10, v10, v8
	s_branch .LBB81_12
.LBB81_19:
	v_mov_b32_e32 v2, 0
	v_mov_b32_e32 v4, 0
.LBB81_20:
	v_cmp_gt_i32_e32 vcc, s17, v0
	s_and_saveexec_b64 s[0:1], vcc
	s_cbranch_execz .LBB81_23
; %bb.21:
	s_load_dword s2, s[4:5], 0x34
	v_max_f32_e32 v1, v4, v4
	v_max_f32_e32 v1, 0x1e3ce508, v1
	s_load_dword s3, s[4:5], 0x44
	s_waitcnt lgkmcnt(0)
	v_div_scale_f32 v4, s[0:1], v1, v1, s2
	s_load_dwordx2 s[0:1], s[4:5], 0x20
	v_rcp_f32_e32 v5, v4
	v_div_scale_f32 v6, vcc, s2, v1, s2
	s_and_b32 s3, s3, 0xffff
	v_fma_f32 v7, -v4, v5, 1.0
	v_fmac_f32_e32 v5, v7, v5
	v_mul_f32_e32 v7, v6, v5
	v_fma_f32 v8, -v4, v7, v6
	v_fmac_f32_e32 v7, v8, v5
	v_fma_f32 v4, -v4, v7, v6
	v_div_fmas_f32 v4, v4, v5, v7
	v_div_fixup_f32 v1, v4, v1, s2
	s_ashr_i32 s2, s6, 31
	s_waitcnt lgkmcnt(0)
	s_mul_i32 s1, s6, s1
	s_mul_hi_u32 s4, s6, s0
	s_add_i32 s1, s4, s1
	s_mul_i32 s2, s2, s0
	s_add_i32 s4, s1, s2
	v_mul_f32_e32 v1, v3, v1
	s_mul_i32 s2, s6, s0
	s_mov_b64 s[0:1], 0
	v_mov_b32_e32 v3, s4
	v_mov_b32_e32 v4, s13
	;; [unrolled: 1-line block ×3, first 2 shown]
.LBB81_22:                              ; =>This Inner Loop Header: Depth=1
	v_ashrrev_i32_e32 v7, 31, v0
	v_add_co_u32_e32 v6, vcc, s2, v0
	v_addc_co_u32_e32 v7, vcc, v3, v7, vcc
	v_add_u32_e32 v0, s3, v0
	v_cmp_le_i32_e32 vcc, s17, v0
	v_lshlrev_b64 v[6:7], 2, v[6:7]
	s_or_b64 s[0:1], vcc, s[0:1]
	v_add_co_u32_e32 v8, vcc, s12, v6
	v_addc_co_u32_e32 v9, vcc, v4, v7, vcc
	v_add_co_u32_e32 v6, vcc, s14, v6
	v_addc_co_u32_e32 v7, vcc, v5, v7, vcc
	global_store_dword v[8:9], v1, off
	global_store_dword v[6:7], v2, off
	s_andn2_b64 exec, exec, s[0:1]
	s_cbranch_execnz .LBB81_22
.LBB81_23:
	s_endpgm
	.section	.rodata,"a",@progbits
	.p2align	6, 0x0
	.amdhsa_kernel _ZN5aiter20topk_softplus_kernelIf12hip_bfloat16Dv1_fLb1ELi1EEEvPKT_PKT0_PfPimiiif
		.amdhsa_group_segment_fixed_size 0
		.amdhsa_private_segment_fixed_size 0
		.amdhsa_kernarg_size 312
		.amdhsa_user_sgpr_count 6
		.amdhsa_user_sgpr_private_segment_buffer 1
		.amdhsa_user_sgpr_dispatch_ptr 0
		.amdhsa_user_sgpr_queue_ptr 0
		.amdhsa_user_sgpr_kernarg_segment_ptr 1
		.amdhsa_user_sgpr_dispatch_id 0
		.amdhsa_user_sgpr_flat_scratch_init 0
		.amdhsa_user_sgpr_kernarg_preload_length 0
		.amdhsa_user_sgpr_kernarg_preload_offset 0
		.amdhsa_user_sgpr_private_segment_size 0
		.amdhsa_uses_dynamic_stack 0
		.amdhsa_system_sgpr_private_segment_wavefront_offset 0
		.amdhsa_system_sgpr_workgroup_id_x 1
		.amdhsa_system_sgpr_workgroup_id_y 0
		.amdhsa_system_sgpr_workgroup_id_z 0
		.amdhsa_system_sgpr_workgroup_info 0
		.amdhsa_system_vgpr_workitem_id 0
		.amdhsa_next_free_vgpr 13
		.amdhsa_next_free_sgpr 24
		.amdhsa_accum_offset 16
		.amdhsa_reserve_vcc 1
		.amdhsa_reserve_flat_scratch 0
		.amdhsa_float_round_mode_32 0
		.amdhsa_float_round_mode_16_64 0
		.amdhsa_float_denorm_mode_32 3
		.amdhsa_float_denorm_mode_16_64 3
		.amdhsa_dx10_clamp 1
		.amdhsa_ieee_mode 1
		.amdhsa_fp16_overflow 0
		.amdhsa_tg_split 0
		.amdhsa_exception_fp_ieee_invalid_op 0
		.amdhsa_exception_fp_denorm_src 0
		.amdhsa_exception_fp_ieee_div_zero 0
		.amdhsa_exception_fp_ieee_overflow 0
		.amdhsa_exception_fp_ieee_underflow 0
		.amdhsa_exception_fp_ieee_inexact 0
		.amdhsa_exception_int_div_zero 0
	.end_amdhsa_kernel
	.section	.text._ZN5aiter20topk_softplus_kernelIf12hip_bfloat16Dv1_fLb1ELi1EEEvPKT_PKT0_PfPimiiif,"axG",@progbits,_ZN5aiter20topk_softplus_kernelIf12hip_bfloat16Dv1_fLb1ELi1EEEvPKT_PKT0_PfPimiiif,comdat
.Lfunc_end81:
	.size	_ZN5aiter20topk_softplus_kernelIf12hip_bfloat16Dv1_fLb1ELi1EEEvPKT_PKT0_PfPimiiif, .Lfunc_end81-_ZN5aiter20topk_softplus_kernelIf12hip_bfloat16Dv1_fLb1ELi1EEEvPKT_PKT0_PfPimiiif
                                        ; -- End function
	.section	.AMDGPU.csdata,"",@progbits
; Kernel info:
; codeLenInByte = 1292
; NumSgprs: 28
; NumVgprs: 13
; NumAgprs: 0
; TotalNumVgprs: 13
; ScratchSize: 0
; MemoryBound: 0
; FloatMode: 240
; IeeeMode: 1
; LDSByteSize: 0 bytes/workgroup (compile time only)
; SGPRBlocks: 3
; VGPRBlocks: 1
; NumSGPRsForWavesPerEU: 28
; NumVGPRsForWavesPerEU: 13
; AccumOffset: 16
; Occupancy: 8
; WaveLimiterHint : 0
; COMPUTE_PGM_RSRC2:SCRATCH_EN: 0
; COMPUTE_PGM_RSRC2:USER_SGPR: 6
; COMPUTE_PGM_RSRC2:TRAP_HANDLER: 0
; COMPUTE_PGM_RSRC2:TGID_X_EN: 1
; COMPUTE_PGM_RSRC2:TGID_Y_EN: 0
; COMPUTE_PGM_RSRC2:TGID_Z_EN: 0
; COMPUTE_PGM_RSRC2:TIDIG_COMP_CNT: 0
; COMPUTE_PGM_RSRC3_GFX90A:ACCUM_OFFSET: 3
; COMPUTE_PGM_RSRC3_GFX90A:TG_SPLIT: 0
	.section	.text._ZN5aiter20topk_softplus_kernelIf12hip_bfloat16Dv1_fLb0ELi1EEEvPKT_PKT0_PfPimiiif,"axG",@progbits,_ZN5aiter20topk_softplus_kernelIf12hip_bfloat16Dv1_fLb0ELi1EEEvPKT_PKT0_PfPimiiif,comdat
	.protected	_ZN5aiter20topk_softplus_kernelIf12hip_bfloat16Dv1_fLb0ELi1EEEvPKT_PKT0_PfPimiiif ; -- Begin function _ZN5aiter20topk_softplus_kernelIf12hip_bfloat16Dv1_fLb0ELi1EEEvPKT_PKT0_PfPimiiif
	.globl	_ZN5aiter20topk_softplus_kernelIf12hip_bfloat16Dv1_fLb0ELi1EEEvPKT_PKT0_PfPimiiif
	.p2align	8
	.type	_ZN5aiter20topk_softplus_kernelIf12hip_bfloat16Dv1_fLb0ELi1EEEvPKT_PKT0_PfPimiiif,@function
_ZN5aiter20topk_softplus_kernelIf12hip_bfloat16Dv1_fLb0ELi1EEEvPKT_PKT0_PfPimiiif: ; @_ZN5aiter20topk_softplus_kernelIf12hip_bfloat16Dv1_fLb0ELi1EEEvPKT_PKT0_PfPimiiif
; %bb.0:
	s_load_dwordx2 s[16:17], s[4:5], 0x28
	s_load_dwordx8 s[8:15], s[4:5], 0x0
	v_lshl_add_u32 v1, v0, 2, 0
	s_waitcnt lgkmcnt(0)
	s_mul_i32 s2, s6, s16
	s_ashr_i32 s3, s2, 31
	s_lshl_b64 s[2:3], s[2:3], 2
	s_add_u32 s7, s8, s2
	v_cmp_gt_i32_e64 s[0:1], s16, v0
	s_addc_u32 s20, s9, s3
	s_and_saveexec_b64 s[8:9], s[0:1]
	s_cbranch_execz .LBB82_5
; %bb.1:
	s_load_dword s21, s[4:5], 0x44
	s_cmp_lg_u64 s[10:11], 0
	s_cselect_b64 s[2:3], -1, 0
	v_cndmask_b32_e64 v2, 0, 1, s[2:3]
	s_mov_b64 s[18:19], 0
	s_waitcnt lgkmcnt(0)
	s_and_b32 s21, s21, 0xffff
	v_lshl_add_u32 v4, v0, 2, 0
	s_lshl_b32 s22, s21, 2
	v_mov_b32_e32 v5, s20
	s_mov_b32 s23, 0xc2fc0000
	v_mov_b32_e32 v6, 0x42800000
	v_mov_b32_e32 v7, 0x1f800000
	v_cmp_ne_u32_e64 s[2:3], 1, v2
	v_mov_b32_e32 v2, v0
	s_branch .LBB82_3
.LBB82_2:                               ;   in Loop: Header=BB82_3 Depth=1
	v_add_u32_e32 v2, s21, v2
	v_cmp_le_i32_e32 vcc, s16, v2
	ds_write_b32 v4, v8
	s_or_b64 s[18:19], vcc, s[18:19]
	v_add_u32_e32 v4, s22, v4
	s_andn2_b64 exec, exec, s[18:19]
	s_cbranch_execz .LBB82_5
.LBB82_3:                               ; =>This Inner Loop Header: Depth=1
	v_ashrrev_i32_e32 v3, 31, v2
	v_lshlrev_b64 v[8:9], 2, v[2:3]
	v_add_co_u32_e32 v8, vcc, s7, v8
	v_addc_co_u32_e32 v9, vcc, v5, v9, vcc
	global_load_dword v8, v[8:9], off
	s_waitcnt vmcnt(0)
	v_mul_f32_e32 v9, 0xbfb8aa3b, v8
	v_cmp_gt_f32_e32 vcc, s23, v9
	v_cndmask_b32_e32 v9, 0, v6, vcc
	v_fmac_f32_e32 v9, 0xbfb8aa3b, v8
	v_exp_f32_e32 v8, v9
	v_cndmask_b32_e32 v9, 1.0, v7, vcc
	s_and_b64 vcc, exec, s[2:3]
	v_fma_f32 v8, v8, v9, 1.0
	v_rcp_f32_e32 v8, v8
	s_cbranch_vccnz .LBB82_2
; %bb.4:                                ;   in Loop: Header=BB82_3 Depth=1
	v_lshlrev_b64 v[10:11], 1, v[2:3]
	v_mov_b32_e32 v3, s11
	v_add_co_u32_e32 v10, vcc, s10, v10
	v_addc_co_u32_e32 v11, vcc, v3, v11, vcc
	global_load_ushort v3, v[10:11], off
	s_waitcnt vmcnt(0)
	v_lshlrev_b32_e32 v3, 16, v3
	v_add_f32_e32 v8, v8, v3
	s_branch .LBB82_2
.LBB82_5:
	s_or_b64 exec, exec, s[8:9]
	v_add_u32_e32 v2, s16, v0
	v_cmp_gt_i32_e32 vcc, s16, v2
	s_and_saveexec_b64 s[8:9], vcc
	s_cbranch_execz .LBB82_10
; %bb.6:
	s_load_dword s21, s[4:5], 0x44
	s_cmp_lg_u64 s[10:11], 0
	s_cselect_b64 s[2:3], -1, 0
	v_cndmask_b32_e64 v3, 0, 1, s[2:3]
	s_mov_b64 s[18:19], 0
	s_waitcnt lgkmcnt(0)
	s_and_b32 s21, s21, 0xffff
	v_lshl_add_u32 v4, v2, 2, 0
	s_lshl_b32 s22, s21, 2
	v_mov_b32_e32 v5, s20
	s_mov_b32 s20, 0xc2fc0000
	v_mov_b32_e32 v6, 0x42800000
	v_mov_b32_e32 v7, 0x1f800000
	v_cmp_ne_u32_e64 s[2:3], 1, v3
	s_branch .LBB82_8
.LBB82_7:                               ;   in Loop: Header=BB82_8 Depth=1
	v_add_u32_e32 v2, s21, v2
	v_cmp_le_i32_e32 vcc, s16, v2
	s_or_b64 s[18:19], vcc, s[18:19]
	v_add_u32_e32 v4, s22, v4
	s_andn2_b64 exec, exec, s[18:19]
	s_cbranch_execz .LBB82_10
.LBB82_8:                               ; =>This Inner Loop Header: Depth=1
	v_ashrrev_i32_e32 v3, 31, v2
	v_lshlrev_b64 v[8:9], 2, v[2:3]
	v_add_co_u32_e32 v8, vcc, s7, v8
	v_addc_co_u32_e32 v9, vcc, v5, v9, vcc
	global_load_dword v8, v[8:9], off
	s_waitcnt vmcnt(0)
	v_mul_f32_e32 v9, 0xbfb8aa3b, v8
	v_cmp_gt_f32_e32 vcc, s20, v9
	v_cndmask_b32_e32 v9, 0, v6, vcc
	v_fmac_f32_e32 v9, 0xbfb8aa3b, v8
	v_exp_f32_e32 v8, v9
	v_cndmask_b32_e32 v9, 1.0, v7, vcc
	s_and_b64 vcc, exec, s[2:3]
	v_fma_f32 v8, v8, v9, 1.0
	v_rcp_f32_e32 v8, v8
	ds_write_b32 v4, v8
	s_cbranch_vccnz .LBB82_7
; %bb.9:                                ;   in Loop: Header=BB82_8 Depth=1
	v_lshlrev_b64 v[10:11], 1, v[2:3]
	v_mov_b32_e32 v3, s11
	v_add_co_u32_e32 v10, vcc, s10, v10
	v_addc_co_u32_e32 v11, vcc, v3, v11, vcc
	global_load_ushort v3, v[10:11], off
	s_waitcnt vmcnt(0)
	v_lshlrev_b32_e32 v3, 16, v3
	v_add_f32_e32 v3, v8, v3
	ds_write_b32 v4, v3
	s_branch .LBB82_7
.LBB82_10:
	s_or_b64 exec, exec, s[8:9]
	s_cmp_lt_i32 s17, 1
	s_waitcnt lgkmcnt(0)
	s_barrier
	s_cbranch_scc1 .LBB82_19
; %bb.11:
	s_add_u32 s2, s4, 56
	s_addc_u32 s3, s5, 0
	v_mbcnt_lo_u32_b32 v3, -1, 0
	s_cmp_lg_u64 s[10:11], 0
	v_mbcnt_hi_u32_b32 v3, -1, v3
	v_bfrev_b32_e32 v5, 0.5
	s_cselect_b64 s[8:9], -1, 0
	s_mov_b32 s7, 0
	v_mov_b32_e32 v2, 0
	v_mov_b32_e32 v4, 0
	v_lshl_or_b32 v5, v3, 2, v5
	v_mov_b32_e32 v6, 0xff800000
	v_mov_b32_e32 v3, 0
	s_branch .LBB82_13
.LBB82_12:                              ;   in Loop: Header=BB82_13 Depth=1
	s_lshl_b32 s19, s18, 2
	s_add_i32 s19, s19, 0
	v_mov_b32_e32 v7, s19
	ds_write_b32 v7, v6
	v_mov_b32_e32 v7, s18
	v_cmp_eq_u32_e32 vcc, s7, v0
	s_add_i32 s7, s7, 1
	v_cndmask_b32_e32 v2, v2, v7, vcc
	s_cmp_eq_u32 s7, s17
	v_cndmask_b32_e32 v3, v3, v9, vcc
	s_cbranch_scc1 .LBB82_20
.LBB82_13:                              ; =>This Loop Header: Depth=1
                                        ;     Child Loop BB82_15 Depth 2
	v_mov_b32_e32 v7, s7
	v_mov_b32_e32 v8, 0xff800000
	s_and_saveexec_b64 s[18:19], s[0:1]
	s_cbranch_execz .LBB82_17
; %bb.14:                               ;   in Loop: Header=BB82_13 Depth=1
	s_load_dword s22, s[2:3], 0xc
	s_mov_b64 s[20:21], 0
	v_mov_b32_e32 v7, s7
	v_mov_b32_e32 v8, 0xff800000
	;; [unrolled: 1-line block ×3, first 2 shown]
	s_waitcnt lgkmcnt(0)
	s_and_b32 s22, s22, 0xffff
	s_lshl_b32 s23, s22, 2
	v_mov_b32_e32 v10, v0
.LBB82_15:                              ;   Parent Loop BB82_13 Depth=1
                                        ; =>  This Inner Loop Header: Depth=2
	ds_read_b32 v11, v9
	v_add_u32_e32 v9, s23, v9
	s_waitcnt lgkmcnt(0)
	v_cmp_gt_f32_e32 vcc, v11, v8
	v_cndmask_b32_e32 v7, v7, v10, vcc
	v_add_u32_e32 v10, s22, v10
	v_cndmask_b32_e32 v8, v8, v11, vcc
	v_cmp_le_i32_e32 vcc, s16, v10
	s_or_b64 s[20:21], vcc, s[20:21]
	s_andn2_b64 exec, exec, s[20:21]
	s_cbranch_execnz .LBB82_15
; %bb.16:                               ;   in Loop: Header=BB82_13 Depth=1
	s_or_b64 exec, exec, s[20:21]
.LBB82_17:                              ;   in Loop: Header=BB82_13 Depth=1
	s_or_b64 exec, exec, s[18:19]
	;;#ASMSTART
	v_max_f32 v9, v8, v8 quad_perm:[1,0,3,2] row_mask:0xf bank_mask:0xf bound_ctrl:1
	;;#ASMEND
	;;#ASMSTART
	v_max_f32 v10, v9, v9 quad_perm:[2,3,0,1] row_mask:0xf bank_mask:0xf bound_ctrl:1
	;;#ASMEND
	;;#ASMSTART
	v_max_f32 v9, v10, v10 row_half_mirror row_mask:0xf bank_mask:0xf bound_ctrl:1
	;;#ASMEND
	;;#ASMSTART
	v_max_f32 v10, v9, v9 row_mirror row_mask:0xf bank_mask:0xf bound_ctrl:1
	;;#ASMEND
	;;#ASMSTART
	v_max_f32 v9, v10, v10 row_ror:4 row_mask:0xf bank_mask:0xf bound_ctrl:1
	;;#ASMEND
	;;#ASMSTART
	v_max_f32 v10, v9, v9 row_ror:8 row_mask:0xf bank_mask:0xf bound_ctrl:1
	;;#ASMEND
	;;#ASMSTART
	v_max_f32 v9, v10, v10 row_bcast:15 row_mask:0xf bank_mask:0xf bound_ctrl:1
	;;#ASMEND
	;;#ASMSTART
	v_max_f32 v10, v9, v9 row_bcast:31 row_mask:0xf bank_mask:0xf bound_ctrl:1
	;;#ASMEND
	ds_bpermute_b32 v9, v5, v10
	s_waitcnt lgkmcnt(0)
	v_cmp_eq_f32_e32 vcc, v8, v9
	s_ff1_i32_b64 s18, vcc
	s_cmp_lg_u64 vcc, 0
	s_cselect_b32 s18, s18, 0
	s_and_b64 vcc, exec, s[8:9]
	v_readlane_b32 s18, v7, s18
	s_cbranch_vccz .LBB82_12
; %bb.18:                               ;   in Loop: Header=BB82_13 Depth=1
	s_ashr_i32 s19, s18, 31
	s_lshl_b64 s[20:21], s[18:19], 1
	s_add_u32 s20, s10, s20
	s_addc_u32 s21, s11, s21
	global_load_ushort v7, v4, s[20:21]
	s_waitcnt vmcnt(0)
	v_lshlrev_b32_e32 v7, 16, v7
	v_sub_f32_e32 v9, v9, v7
	s_branch .LBB82_12
.LBB82_19:
	v_mov_b32_e32 v3, 0
	v_mov_b32_e32 v2, 0
.LBB82_20:
	v_cmp_gt_i32_e32 vcc, s17, v0
	s_and_saveexec_b64 s[0:1], vcc
	s_cbranch_execz .LBB82_23
; %bb.21:
	s_load_dword s2, s[4:5], 0x34
	s_load_dwordx2 s[0:1], s[4:5], 0x20
	s_ashr_i32 s3, s6, 31
	s_load_dword s4, s[4:5], 0x44
	v_mov_b32_e32 v4, s13
	s_waitcnt lgkmcnt(0)
	v_mul_f32_e32 v1, s2, v3
	s_mul_i32 s1, s6, s1
	s_mul_hi_u32 s2, s6, s0
	s_add_i32 s1, s2, s1
	s_mul_i32 s3, s3, s0
	s_add_i32 s5, s1, s3
	s_mul_i32 s2, s6, s0
	s_and_b32 s3, s4, 0xffff
	s_mov_b64 s[0:1], 0
	v_mov_b32_e32 v3, s5
	v_mov_b32_e32 v5, s15
.LBB82_22:                              ; =>This Inner Loop Header: Depth=1
	v_ashrrev_i32_e32 v7, 31, v0
	v_add_co_u32_e32 v6, vcc, s2, v0
	v_addc_co_u32_e32 v7, vcc, v3, v7, vcc
	v_add_u32_e32 v0, s3, v0
	v_cmp_le_i32_e32 vcc, s17, v0
	v_lshlrev_b64 v[6:7], 2, v[6:7]
	s_or_b64 s[0:1], vcc, s[0:1]
	v_add_co_u32_e32 v8, vcc, s12, v6
	v_addc_co_u32_e32 v9, vcc, v4, v7, vcc
	v_add_co_u32_e32 v6, vcc, s14, v6
	v_addc_co_u32_e32 v7, vcc, v5, v7, vcc
	global_store_dword v[8:9], v1, off
	global_store_dword v[6:7], v2, off
	s_andn2_b64 exec, exec, s[0:1]
	s_cbranch_execnz .LBB82_22
.LBB82_23:
	s_endpgm
	.section	.rodata,"a",@progbits
	.p2align	6, 0x0
	.amdhsa_kernel _ZN5aiter20topk_softplus_kernelIf12hip_bfloat16Dv1_fLb0ELi1EEEvPKT_PKT0_PfPimiiif
		.amdhsa_group_segment_fixed_size 0
		.amdhsa_private_segment_fixed_size 0
		.amdhsa_kernarg_size 312
		.amdhsa_user_sgpr_count 6
		.amdhsa_user_sgpr_private_segment_buffer 1
		.amdhsa_user_sgpr_dispatch_ptr 0
		.amdhsa_user_sgpr_queue_ptr 0
		.amdhsa_user_sgpr_kernarg_segment_ptr 1
		.amdhsa_user_sgpr_dispatch_id 0
		.amdhsa_user_sgpr_flat_scratch_init 0
		.amdhsa_user_sgpr_kernarg_preload_length 0
		.amdhsa_user_sgpr_kernarg_preload_offset 0
		.amdhsa_user_sgpr_private_segment_size 0
		.amdhsa_uses_dynamic_stack 0
		.amdhsa_system_sgpr_private_segment_wavefront_offset 0
		.amdhsa_system_sgpr_workgroup_id_x 1
		.amdhsa_system_sgpr_workgroup_id_y 0
		.amdhsa_system_sgpr_workgroup_id_z 0
		.amdhsa_system_sgpr_workgroup_info 0
		.amdhsa_system_vgpr_workitem_id 0
		.amdhsa_next_free_vgpr 12
		.amdhsa_next_free_sgpr 24
		.amdhsa_accum_offset 12
		.amdhsa_reserve_vcc 1
		.amdhsa_reserve_flat_scratch 0
		.amdhsa_float_round_mode_32 0
		.amdhsa_float_round_mode_16_64 0
		.amdhsa_float_denorm_mode_32 3
		.amdhsa_float_denorm_mode_16_64 3
		.amdhsa_dx10_clamp 1
		.amdhsa_ieee_mode 1
		.amdhsa_fp16_overflow 0
		.amdhsa_tg_split 0
		.amdhsa_exception_fp_ieee_invalid_op 0
		.amdhsa_exception_fp_denorm_src 0
		.amdhsa_exception_fp_ieee_div_zero 0
		.amdhsa_exception_fp_ieee_overflow 0
		.amdhsa_exception_fp_ieee_underflow 0
		.amdhsa_exception_fp_ieee_inexact 0
		.amdhsa_exception_int_div_zero 0
	.end_amdhsa_kernel
	.section	.text._ZN5aiter20topk_softplus_kernelIf12hip_bfloat16Dv1_fLb0ELi1EEEvPKT_PKT0_PfPimiiif,"axG",@progbits,_ZN5aiter20topk_softplus_kernelIf12hip_bfloat16Dv1_fLb0ELi1EEEvPKT_PKT0_PfPimiiif,comdat
.Lfunc_end82:
	.size	_ZN5aiter20topk_softplus_kernelIf12hip_bfloat16Dv1_fLb0ELi1EEEvPKT_PKT0_PfPimiiif, .Lfunc_end82-_ZN5aiter20topk_softplus_kernelIf12hip_bfloat16Dv1_fLb0ELi1EEEvPKT_PKT0_PfPimiiif
                                        ; -- End function
	.section	.AMDGPU.csdata,"",@progbits
; Kernel info:
; codeLenInByte = 1192
; NumSgprs: 28
; NumVgprs: 12
; NumAgprs: 0
; TotalNumVgprs: 12
; ScratchSize: 0
; MemoryBound: 0
; FloatMode: 240
; IeeeMode: 1
; LDSByteSize: 0 bytes/workgroup (compile time only)
; SGPRBlocks: 3
; VGPRBlocks: 1
; NumSGPRsForWavesPerEU: 28
; NumVGPRsForWavesPerEU: 12
; AccumOffset: 12
; Occupancy: 8
; WaveLimiterHint : 0
; COMPUTE_PGM_RSRC2:SCRATCH_EN: 0
; COMPUTE_PGM_RSRC2:USER_SGPR: 6
; COMPUTE_PGM_RSRC2:TRAP_HANDLER: 0
; COMPUTE_PGM_RSRC2:TGID_X_EN: 1
; COMPUTE_PGM_RSRC2:TGID_Y_EN: 0
; COMPUTE_PGM_RSRC2:TGID_Z_EN: 0
; COMPUTE_PGM_RSRC2:TIDIG_COMP_CNT: 0
; COMPUTE_PGM_RSRC3_GFX90A:ACCUM_OFFSET: 2
; COMPUTE_PGM_RSRC3_GFX90A:TG_SPLIT: 0
	.section	.text._ZN5aiter20topk_softplus_kernelIf12hip_bfloat16Dv4_fLb1ELi2EEEvPKT_PKT0_PfPimiiif,"axG",@progbits,_ZN5aiter20topk_softplus_kernelIf12hip_bfloat16Dv4_fLb1ELi2EEEvPKT_PKT0_PfPimiiif,comdat
	.protected	_ZN5aiter20topk_softplus_kernelIf12hip_bfloat16Dv4_fLb1ELi2EEEvPKT_PKT0_PfPimiiif ; -- Begin function _ZN5aiter20topk_softplus_kernelIf12hip_bfloat16Dv4_fLb1ELi2EEEvPKT_PKT0_PfPimiiif
	.globl	_ZN5aiter20topk_softplus_kernelIf12hip_bfloat16Dv4_fLb1ELi2EEEvPKT_PKT0_PfPimiiif
	.p2align	8
	.type	_ZN5aiter20topk_softplus_kernelIf12hip_bfloat16Dv4_fLb1ELi2EEEvPKT_PKT0_PfPimiiif,@function
_ZN5aiter20topk_softplus_kernelIf12hip_bfloat16Dv4_fLb1ELi2EEEvPKT_PKT0_PfPimiiif: ; @_ZN5aiter20topk_softplus_kernelIf12hip_bfloat16Dv4_fLb1ELi2EEEvPKT_PKT0_PfPimiiif
; %bb.0:
	s_load_dwordx2 s[16:17], s[4:5], 0x28
	s_load_dwordx8 s[8:15], s[4:5], 0x0
	s_waitcnt lgkmcnt(0)
	s_ashr_i32 s0, s16, 31
	s_lshr_b32 s0, s0, 30
	s_add_i32 s0, s16, s0
	s_mul_i32 s2, s6, s16
	s_ashr_i32 s7, s0, 2
	s_ashr_i32 s3, s2, 31
	v_cmp_gt_i32_e64 s[0:1], s7, v0
	s_and_saveexec_b64 s[18:19], s[0:1]
	s_cbranch_execz .LBB83_3
; %bb.1:
	s_load_dword s22, s[4:5], 0x44
	s_lshl_b64 s[20:21], s[2:3], 2
	v_lshlrev_b32_e32 v1, 4, v0
	s_mov_b32 s24, 0
	v_mov_b32_e32 v4, s24
	s_waitcnt lgkmcnt(0)
	s_and_b32 s22, s22, 0xffff
	s_add_u32 s20, s8, s20
	s_addc_u32 s21, s9, s21
	v_mov_b32_e32 v3, s21
	v_add_co_u32_e32 v2, vcc, s20, v1
	v_addc_co_u32_e32 v3, vcc, 0, v3, vcc
	s_lshl_b32 s23, s22, 4
	v_add_u32_e32 v1, 0, v1
	s_mov_b64 s[20:21], 0
	v_mov_b32_e32 v5, v0
.LBB83_2:                               ; =>This Inner Loop Header: Depth=1
	global_load_dwordx4 v[6:9], v[2:3], off
	v_add_co_u32_e32 v2, vcc, s23, v2
	v_add_u32_e32 v5, s22, v5
	v_addc_co_u32_e32 v3, vcc, v3, v4, vcc
	v_cmp_le_i32_e32 vcc, s7, v5
	s_or_b64 s[20:21], vcc, s[20:21]
	s_waitcnt vmcnt(0)
	ds_write_b128 v1, v[6:9]
	v_add_u32_e32 v1, s23, v1
	s_andn2_b64 exec, exec, s[20:21]
	s_cbranch_execnz .LBB83_2
.LBB83_3:
	s_or_b64 exec, exec, s[18:19]
	v_lshl_add_u32 v2, s7, 2, v0
	v_cmp_gt_i32_e32 vcc, s16, v2
	s_and_saveexec_b64 s[18:19], vcc
	s_cbranch_execz .LBB83_6
; %bb.4:
	s_load_dword s20, s[4:5], 0x44
	s_lshl_b64 s[2:3], s[2:3], 2
	s_add_u32 s8, s8, s2
	s_addc_u32 s21, s9, s3
	s_lshl_b32 s2, s7, 4
	s_waitcnt lgkmcnt(0)
	s_and_b32 s9, s20, 0xffff
	s_add_i32 s2, s2, 0
	v_lshl_add_u32 v1, v0, 2, s2
	s_lshl_b32 s20, s9, 2
	s_mov_b64 s[2:3], 0
	v_mov_b32_e32 v4, s21
.LBB83_5:                               ; =>This Inner Loop Header: Depth=1
	v_ashrrev_i32_e32 v3, 31, v2
	v_lshlrev_b64 v[6:7], 2, v[2:3]
	v_add_co_u32_e32 v6, vcc, s8, v6
	v_addc_co_u32_e32 v7, vcc, v4, v7, vcc
	global_load_dword v3, v[6:7], off
	v_add_u32_e32 v2, s9, v2
	v_cmp_le_i32_e32 vcc, s16, v2
	s_or_b64 s[2:3], vcc, s[2:3]
	s_waitcnt vmcnt(0)
	ds_write_b32 v1, v3
	v_add_u32_e32 v1, s20, v1
	s_andn2_b64 exec, exec, s[2:3]
	s_cbranch_execnz .LBB83_5
.LBB83_6:
	s_or_b64 exec, exec, s[18:19]
	v_cmp_gt_i32_e32 vcc, s16, v0
	v_mov_b32_e32 v1, 0xff800000
	s_waitcnt lgkmcnt(0)
	s_barrier
	s_and_saveexec_b64 s[8:9], vcc
	s_cbranch_execz .LBB83_10
; %bb.7:
	s_load_dword s2, s[4:5], 0x44
	v_lshl_add_u32 v2, v0, 2, 0
	s_mov_b64 s[18:19], 0
	v_mov_b32_e32 v1, 0xff800000
	v_mov_b32_e32 v3, v0
	s_waitcnt lgkmcnt(0)
	s_and_b32 s20, s2, 0xffff
	s_lshl_b32 s21, s20, 2
.LBB83_8:                               ; =>This Inner Loop Header: Depth=1
	ds_read_b32 v4, v2
	v_add_u32_e32 v3, s20, v3
	v_max_f32_e32 v1, v1, v1
	v_cmp_le_i32_e64 s[2:3], s16, v3
	v_add_u32_e32 v2, s21, v2
	s_waitcnt lgkmcnt(0)
	v_max_f32_e32 v4, v4, v4
	s_or_b64 s[18:19], s[2:3], s[18:19]
	v_max_f32_e32 v1, v1, v4
	s_andn2_b64 exec, exec, s[18:19]
	s_cbranch_execnz .LBB83_8
; %bb.9:
	s_or_b64 exec, exec, s[18:19]
.LBB83_10:
	s_or_b64 exec, exec, s[8:9]
	;;#ASMSTART
	v_max_f32 v2, v1, v1 quad_perm:[1,0,3,2] row_mask:0xf bank_mask:0xf bound_ctrl:1
	;;#ASMEND
	;;#ASMSTART
	v_max_f32 v1, v2, v2 quad_perm:[2,3,0,1] row_mask:0xf bank_mask:0xf bound_ctrl:1
	;;#ASMEND
	;;#ASMSTART
	v_max_f32 v2, v1, v1 row_half_mirror row_mask:0xf bank_mask:0xf bound_ctrl:1
	;;#ASMEND
	;;#ASMSTART
	v_max_f32 v1, v2, v2 row_mirror row_mask:0xf bank_mask:0xf bound_ctrl:1
	;;#ASMEND
	;;#ASMSTART
	v_max_f32 v2, v1, v1 row_ror:4 row_mask:0xf bank_mask:0xf bound_ctrl:1
	;;#ASMEND
	;;#ASMSTART
	v_max_f32 v1, v2, v2 row_ror:8 row_mask:0xf bank_mask:0xf bound_ctrl:1
	;;#ASMEND
	;;#ASMSTART
	v_max_f32 v2, v1, v1 row_bcast:15 row_mask:0xf bank_mask:0xf bound_ctrl:1
	;;#ASMEND
	v_mbcnt_lo_u32_b32 v1, -1, 0
	;;#ASMSTART
	v_max_f32 v3, v2, v2 row_bcast:31 row_mask:0xf bank_mask:0xf bound_ctrl:1
	;;#ASMEND
	v_mbcnt_hi_u32_b32 v1, -1, v1
	v_bfrev_b32_e32 v2, 0.5
	v_lshl_or_b32 v1, v1, 2, v2
	ds_bpermute_b32 v3, v1, v3
	v_mov_b32_e32 v2, 0
	s_and_saveexec_b64 s[18:19], vcc
	s_cbranch_execz .LBB83_14
; %bb.11:
	s_load_dword s2, s[4:5], 0x44
	v_lshl_add_u32 v4, v0, 2, 0
	s_mov_b64 s[20:21], 0
	v_mov_b32_e32 v2, 0
	s_mov_b32 s22, 0xc2fc0000
	s_waitcnt lgkmcnt(0)
	s_and_b32 s23, s2, 0xffff
	s_lshl_b32 s24, s23, 2
	v_mov_b32_e32 v5, 0x42800000
	v_mov_b32_e32 v6, 0x1f800000
	;; [unrolled: 1-line block ×3, first 2 shown]
.LBB83_12:                              ; =>This Inner Loop Header: Depth=1
	ds_read_b32 v8, v4
	v_add_u32_e32 v7, s23, v7
	v_cmp_le_i32_e64 s[8:9], s16, v7
	s_or_b64 s[20:21], s[8:9], s[20:21]
	s_waitcnt lgkmcnt(0)
	v_sub_f32_e32 v8, v8, v3
	v_mul_f32_e32 v9, 0x3fb8aa3b, v8
	v_cmp_gt_f32_e64 s[2:3], s22, v9
	v_cndmask_b32_e64 v9, 0, v5, s[2:3]
	v_fmac_f32_e32 v9, 0x3fb8aa3b, v8
	v_exp_f32_e32 v8, v9
	v_cndmask_b32_e64 v9, 1.0, v6, s[2:3]
	v_mul_f32_e32 v10, v8, v9
	v_fmac_f32_e32 v2, v8, v9
	ds_write_b32 v4, v10
	v_add_u32_e32 v4, s24, v4
	s_andn2_b64 exec, exec, s[20:21]
	s_cbranch_execnz .LBB83_12
; %bb.13:
	s_or_b64 exec, exec, s[20:21]
.LBB83_14:
	s_or_b64 exec, exec, s[18:19]
	s_waitcnt lgkmcnt(0)
	v_mov_b32_dpp v3, v2 quad_perm:[1,0,3,2] row_mask:0xf bank_mask:0xf
	v_add_f32_e32 v2, v2, v3
	s_nop 1
	v_mov_b32_dpp v3, v2 quad_perm:[2,3,0,1] row_mask:0xf bank_mask:0xf
	v_add_f32_e32 v2, v2, v3
	s_nop 1
	v_mov_b32_dpp v3, v2 row_half_mirror row_mask:0xf bank_mask:0xf
	v_add_f32_e32 v2, v2, v3
	s_nop 1
	v_mov_b32_dpp v3, v2 row_mirror row_mask:0xf bank_mask:0xf
	v_add_f32_e32 v2, v2, v3
	s_nop 1
	v_mov_b32_dpp v3, v2 row_bcast:15 row_mask:0xf bank_mask:0xf
	v_add_f32_e32 v2, v2, v3
	s_nop 1
	v_mov_b32_dpp v3, v2 row_bcast:31 row_mask:0xf bank_mask:0xf
	v_add_f32_e32 v2, v2, v3
	ds_bpermute_b32 v2, v1, v2
	s_and_saveexec_b64 s[8:9], vcc
	s_cbranch_execz .LBB83_19
; %bb.15:
	s_load_dword s20, s[4:5], 0x44
	s_waitcnt lgkmcnt(0)
	v_rcp_f32_e32 v4, v2
	s_cmp_lg_u64 s[10:11], 0
	s_cselect_b64 s[2:3], -1, 0
	v_cndmask_b32_e64 v2, 0, 1, s[2:3]
	s_and_b32 s20, s20, 0xffff
	s_mov_b64 s[18:19], 0
	v_lshl_add_u32 v5, v0, 2, 0
	s_lshl_b32 s21, s20, 2
	v_cmp_ne_u32_e64 s[2:3], 1, v2
	v_mov_b32_e32 v2, v0
	s_branch .LBB83_17
.LBB83_16:                              ;   in Loop: Header=BB83_17 Depth=1
	v_add_u32_e32 v2, s20, v2
	v_cmp_le_i32_e32 vcc, s16, v2
	s_or_b64 s[18:19], vcc, s[18:19]
	v_add_u32_e32 v5, s21, v5
	s_andn2_b64 exec, exec, s[18:19]
	s_cbranch_execz .LBB83_19
.LBB83_17:                              ; =>This Inner Loop Header: Depth=1
	ds_read_b32 v3, v5
	s_and_b64 vcc, exec, s[2:3]
	s_waitcnt lgkmcnt(0)
	v_mul_f32_e32 v6, v4, v3
	ds_write_b32 v5, v6
	s_cbranch_vccnz .LBB83_16
; %bb.18:                               ;   in Loop: Header=BB83_17 Depth=1
	v_ashrrev_i32_e32 v3, 31, v2
	v_lshlrev_b64 v[8:9], 1, v[2:3]
	v_mov_b32_e32 v3, s11
	v_add_co_u32_e32 v8, vcc, s10, v8
	v_addc_co_u32_e32 v9, vcc, v3, v9, vcc
	global_load_ushort v3, v[8:9], off
	s_waitcnt vmcnt(0)
	v_lshlrev_b32_e32 v3, 16, v3
	v_add_f32_e32 v3, v6, v3
	ds_write_b32 v5, v3
	s_branch .LBB83_16
.LBB83_19:
	s_or_b64 exec, exec, s[8:9]
	s_cmp_lt_i32 s17, 1
	v_mov_b32_e32 v3, 0
	s_waitcnt lgkmcnt(0)
	s_barrier
	s_cbranch_scc1 .LBB83_28
; %bb.20:
	s_add_u32 s2, s4, 56
	s_addc_u32 s3, s5, 0
	s_cmp_lg_u64 s[10:11], 0
	s_cselect_b64 s[8:9], -1, 0
	v_lshlrev_b32_e32 v5, 2, v0
	v_lshl_add_u32 v6, v0, 4, 0
	s_mov_b32 s16, 0
	v_mov_b32_e32 v3, 0
	v_mov_b32_e32 v7, 0
	;; [unrolled: 1-line block ×5, first 2 shown]
	s_branch .LBB83_22
.LBB83_21:                              ;   in Loop: Header=BB83_22 Depth=1
	s_lshl_b32 s19, s18, 2
	s_add_i32 s19, s19, 0
	v_mov_b32_e32 v9, s19
	ds_write_b32 v9, v8
	v_mov_b32_e32 v9, s18
	v_cmp_eq_u32_e32 vcc, s16, v0
	s_add_i32 s16, s16, 1
	v_cndmask_b32_e32 v2, v2, v9, vcc
	v_cndmask_b32_e32 v3, v3, v11, vcc
	s_cmp_eq_u32 s16, s17
	v_add_f32_e32 v4, v4, v11
	s_cbranch_scc1 .LBB83_29
.LBB83_22:                              ; =>This Loop Header: Depth=1
                                        ;     Child Loop BB83_24 Depth 2
	v_mov_b32_e32 v9, s16
	v_mov_b32_e32 v10, 0xff800000
	s_and_saveexec_b64 s[18:19], s[0:1]
	s_cbranch_execz .LBB83_26
; %bb.23:                               ;   in Loop: Header=BB83_22 Depth=1
	s_load_dword s22, s[2:3], 0xc
	s_mov_b64 s[20:21], 0
	v_mov_b32_e32 v9, s16
	v_mov_b32_e32 v10, 0xff800000
	;; [unrolled: 1-line block ×3, first 2 shown]
	s_waitcnt lgkmcnt(0)
	s_and_b32 s22, s22, 0xffff
	s_lshl_b32 s23, s22, 2
	s_lshl_b32 s24, s22, 4
	v_mov_b32_e32 v12, v5
	v_mov_b32_e32 v13, v0
.LBB83_24:                              ;   Parent Loop BB83_22 Depth=1
                                        ; =>  This Inner Loop Header: Depth=2
	ds_read_b128 v[14:17], v11
	v_add_u32_e32 v13, s22, v13
	v_cmp_le_i32_e32 vcc, s7, v13
	s_or_b64 s[20:21], vcc, s[20:21]
	v_add_u32_e32 v18, 1, v12
	s_waitcnt lgkmcnt(0)
	v_cmp_gt_f32_e32 vcc, v14, v10
	v_cndmask_b32_e32 v10, v10, v14, vcc
	v_cndmask_b32_e32 v9, v9, v12, vcc
	v_cmp_gt_f32_e32 vcc, v15, v10
	v_cndmask_b32_e32 v10, v10, v15, vcc
	v_cndmask_b32_e32 v9, v9, v18, vcc
	v_cmp_gt_f32_e32 vcc, v16, v10
	v_add_u32_e32 v19, 2, v12
	v_cndmask_b32_e32 v10, v10, v16, vcc
	v_add_u32_e32 v20, 3, v12
	v_cndmask_b32_e32 v9, v9, v19, vcc
	v_cmp_gt_f32_e32 vcc, v17, v10
	v_add_u32_e32 v11, s24, v11
	v_add_u32_e32 v12, s23, v12
	v_cndmask_b32_e32 v10, v10, v17, vcc
	v_cndmask_b32_e32 v9, v9, v20, vcc
	s_andn2_b64 exec, exec, s[20:21]
	s_cbranch_execnz .LBB83_24
; %bb.25:                               ;   in Loop: Header=BB83_22 Depth=1
	s_or_b64 exec, exec, s[20:21]
.LBB83_26:                              ;   in Loop: Header=BB83_22 Depth=1
	s_or_b64 exec, exec, s[18:19]
	;;#ASMSTART
	v_max_f32 v11, v10, v10 quad_perm:[1,0,3,2] row_mask:0xf bank_mask:0xf bound_ctrl:1
	;;#ASMEND
	;;#ASMSTART
	v_max_f32 v12, v11, v11 quad_perm:[2,3,0,1] row_mask:0xf bank_mask:0xf bound_ctrl:1
	;;#ASMEND
	;;#ASMSTART
	v_max_f32 v11, v12, v12 row_half_mirror row_mask:0xf bank_mask:0xf bound_ctrl:1
	;;#ASMEND
	;;#ASMSTART
	v_max_f32 v12, v11, v11 row_mirror row_mask:0xf bank_mask:0xf bound_ctrl:1
	;;#ASMEND
	;;#ASMSTART
	v_max_f32 v11, v12, v12 row_ror:4 row_mask:0xf bank_mask:0xf bound_ctrl:1
	;;#ASMEND
	;;#ASMSTART
	v_max_f32 v12, v11, v11 row_ror:8 row_mask:0xf bank_mask:0xf bound_ctrl:1
	;;#ASMEND
	;;#ASMSTART
	v_max_f32 v11, v12, v12 row_bcast:15 row_mask:0xf bank_mask:0xf bound_ctrl:1
	;;#ASMEND
	;;#ASMSTART
	v_max_f32 v12, v11, v11 row_bcast:31 row_mask:0xf bank_mask:0xf bound_ctrl:1
	;;#ASMEND
	ds_bpermute_b32 v11, v1, v12
	s_waitcnt lgkmcnt(0)
	v_cmp_eq_f32_e32 vcc, v10, v11
	s_ff1_i32_b64 s18, vcc
	s_cmp_lg_u64 vcc, 0
	s_cselect_b32 s18, s18, 0
	s_and_b64 vcc, exec, s[8:9]
	v_readlane_b32 s18, v9, s18
	s_cbranch_vccz .LBB83_21
; %bb.27:                               ;   in Loop: Header=BB83_22 Depth=1
	s_ashr_i32 s19, s18, 31
	s_lshl_b64 s[20:21], s[18:19], 1
	s_add_u32 s20, s10, s20
	s_addc_u32 s21, s11, s21
	global_load_ushort v9, v7, s[20:21]
	s_waitcnt vmcnt(0)
	v_lshlrev_b32_e32 v9, 16, v9
	v_sub_f32_e32 v11, v11, v9
	s_branch .LBB83_21
.LBB83_28:
	v_mov_b32_e32 v2, 0
	v_mov_b32_e32 v4, 0
.LBB83_29:
	v_cmp_gt_i32_e32 vcc, s17, v0
	s_and_saveexec_b64 s[0:1], vcc
	s_cbranch_execz .LBB83_32
; %bb.30:
	s_load_dword s2, s[4:5], 0x34
	v_max_f32_e32 v1, v4, v4
	v_max_f32_e32 v1, 0x1e3ce508, v1
	s_load_dword s3, s[4:5], 0x44
	s_waitcnt lgkmcnt(0)
	v_div_scale_f32 v4, s[0:1], v1, v1, s2
	s_load_dwordx2 s[0:1], s[4:5], 0x20
	v_rcp_f32_e32 v5, v4
	v_div_scale_f32 v6, vcc, s2, v1, s2
	s_and_b32 s3, s3, 0xffff
	v_fma_f32 v7, -v4, v5, 1.0
	v_fmac_f32_e32 v5, v7, v5
	v_mul_f32_e32 v7, v6, v5
	v_fma_f32 v8, -v4, v7, v6
	v_fmac_f32_e32 v7, v8, v5
	v_fma_f32 v4, -v4, v7, v6
	v_div_fmas_f32 v4, v4, v5, v7
	v_div_fixup_f32 v1, v4, v1, s2
	s_ashr_i32 s2, s6, 31
	s_waitcnt lgkmcnt(0)
	s_mul_i32 s1, s6, s1
	s_mul_hi_u32 s4, s6, s0
	s_add_i32 s1, s4, s1
	s_mul_i32 s2, s2, s0
	s_add_i32 s4, s1, s2
	v_mul_f32_e32 v1, v3, v1
	s_mul_i32 s2, s6, s0
	s_mov_b64 s[0:1], 0
	v_mov_b32_e32 v3, s4
	v_mov_b32_e32 v4, s13
	;; [unrolled: 1-line block ×3, first 2 shown]
.LBB83_31:                              ; =>This Inner Loop Header: Depth=1
	v_ashrrev_i32_e32 v7, 31, v0
	v_add_co_u32_e32 v6, vcc, s2, v0
	v_addc_co_u32_e32 v7, vcc, v3, v7, vcc
	v_add_u32_e32 v0, s3, v0
	v_cmp_le_i32_e32 vcc, s17, v0
	v_lshlrev_b64 v[6:7], 2, v[6:7]
	s_or_b64 s[0:1], vcc, s[0:1]
	v_add_co_u32_e32 v8, vcc, s12, v6
	v_addc_co_u32_e32 v9, vcc, v4, v7, vcc
	v_add_co_u32_e32 v6, vcc, s14, v6
	v_addc_co_u32_e32 v7, vcc, v5, v7, vcc
	global_store_dword v[8:9], v1, off
	global_store_dword v[6:7], v2, off
	s_andn2_b64 exec, exec, s[0:1]
	s_cbranch_execnz .LBB83_31
.LBB83_32:
	s_endpgm
	.section	.rodata,"a",@progbits
	.p2align	6, 0x0
	.amdhsa_kernel _ZN5aiter20topk_softplus_kernelIf12hip_bfloat16Dv4_fLb1ELi2EEEvPKT_PKT0_PfPimiiif
		.amdhsa_group_segment_fixed_size 0
		.amdhsa_private_segment_fixed_size 0
		.amdhsa_kernarg_size 312
		.amdhsa_user_sgpr_count 6
		.amdhsa_user_sgpr_private_segment_buffer 1
		.amdhsa_user_sgpr_dispatch_ptr 0
		.amdhsa_user_sgpr_queue_ptr 0
		.amdhsa_user_sgpr_kernarg_segment_ptr 1
		.amdhsa_user_sgpr_dispatch_id 0
		.amdhsa_user_sgpr_flat_scratch_init 0
		.amdhsa_user_sgpr_kernarg_preload_length 0
		.amdhsa_user_sgpr_kernarg_preload_offset 0
		.amdhsa_user_sgpr_private_segment_size 0
		.amdhsa_uses_dynamic_stack 0
		.amdhsa_system_sgpr_private_segment_wavefront_offset 0
		.amdhsa_system_sgpr_workgroup_id_x 1
		.amdhsa_system_sgpr_workgroup_id_y 0
		.amdhsa_system_sgpr_workgroup_id_z 0
		.amdhsa_system_sgpr_workgroup_info 0
		.amdhsa_system_vgpr_workitem_id 0
		.amdhsa_next_free_vgpr 21
		.amdhsa_next_free_sgpr 25
		.amdhsa_accum_offset 24
		.amdhsa_reserve_vcc 1
		.amdhsa_reserve_flat_scratch 0
		.amdhsa_float_round_mode_32 0
		.amdhsa_float_round_mode_16_64 0
		.amdhsa_float_denorm_mode_32 3
		.amdhsa_float_denorm_mode_16_64 3
		.amdhsa_dx10_clamp 1
		.amdhsa_ieee_mode 1
		.amdhsa_fp16_overflow 0
		.amdhsa_tg_split 0
		.amdhsa_exception_fp_ieee_invalid_op 0
		.amdhsa_exception_fp_denorm_src 0
		.amdhsa_exception_fp_ieee_div_zero 0
		.amdhsa_exception_fp_ieee_overflow 0
		.amdhsa_exception_fp_ieee_underflow 0
		.amdhsa_exception_fp_ieee_inexact 0
		.amdhsa_exception_int_div_zero 0
	.end_amdhsa_kernel
	.section	.text._ZN5aiter20topk_softplus_kernelIf12hip_bfloat16Dv4_fLb1ELi2EEEvPKT_PKT0_PfPimiiif,"axG",@progbits,_ZN5aiter20topk_softplus_kernelIf12hip_bfloat16Dv4_fLb1ELi2EEEvPKT_PKT0_PfPimiiif,comdat
.Lfunc_end83:
	.size	_ZN5aiter20topk_softplus_kernelIf12hip_bfloat16Dv4_fLb1ELi2EEEvPKT_PKT0_PfPimiiif, .Lfunc_end83-_ZN5aiter20topk_softplus_kernelIf12hip_bfloat16Dv4_fLb1ELi2EEEvPKT_PKT0_PfPimiiif
                                        ; -- End function
	.section	.AMDGPU.csdata,"",@progbits
; Kernel info:
; codeLenInByte = 1796
; NumSgprs: 29
; NumVgprs: 21
; NumAgprs: 0
; TotalNumVgprs: 21
; ScratchSize: 0
; MemoryBound: 0
; FloatMode: 240
; IeeeMode: 1
; LDSByteSize: 0 bytes/workgroup (compile time only)
; SGPRBlocks: 3
; VGPRBlocks: 2
; NumSGPRsForWavesPerEU: 29
; NumVGPRsForWavesPerEU: 21
; AccumOffset: 24
; Occupancy: 8
; WaveLimiterHint : 0
; COMPUTE_PGM_RSRC2:SCRATCH_EN: 0
; COMPUTE_PGM_RSRC2:USER_SGPR: 6
; COMPUTE_PGM_RSRC2:TRAP_HANDLER: 0
; COMPUTE_PGM_RSRC2:TGID_X_EN: 1
; COMPUTE_PGM_RSRC2:TGID_Y_EN: 0
; COMPUTE_PGM_RSRC2:TGID_Z_EN: 0
; COMPUTE_PGM_RSRC2:TIDIG_COMP_CNT: 0
; COMPUTE_PGM_RSRC3_GFX90A:ACCUM_OFFSET: 5
; COMPUTE_PGM_RSRC3_GFX90A:TG_SPLIT: 0
	.section	.text._ZN5aiter20topk_softplus_kernelIf12hip_bfloat16Dv4_fLb0ELi2EEEvPKT_PKT0_PfPimiiif,"axG",@progbits,_ZN5aiter20topk_softplus_kernelIf12hip_bfloat16Dv4_fLb0ELi2EEEvPKT_PKT0_PfPimiiif,comdat
	.protected	_ZN5aiter20topk_softplus_kernelIf12hip_bfloat16Dv4_fLb0ELi2EEEvPKT_PKT0_PfPimiiif ; -- Begin function _ZN5aiter20topk_softplus_kernelIf12hip_bfloat16Dv4_fLb0ELi2EEEvPKT_PKT0_PfPimiiif
	.globl	_ZN5aiter20topk_softplus_kernelIf12hip_bfloat16Dv4_fLb0ELi2EEEvPKT_PKT0_PfPimiiif
	.p2align	8
	.type	_ZN5aiter20topk_softplus_kernelIf12hip_bfloat16Dv4_fLb0ELi2EEEvPKT_PKT0_PfPimiiif,@function
_ZN5aiter20topk_softplus_kernelIf12hip_bfloat16Dv4_fLb0ELi2EEEvPKT_PKT0_PfPimiiif: ; @_ZN5aiter20topk_softplus_kernelIf12hip_bfloat16Dv4_fLb0ELi2EEEvPKT_PKT0_PfPimiiif
; %bb.0:
	s_load_dwordx2 s[16:17], s[4:5], 0x28
	s_load_dwordx8 s[8:15], s[4:5], 0x0
	s_waitcnt lgkmcnt(0)
	s_ashr_i32 s0, s16, 31
	s_lshr_b32 s0, s0, 30
	s_add_i32 s0, s16, s0
	s_mul_i32 s2, s6, s16
	s_ashr_i32 s7, s0, 2
	s_ashr_i32 s3, s2, 31
	v_cmp_gt_i32_e64 s[0:1], s7, v0
	s_and_saveexec_b64 s[18:19], s[0:1]
	s_cbranch_execz .LBB84_3
; %bb.1:
	s_load_dword s22, s[4:5], 0x44
	s_lshl_b64 s[20:21], s[2:3], 2
	v_lshlrev_b32_e32 v1, 4, v0
	s_mov_b32 s24, 0
	v_mov_b32_e32 v4, s24
	s_waitcnt lgkmcnt(0)
	s_and_b32 s22, s22, 0xffff
	s_add_u32 s20, s8, s20
	s_addc_u32 s21, s9, s21
	v_mov_b32_e32 v3, s21
	v_add_co_u32_e32 v2, vcc, s20, v1
	v_addc_co_u32_e32 v3, vcc, 0, v3, vcc
	s_lshl_b32 s23, s22, 4
	v_add_u32_e32 v1, 0, v1
	s_mov_b64 s[20:21], 0
	v_mov_b32_e32 v5, v0
.LBB84_2:                               ; =>This Inner Loop Header: Depth=1
	global_load_dwordx4 v[6:9], v[2:3], off
	v_add_co_u32_e32 v2, vcc, s23, v2
	v_add_u32_e32 v5, s22, v5
	v_addc_co_u32_e32 v3, vcc, v3, v4, vcc
	v_cmp_le_i32_e32 vcc, s7, v5
	s_or_b64 s[20:21], vcc, s[20:21]
	s_waitcnt vmcnt(0)
	ds_write_b128 v1, v[6:9]
	v_add_u32_e32 v1, s23, v1
	s_andn2_b64 exec, exec, s[20:21]
	s_cbranch_execnz .LBB84_2
.LBB84_3:
	s_or_b64 exec, exec, s[18:19]
	v_lshl_add_u32 v2, s7, 2, v0
	v_cmp_gt_i32_e32 vcc, s16, v2
	s_and_saveexec_b64 s[18:19], vcc
	s_cbranch_execz .LBB84_6
; %bb.4:
	s_load_dword s20, s[4:5], 0x44
	s_lshl_b64 s[2:3], s[2:3], 2
	s_add_u32 s8, s8, s2
	s_addc_u32 s21, s9, s3
	s_lshl_b32 s2, s7, 4
	s_waitcnt lgkmcnt(0)
	s_and_b32 s9, s20, 0xffff
	s_add_i32 s2, s2, 0
	v_lshl_add_u32 v1, v0, 2, s2
	s_lshl_b32 s20, s9, 2
	s_mov_b64 s[2:3], 0
	v_mov_b32_e32 v4, s21
.LBB84_5:                               ; =>This Inner Loop Header: Depth=1
	v_ashrrev_i32_e32 v3, 31, v2
	v_lshlrev_b64 v[6:7], 2, v[2:3]
	v_add_co_u32_e32 v6, vcc, s8, v6
	v_addc_co_u32_e32 v7, vcc, v4, v7, vcc
	global_load_dword v3, v[6:7], off
	v_add_u32_e32 v2, s9, v2
	v_cmp_le_i32_e32 vcc, s16, v2
	s_or_b64 s[2:3], vcc, s[2:3]
	s_waitcnt vmcnt(0)
	ds_write_b32 v1, v3
	v_add_u32_e32 v1, s20, v1
	s_andn2_b64 exec, exec, s[2:3]
	s_cbranch_execnz .LBB84_5
.LBB84_6:
	s_or_b64 exec, exec, s[18:19]
	v_cmp_gt_i32_e32 vcc, s16, v0
	v_mov_b32_e32 v1, 0xff800000
	s_waitcnt lgkmcnt(0)
	s_barrier
	s_and_saveexec_b64 s[8:9], vcc
	s_cbranch_execz .LBB84_10
; %bb.7:
	s_load_dword s2, s[4:5], 0x44
	v_lshl_add_u32 v2, v0, 2, 0
	s_mov_b64 s[18:19], 0
	v_mov_b32_e32 v1, 0xff800000
	v_mov_b32_e32 v3, v0
	s_waitcnt lgkmcnt(0)
	s_and_b32 s20, s2, 0xffff
	s_lshl_b32 s21, s20, 2
.LBB84_8:                               ; =>This Inner Loop Header: Depth=1
	ds_read_b32 v4, v2
	v_add_u32_e32 v3, s20, v3
	v_max_f32_e32 v1, v1, v1
	v_cmp_le_i32_e64 s[2:3], s16, v3
	v_add_u32_e32 v2, s21, v2
	s_waitcnt lgkmcnt(0)
	v_max_f32_e32 v4, v4, v4
	s_or_b64 s[18:19], s[2:3], s[18:19]
	v_max_f32_e32 v1, v1, v4
	s_andn2_b64 exec, exec, s[18:19]
	s_cbranch_execnz .LBB84_8
; %bb.9:
	s_or_b64 exec, exec, s[18:19]
.LBB84_10:
	s_or_b64 exec, exec, s[8:9]
	;;#ASMSTART
	v_max_f32 v2, v1, v1 quad_perm:[1,0,3,2] row_mask:0xf bank_mask:0xf bound_ctrl:1
	;;#ASMEND
	;;#ASMSTART
	v_max_f32 v1, v2, v2 quad_perm:[2,3,0,1] row_mask:0xf bank_mask:0xf bound_ctrl:1
	;;#ASMEND
	;;#ASMSTART
	v_max_f32 v2, v1, v1 row_half_mirror row_mask:0xf bank_mask:0xf bound_ctrl:1
	;;#ASMEND
	;;#ASMSTART
	v_max_f32 v1, v2, v2 row_mirror row_mask:0xf bank_mask:0xf bound_ctrl:1
	;;#ASMEND
	;;#ASMSTART
	v_max_f32 v2, v1, v1 row_ror:4 row_mask:0xf bank_mask:0xf bound_ctrl:1
	;;#ASMEND
	;;#ASMSTART
	v_max_f32 v1, v2, v2 row_ror:8 row_mask:0xf bank_mask:0xf bound_ctrl:1
	;;#ASMEND
	;;#ASMSTART
	v_max_f32 v2, v1, v1 row_bcast:15 row_mask:0xf bank_mask:0xf bound_ctrl:1
	;;#ASMEND
	v_mbcnt_lo_u32_b32 v1, -1, 0
	;;#ASMSTART
	v_max_f32 v3, v2, v2 row_bcast:31 row_mask:0xf bank_mask:0xf bound_ctrl:1
	;;#ASMEND
	v_mbcnt_hi_u32_b32 v1, -1, v1
	v_bfrev_b32_e32 v2, 0.5
	v_lshl_or_b32 v1, v1, 2, v2
	ds_bpermute_b32 v3, v1, v3
	v_mov_b32_e32 v2, 0
	s_and_saveexec_b64 s[18:19], vcc
	s_cbranch_execz .LBB84_14
; %bb.11:
	s_load_dword s2, s[4:5], 0x44
	v_lshl_add_u32 v4, v0, 2, 0
	s_mov_b64 s[20:21], 0
	v_mov_b32_e32 v2, 0
	s_mov_b32 s22, 0xc2fc0000
	s_waitcnt lgkmcnt(0)
	s_and_b32 s23, s2, 0xffff
	s_lshl_b32 s24, s23, 2
	v_mov_b32_e32 v5, 0x42800000
	v_mov_b32_e32 v6, 0x1f800000
	;; [unrolled: 1-line block ×3, first 2 shown]
.LBB84_12:                              ; =>This Inner Loop Header: Depth=1
	ds_read_b32 v8, v4
	v_add_u32_e32 v7, s23, v7
	v_cmp_le_i32_e64 s[8:9], s16, v7
	s_or_b64 s[20:21], s[8:9], s[20:21]
	s_waitcnt lgkmcnt(0)
	v_sub_f32_e32 v8, v8, v3
	v_mul_f32_e32 v9, 0x3fb8aa3b, v8
	v_cmp_gt_f32_e64 s[2:3], s22, v9
	v_cndmask_b32_e64 v9, 0, v5, s[2:3]
	v_fmac_f32_e32 v9, 0x3fb8aa3b, v8
	v_exp_f32_e32 v8, v9
	v_cndmask_b32_e64 v9, 1.0, v6, s[2:3]
	v_mul_f32_e32 v10, v8, v9
	v_fmac_f32_e32 v2, v8, v9
	ds_write_b32 v4, v10
	v_add_u32_e32 v4, s24, v4
	s_andn2_b64 exec, exec, s[20:21]
	s_cbranch_execnz .LBB84_12
; %bb.13:
	s_or_b64 exec, exec, s[20:21]
.LBB84_14:
	s_or_b64 exec, exec, s[18:19]
	s_waitcnt lgkmcnt(0)
	v_mov_b32_dpp v3, v2 quad_perm:[1,0,3,2] row_mask:0xf bank_mask:0xf
	v_add_f32_e32 v2, v2, v3
	s_nop 1
	v_mov_b32_dpp v3, v2 quad_perm:[2,3,0,1] row_mask:0xf bank_mask:0xf
	v_add_f32_e32 v2, v2, v3
	s_nop 1
	v_mov_b32_dpp v3, v2 row_half_mirror row_mask:0xf bank_mask:0xf
	v_add_f32_e32 v2, v2, v3
	s_nop 1
	v_mov_b32_dpp v3, v2 row_mirror row_mask:0xf bank_mask:0xf
	v_add_f32_e32 v2, v2, v3
	s_nop 1
	v_mov_b32_dpp v3, v2 row_bcast:15 row_mask:0xf bank_mask:0xf
	v_add_f32_e32 v2, v2, v3
	s_nop 1
	v_mov_b32_dpp v3, v2 row_bcast:31 row_mask:0xf bank_mask:0xf
	v_add_f32_e32 v2, v2, v3
	ds_bpermute_b32 v2, v1, v2
	s_and_saveexec_b64 s[8:9], vcc
	s_cbranch_execz .LBB84_19
; %bb.15:
	s_load_dword s20, s[4:5], 0x44
	s_waitcnt lgkmcnt(0)
	v_rcp_f32_e32 v4, v2
	s_cmp_lg_u64 s[10:11], 0
	s_cselect_b64 s[2:3], -1, 0
	v_cndmask_b32_e64 v2, 0, 1, s[2:3]
	s_and_b32 s20, s20, 0xffff
	s_mov_b64 s[18:19], 0
	v_lshl_add_u32 v5, v0, 2, 0
	s_lshl_b32 s21, s20, 2
	v_cmp_ne_u32_e64 s[2:3], 1, v2
	v_mov_b32_e32 v2, v0
	s_branch .LBB84_17
.LBB84_16:                              ;   in Loop: Header=BB84_17 Depth=1
	v_add_u32_e32 v2, s20, v2
	v_cmp_le_i32_e32 vcc, s16, v2
	s_or_b64 s[18:19], vcc, s[18:19]
	v_add_u32_e32 v5, s21, v5
	s_andn2_b64 exec, exec, s[18:19]
	s_cbranch_execz .LBB84_19
.LBB84_17:                              ; =>This Inner Loop Header: Depth=1
	ds_read_b32 v3, v5
	s_and_b64 vcc, exec, s[2:3]
	s_waitcnt lgkmcnt(0)
	v_mul_f32_e32 v6, v4, v3
	ds_write_b32 v5, v6
	s_cbranch_vccnz .LBB84_16
; %bb.18:                               ;   in Loop: Header=BB84_17 Depth=1
	v_ashrrev_i32_e32 v3, 31, v2
	v_lshlrev_b64 v[8:9], 1, v[2:3]
	v_mov_b32_e32 v3, s11
	v_add_co_u32_e32 v8, vcc, s10, v8
	v_addc_co_u32_e32 v9, vcc, v3, v9, vcc
	global_load_ushort v3, v[8:9], off
	s_waitcnt vmcnt(0)
	v_lshlrev_b32_e32 v3, 16, v3
	v_add_f32_e32 v3, v6, v3
	ds_write_b32 v5, v3
	s_branch .LBB84_16
.LBB84_19:
	s_or_b64 exec, exec, s[8:9]
	s_cmp_lt_i32 s17, 1
	s_waitcnt lgkmcnt(0)
	s_barrier
	s_cbranch_scc1 .LBB84_28
; %bb.20:
	s_add_u32 s2, s4, 56
	s_addc_u32 s3, s5, 0
	s_cmp_lg_u64 s[10:11], 0
	s_cselect_b64 s[8:9], -1, 0
	v_lshlrev_b32_e32 v4, 2, v0
	s_mov_b32 s16, 0
	v_mov_b32_e32 v2, 0
	v_lshl_add_u32 v5, v0, 4, 0
	v_mov_b32_e32 v6, 0
	v_mov_b32_e32 v7, 0xff800000
	v_mov_b32_e32 v3, 0
	s_branch .LBB84_22
.LBB84_21:                              ;   in Loop: Header=BB84_22 Depth=1
	s_lshl_b32 s19, s18, 2
	s_add_i32 s19, s19, 0
	v_mov_b32_e32 v8, s19
	ds_write_b32 v8, v7
	v_mov_b32_e32 v8, s18
	v_cmp_eq_u32_e32 vcc, s16, v0
	s_add_i32 s16, s16, 1
	v_cndmask_b32_e32 v2, v2, v8, vcc
	s_cmp_eq_u32 s16, s17
	v_cndmask_b32_e32 v3, v3, v10, vcc
	s_cbranch_scc1 .LBB84_29
.LBB84_22:                              ; =>This Loop Header: Depth=1
                                        ;     Child Loop BB84_24 Depth 2
	v_mov_b32_e32 v8, s16
	v_mov_b32_e32 v9, 0xff800000
	s_and_saveexec_b64 s[18:19], s[0:1]
	s_cbranch_execz .LBB84_26
; %bb.23:                               ;   in Loop: Header=BB84_22 Depth=1
	s_load_dword s22, s[2:3], 0xc
	s_mov_b64 s[20:21], 0
	v_mov_b32_e32 v8, s16
	v_mov_b32_e32 v9, 0xff800000
	;; [unrolled: 1-line block ×3, first 2 shown]
	s_waitcnt lgkmcnt(0)
	s_and_b32 s22, s22, 0xffff
	s_lshl_b32 s23, s22, 2
	s_lshl_b32 s24, s22, 4
	v_mov_b32_e32 v11, v4
	v_mov_b32_e32 v12, v0
.LBB84_24:                              ;   Parent Loop BB84_22 Depth=1
                                        ; =>  This Inner Loop Header: Depth=2
	ds_read_b128 v[14:17], v10
	v_add_u32_e32 v12, s22, v12
	v_cmp_le_i32_e32 vcc, s7, v12
	s_or_b64 s[20:21], vcc, s[20:21]
	v_add_u32_e32 v13, 1, v11
	s_waitcnt lgkmcnt(0)
	v_cmp_gt_f32_e32 vcc, v14, v9
	v_cndmask_b32_e32 v9, v9, v14, vcc
	v_cndmask_b32_e32 v8, v8, v11, vcc
	v_cmp_gt_f32_e32 vcc, v15, v9
	v_cndmask_b32_e32 v9, v9, v15, vcc
	v_cndmask_b32_e32 v8, v8, v13, vcc
	v_cmp_gt_f32_e32 vcc, v16, v9
	v_add_u32_e32 v18, 2, v11
	v_cndmask_b32_e32 v9, v9, v16, vcc
	v_add_u32_e32 v19, 3, v11
	v_cndmask_b32_e32 v8, v8, v18, vcc
	v_cmp_gt_f32_e32 vcc, v17, v9
	v_add_u32_e32 v10, s24, v10
	v_add_u32_e32 v11, s23, v11
	v_cndmask_b32_e32 v9, v9, v17, vcc
	v_cndmask_b32_e32 v8, v8, v19, vcc
	s_andn2_b64 exec, exec, s[20:21]
	s_cbranch_execnz .LBB84_24
; %bb.25:                               ;   in Loop: Header=BB84_22 Depth=1
	s_or_b64 exec, exec, s[20:21]
.LBB84_26:                              ;   in Loop: Header=BB84_22 Depth=1
	s_or_b64 exec, exec, s[18:19]
	;;#ASMSTART
	v_max_f32 v10, v9, v9 quad_perm:[1,0,3,2] row_mask:0xf bank_mask:0xf bound_ctrl:1
	;;#ASMEND
	;;#ASMSTART
	v_max_f32 v11, v10, v10 quad_perm:[2,3,0,1] row_mask:0xf bank_mask:0xf bound_ctrl:1
	;;#ASMEND
	;;#ASMSTART
	v_max_f32 v10, v11, v11 row_half_mirror row_mask:0xf bank_mask:0xf bound_ctrl:1
	;;#ASMEND
	;;#ASMSTART
	v_max_f32 v11, v10, v10 row_mirror row_mask:0xf bank_mask:0xf bound_ctrl:1
	;;#ASMEND
	;;#ASMSTART
	v_max_f32 v10, v11, v11 row_ror:4 row_mask:0xf bank_mask:0xf bound_ctrl:1
	;;#ASMEND
	;;#ASMSTART
	v_max_f32 v11, v10, v10 row_ror:8 row_mask:0xf bank_mask:0xf bound_ctrl:1
	;;#ASMEND
	;;#ASMSTART
	v_max_f32 v10, v11, v11 row_bcast:15 row_mask:0xf bank_mask:0xf bound_ctrl:1
	;;#ASMEND
	;;#ASMSTART
	v_max_f32 v11, v10, v10 row_bcast:31 row_mask:0xf bank_mask:0xf bound_ctrl:1
	;;#ASMEND
	ds_bpermute_b32 v10, v1, v11
	s_waitcnt lgkmcnt(0)
	v_cmp_eq_f32_e32 vcc, v9, v10
	s_ff1_i32_b64 s18, vcc
	s_cmp_lg_u64 vcc, 0
	s_cselect_b32 s18, s18, 0
	s_and_b64 vcc, exec, s[8:9]
	v_readlane_b32 s18, v8, s18
	s_cbranch_vccz .LBB84_21
; %bb.27:                               ;   in Loop: Header=BB84_22 Depth=1
	s_ashr_i32 s19, s18, 31
	s_lshl_b64 s[20:21], s[18:19], 1
	s_add_u32 s20, s10, s20
	s_addc_u32 s21, s11, s21
	global_load_ushort v8, v6, s[20:21]
	s_waitcnt vmcnt(0)
	v_lshlrev_b32_e32 v8, 16, v8
	v_sub_f32_e32 v10, v10, v8
	s_branch .LBB84_21
.LBB84_28:
	v_mov_b32_e32 v3, 0
	v_mov_b32_e32 v2, 0
.LBB84_29:
	v_cmp_gt_i32_e32 vcc, s17, v0
	s_and_saveexec_b64 s[0:1], vcc
	s_cbranch_execz .LBB84_32
; %bb.30:
	s_load_dword s2, s[4:5], 0x34
	s_load_dwordx2 s[0:1], s[4:5], 0x20
	s_ashr_i32 s3, s6, 31
	s_load_dword s4, s[4:5], 0x44
	v_mov_b32_e32 v4, s13
	s_waitcnt lgkmcnt(0)
	v_mul_f32_e32 v1, s2, v3
	s_mul_i32 s1, s6, s1
	s_mul_hi_u32 s2, s6, s0
	s_add_i32 s1, s2, s1
	s_mul_i32 s3, s3, s0
	s_add_i32 s5, s1, s3
	s_mul_i32 s2, s6, s0
	s_and_b32 s3, s4, 0xffff
	s_mov_b64 s[0:1], 0
	v_mov_b32_e32 v3, s5
	v_mov_b32_e32 v5, s15
.LBB84_31:                              ; =>This Inner Loop Header: Depth=1
	v_ashrrev_i32_e32 v7, 31, v0
	v_add_co_u32_e32 v6, vcc, s2, v0
	v_addc_co_u32_e32 v7, vcc, v3, v7, vcc
	v_add_u32_e32 v0, s3, v0
	v_cmp_le_i32_e32 vcc, s17, v0
	v_lshlrev_b64 v[6:7], 2, v[6:7]
	s_or_b64 s[0:1], vcc, s[0:1]
	v_add_co_u32_e32 v8, vcc, s12, v6
	v_addc_co_u32_e32 v9, vcc, v4, v7, vcc
	v_add_co_u32_e32 v6, vcc, s14, v6
	v_addc_co_u32_e32 v7, vcc, v5, v7, vcc
	global_store_dword v[8:9], v1, off
	global_store_dword v[6:7], v2, off
	s_andn2_b64 exec, exec, s[0:1]
	s_cbranch_execnz .LBB84_31
.LBB84_32:
	s_endpgm
	.section	.rodata,"a",@progbits
	.p2align	6, 0x0
	.amdhsa_kernel _ZN5aiter20topk_softplus_kernelIf12hip_bfloat16Dv4_fLb0ELi2EEEvPKT_PKT0_PfPimiiif
		.amdhsa_group_segment_fixed_size 0
		.amdhsa_private_segment_fixed_size 0
		.amdhsa_kernarg_size 312
		.amdhsa_user_sgpr_count 6
		.amdhsa_user_sgpr_private_segment_buffer 1
		.amdhsa_user_sgpr_dispatch_ptr 0
		.amdhsa_user_sgpr_queue_ptr 0
		.amdhsa_user_sgpr_kernarg_segment_ptr 1
		.amdhsa_user_sgpr_dispatch_id 0
		.amdhsa_user_sgpr_flat_scratch_init 0
		.amdhsa_user_sgpr_kernarg_preload_length 0
		.amdhsa_user_sgpr_kernarg_preload_offset 0
		.amdhsa_user_sgpr_private_segment_size 0
		.amdhsa_uses_dynamic_stack 0
		.amdhsa_system_sgpr_private_segment_wavefront_offset 0
		.amdhsa_system_sgpr_workgroup_id_x 1
		.amdhsa_system_sgpr_workgroup_id_y 0
		.amdhsa_system_sgpr_workgroup_id_z 0
		.amdhsa_system_sgpr_workgroup_info 0
		.amdhsa_system_vgpr_workitem_id 0
		.amdhsa_next_free_vgpr 20
		.amdhsa_next_free_sgpr 25
		.amdhsa_accum_offset 20
		.amdhsa_reserve_vcc 1
		.amdhsa_reserve_flat_scratch 0
		.amdhsa_float_round_mode_32 0
		.amdhsa_float_round_mode_16_64 0
		.amdhsa_float_denorm_mode_32 3
		.amdhsa_float_denorm_mode_16_64 3
		.amdhsa_dx10_clamp 1
		.amdhsa_ieee_mode 1
		.amdhsa_fp16_overflow 0
		.amdhsa_tg_split 0
		.amdhsa_exception_fp_ieee_invalid_op 0
		.amdhsa_exception_fp_denorm_src 0
		.amdhsa_exception_fp_ieee_div_zero 0
		.amdhsa_exception_fp_ieee_overflow 0
		.amdhsa_exception_fp_ieee_underflow 0
		.amdhsa_exception_fp_ieee_inexact 0
		.amdhsa_exception_int_div_zero 0
	.end_amdhsa_kernel
	.section	.text._ZN5aiter20topk_softplus_kernelIf12hip_bfloat16Dv4_fLb0ELi2EEEvPKT_PKT0_PfPimiiif,"axG",@progbits,_ZN5aiter20topk_softplus_kernelIf12hip_bfloat16Dv4_fLb0ELi2EEEvPKT_PKT0_PfPimiiif,comdat
.Lfunc_end84:
	.size	_ZN5aiter20topk_softplus_kernelIf12hip_bfloat16Dv4_fLb0ELi2EEEvPKT_PKT0_PfPimiiif, .Lfunc_end84-_ZN5aiter20topk_softplus_kernelIf12hip_bfloat16Dv4_fLb0ELi2EEEvPKT_PKT0_PfPimiiif
                                        ; -- End function
	.section	.AMDGPU.csdata,"",@progbits
; Kernel info:
; codeLenInByte = 1696
; NumSgprs: 29
; NumVgprs: 20
; NumAgprs: 0
; TotalNumVgprs: 20
; ScratchSize: 0
; MemoryBound: 0
; FloatMode: 240
; IeeeMode: 1
; LDSByteSize: 0 bytes/workgroup (compile time only)
; SGPRBlocks: 3
; VGPRBlocks: 2
; NumSGPRsForWavesPerEU: 29
; NumVGPRsForWavesPerEU: 20
; AccumOffset: 20
; Occupancy: 8
; WaveLimiterHint : 0
; COMPUTE_PGM_RSRC2:SCRATCH_EN: 0
; COMPUTE_PGM_RSRC2:USER_SGPR: 6
; COMPUTE_PGM_RSRC2:TRAP_HANDLER: 0
; COMPUTE_PGM_RSRC2:TGID_X_EN: 1
; COMPUTE_PGM_RSRC2:TGID_Y_EN: 0
; COMPUTE_PGM_RSRC2:TGID_Z_EN: 0
; COMPUTE_PGM_RSRC2:TIDIG_COMP_CNT: 0
; COMPUTE_PGM_RSRC3_GFX90A:ACCUM_OFFSET: 4
; COMPUTE_PGM_RSRC3_GFX90A:TG_SPLIT: 0
	.section	.text._ZN5aiter20topk_softplus_kernelIf12hip_bfloat16Dv2_fLb1ELi2EEEvPKT_PKT0_PfPimiiif,"axG",@progbits,_ZN5aiter20topk_softplus_kernelIf12hip_bfloat16Dv2_fLb1ELi2EEEvPKT_PKT0_PfPimiiif,comdat
	.protected	_ZN5aiter20topk_softplus_kernelIf12hip_bfloat16Dv2_fLb1ELi2EEEvPKT_PKT0_PfPimiiif ; -- Begin function _ZN5aiter20topk_softplus_kernelIf12hip_bfloat16Dv2_fLb1ELi2EEEvPKT_PKT0_PfPimiiif
	.globl	_ZN5aiter20topk_softplus_kernelIf12hip_bfloat16Dv2_fLb1ELi2EEEvPKT_PKT0_PfPimiiif
	.p2align	8
	.type	_ZN5aiter20topk_softplus_kernelIf12hip_bfloat16Dv2_fLb1ELi2EEEvPKT_PKT0_PfPimiiif,@function
_ZN5aiter20topk_softplus_kernelIf12hip_bfloat16Dv2_fLb1ELi2EEEvPKT_PKT0_PfPimiiif: ; @_ZN5aiter20topk_softplus_kernelIf12hip_bfloat16Dv2_fLb1ELi2EEEvPKT_PKT0_PfPimiiif
; %bb.0:
	s_load_dwordx2 s[16:17], s[4:5], 0x28
	s_load_dwordx8 s[8:15], s[4:5], 0x0
	s_waitcnt lgkmcnt(0)
	s_lshr_b32 s0, s16, 31
	s_add_i32 s0, s16, s0
	s_mul_i32 s2, s6, s16
	s_ashr_i32 s7, s0, 1
	s_ashr_i32 s3, s2, 31
	v_cmp_gt_i32_e64 s[0:1], s7, v0
	s_and_saveexec_b64 s[18:19], s[0:1]
	s_cbranch_execz .LBB85_3
; %bb.1:
	s_load_dword s22, s[4:5], 0x44
	s_lshl_b64 s[20:21], s[2:3], 2
	v_lshlrev_b32_e32 v1, 3, v0
	s_mov_b32 s24, 0
	v_mov_b32_e32 v4, s24
	s_waitcnt lgkmcnt(0)
	s_and_b32 s22, s22, 0xffff
	s_add_u32 s20, s8, s20
	s_addc_u32 s21, s9, s21
	v_mov_b32_e32 v3, s21
	v_add_co_u32_e32 v2, vcc, s20, v1
	v_addc_co_u32_e32 v3, vcc, 0, v3, vcc
	s_lshl_b32 s23, s22, 3
	v_add_u32_e32 v1, 0, v1
	s_mov_b64 s[20:21], 0
	v_mov_b32_e32 v5, v0
.LBB85_2:                               ; =>This Inner Loop Header: Depth=1
	global_load_dwordx2 v[6:7], v[2:3], off
	v_add_co_u32_e32 v2, vcc, s23, v2
	v_add_u32_e32 v5, s22, v5
	v_addc_co_u32_e32 v3, vcc, v3, v4, vcc
	v_cmp_le_i32_e32 vcc, s7, v5
	s_or_b64 s[20:21], vcc, s[20:21]
	s_waitcnt vmcnt(0)
	ds_write_b64 v1, v[6:7]
	v_add_u32_e32 v1, s23, v1
	s_andn2_b64 exec, exec, s[20:21]
	s_cbranch_execnz .LBB85_2
.LBB85_3:
	s_or_b64 exec, exec, s[18:19]
	v_lshl_add_u32 v2, s7, 1, v0
	v_cmp_gt_i32_e32 vcc, s16, v2
	s_and_saveexec_b64 s[18:19], vcc
	s_cbranch_execz .LBB85_6
; %bb.4:
	s_load_dword s20, s[4:5], 0x44
	s_lshl_b64 s[2:3], s[2:3], 2
	s_add_u32 s8, s8, s2
	s_addc_u32 s21, s9, s3
	s_lshl_b32 s2, s7, 3
	s_waitcnt lgkmcnt(0)
	s_and_b32 s9, s20, 0xffff
	s_add_i32 s2, s2, 0
	v_lshl_add_u32 v1, v0, 2, s2
	s_lshl_b32 s20, s9, 2
	s_mov_b64 s[2:3], 0
	v_mov_b32_e32 v4, s21
.LBB85_5:                               ; =>This Inner Loop Header: Depth=1
	v_ashrrev_i32_e32 v3, 31, v2
	v_lshlrev_b64 v[6:7], 2, v[2:3]
	v_add_co_u32_e32 v6, vcc, s8, v6
	v_addc_co_u32_e32 v7, vcc, v4, v7, vcc
	global_load_dword v3, v[6:7], off
	v_add_u32_e32 v2, s9, v2
	v_cmp_le_i32_e32 vcc, s16, v2
	s_or_b64 s[2:3], vcc, s[2:3]
	s_waitcnt vmcnt(0)
	ds_write_b32 v1, v3
	v_add_u32_e32 v1, s20, v1
	s_andn2_b64 exec, exec, s[2:3]
	s_cbranch_execnz .LBB85_5
.LBB85_6:
	s_or_b64 exec, exec, s[18:19]
	v_cmp_gt_i32_e32 vcc, s16, v0
	v_mov_b32_e32 v1, 0xff800000
	s_waitcnt lgkmcnt(0)
	s_barrier
	s_and_saveexec_b64 s[8:9], vcc
	s_cbranch_execz .LBB85_10
; %bb.7:
	s_load_dword s2, s[4:5], 0x44
	v_lshl_add_u32 v2, v0, 2, 0
	s_mov_b64 s[18:19], 0
	v_mov_b32_e32 v1, 0xff800000
	v_mov_b32_e32 v3, v0
	s_waitcnt lgkmcnt(0)
	s_and_b32 s20, s2, 0xffff
	s_lshl_b32 s21, s20, 2
.LBB85_8:                               ; =>This Inner Loop Header: Depth=1
	ds_read_b32 v4, v2
	v_add_u32_e32 v3, s20, v3
	v_max_f32_e32 v1, v1, v1
	v_cmp_le_i32_e64 s[2:3], s16, v3
	v_add_u32_e32 v2, s21, v2
	s_waitcnt lgkmcnt(0)
	v_max_f32_e32 v4, v4, v4
	s_or_b64 s[18:19], s[2:3], s[18:19]
	v_max_f32_e32 v1, v1, v4
	s_andn2_b64 exec, exec, s[18:19]
	s_cbranch_execnz .LBB85_8
; %bb.9:
	s_or_b64 exec, exec, s[18:19]
.LBB85_10:
	s_or_b64 exec, exec, s[8:9]
	;;#ASMSTART
	v_max_f32 v2, v1, v1 quad_perm:[1,0,3,2] row_mask:0xf bank_mask:0xf bound_ctrl:1
	;;#ASMEND
	;;#ASMSTART
	v_max_f32 v1, v2, v2 quad_perm:[2,3,0,1] row_mask:0xf bank_mask:0xf bound_ctrl:1
	;;#ASMEND
	;;#ASMSTART
	v_max_f32 v2, v1, v1 row_half_mirror row_mask:0xf bank_mask:0xf bound_ctrl:1
	;;#ASMEND
	;;#ASMSTART
	v_max_f32 v1, v2, v2 row_mirror row_mask:0xf bank_mask:0xf bound_ctrl:1
	;;#ASMEND
	;;#ASMSTART
	v_max_f32 v2, v1, v1 row_ror:4 row_mask:0xf bank_mask:0xf bound_ctrl:1
	;;#ASMEND
	;;#ASMSTART
	v_max_f32 v1, v2, v2 row_ror:8 row_mask:0xf bank_mask:0xf bound_ctrl:1
	;;#ASMEND
	;;#ASMSTART
	v_max_f32 v2, v1, v1 row_bcast:15 row_mask:0xf bank_mask:0xf bound_ctrl:1
	;;#ASMEND
	v_mbcnt_lo_u32_b32 v1, -1, 0
	;;#ASMSTART
	v_max_f32 v3, v2, v2 row_bcast:31 row_mask:0xf bank_mask:0xf bound_ctrl:1
	;;#ASMEND
	v_mbcnt_hi_u32_b32 v1, -1, v1
	v_bfrev_b32_e32 v2, 0.5
	v_lshl_or_b32 v1, v1, 2, v2
	ds_bpermute_b32 v3, v1, v3
	v_mov_b32_e32 v2, 0
	s_and_saveexec_b64 s[18:19], vcc
	s_cbranch_execz .LBB85_14
; %bb.11:
	s_load_dword s2, s[4:5], 0x44
	v_lshl_add_u32 v4, v0, 2, 0
	s_mov_b64 s[20:21], 0
	v_mov_b32_e32 v2, 0
	s_mov_b32 s22, 0xc2fc0000
	s_waitcnt lgkmcnt(0)
	s_and_b32 s23, s2, 0xffff
	s_lshl_b32 s24, s23, 2
	v_mov_b32_e32 v5, 0x42800000
	v_mov_b32_e32 v6, 0x1f800000
	;; [unrolled: 1-line block ×3, first 2 shown]
.LBB85_12:                              ; =>This Inner Loop Header: Depth=1
	ds_read_b32 v8, v4
	v_add_u32_e32 v7, s23, v7
	v_cmp_le_i32_e64 s[8:9], s16, v7
	s_or_b64 s[20:21], s[8:9], s[20:21]
	s_waitcnt lgkmcnt(0)
	v_sub_f32_e32 v8, v8, v3
	v_mul_f32_e32 v9, 0x3fb8aa3b, v8
	v_cmp_gt_f32_e64 s[2:3], s22, v9
	v_cndmask_b32_e64 v9, 0, v5, s[2:3]
	v_fmac_f32_e32 v9, 0x3fb8aa3b, v8
	v_exp_f32_e32 v8, v9
	v_cndmask_b32_e64 v9, 1.0, v6, s[2:3]
	v_mul_f32_e32 v10, v8, v9
	v_fmac_f32_e32 v2, v8, v9
	ds_write_b32 v4, v10
	v_add_u32_e32 v4, s24, v4
	s_andn2_b64 exec, exec, s[20:21]
	s_cbranch_execnz .LBB85_12
; %bb.13:
	s_or_b64 exec, exec, s[20:21]
.LBB85_14:
	s_or_b64 exec, exec, s[18:19]
	s_waitcnt lgkmcnt(0)
	v_mov_b32_dpp v3, v2 quad_perm:[1,0,3,2] row_mask:0xf bank_mask:0xf
	v_add_f32_e32 v2, v2, v3
	s_nop 1
	v_mov_b32_dpp v3, v2 quad_perm:[2,3,0,1] row_mask:0xf bank_mask:0xf
	v_add_f32_e32 v2, v2, v3
	s_nop 1
	v_mov_b32_dpp v3, v2 row_half_mirror row_mask:0xf bank_mask:0xf
	v_add_f32_e32 v2, v2, v3
	s_nop 1
	v_mov_b32_dpp v3, v2 row_mirror row_mask:0xf bank_mask:0xf
	v_add_f32_e32 v2, v2, v3
	s_nop 1
	v_mov_b32_dpp v3, v2 row_bcast:15 row_mask:0xf bank_mask:0xf
	v_add_f32_e32 v2, v2, v3
	s_nop 1
	v_mov_b32_dpp v3, v2 row_bcast:31 row_mask:0xf bank_mask:0xf
	v_add_f32_e32 v2, v2, v3
	ds_bpermute_b32 v2, v1, v2
	s_and_saveexec_b64 s[8:9], vcc
	s_cbranch_execz .LBB85_19
; %bb.15:
	s_load_dword s20, s[4:5], 0x44
	s_waitcnt lgkmcnt(0)
	v_rcp_f32_e32 v4, v2
	s_cmp_lg_u64 s[10:11], 0
	s_cselect_b64 s[2:3], -1, 0
	v_cndmask_b32_e64 v2, 0, 1, s[2:3]
	s_and_b32 s20, s20, 0xffff
	s_mov_b64 s[18:19], 0
	v_lshl_add_u32 v5, v0, 2, 0
	s_lshl_b32 s21, s20, 2
	v_cmp_ne_u32_e64 s[2:3], 1, v2
	v_mov_b32_e32 v2, v0
	s_branch .LBB85_17
.LBB85_16:                              ;   in Loop: Header=BB85_17 Depth=1
	v_add_u32_e32 v2, s20, v2
	v_cmp_le_i32_e32 vcc, s16, v2
	s_or_b64 s[18:19], vcc, s[18:19]
	v_add_u32_e32 v5, s21, v5
	s_andn2_b64 exec, exec, s[18:19]
	s_cbranch_execz .LBB85_19
.LBB85_17:                              ; =>This Inner Loop Header: Depth=1
	ds_read_b32 v3, v5
	s_and_b64 vcc, exec, s[2:3]
	s_waitcnt lgkmcnt(0)
	v_mul_f32_e32 v6, v4, v3
	ds_write_b32 v5, v6
	s_cbranch_vccnz .LBB85_16
; %bb.18:                               ;   in Loop: Header=BB85_17 Depth=1
	v_ashrrev_i32_e32 v3, 31, v2
	v_lshlrev_b64 v[8:9], 1, v[2:3]
	v_mov_b32_e32 v3, s11
	v_add_co_u32_e32 v8, vcc, s10, v8
	v_addc_co_u32_e32 v9, vcc, v3, v9, vcc
	global_load_ushort v3, v[8:9], off
	s_waitcnt vmcnt(0)
	v_lshlrev_b32_e32 v3, 16, v3
	v_add_f32_e32 v3, v6, v3
	ds_write_b32 v5, v3
	s_branch .LBB85_16
.LBB85_19:
	s_or_b64 exec, exec, s[8:9]
	s_cmp_lt_i32 s17, 1
	v_mov_b32_e32 v3, 0
	s_waitcnt lgkmcnt(0)
	s_barrier
	s_cbranch_scc1 .LBB85_28
; %bb.20:
	s_add_u32 s2, s4, 56
	s_addc_u32 s3, s5, 0
	s_cmp_lg_u64 s[10:11], 0
	s_cselect_b64 s[8:9], -1, 0
	v_lshlrev_b32_e32 v5, 1, v0
	v_lshl_add_u32 v6, v0, 3, 0
	s_mov_b32 s16, 0
	v_mov_b32_e32 v3, 0
	v_mov_b32_e32 v7, 0
	;; [unrolled: 1-line block ×5, first 2 shown]
	s_branch .LBB85_22
.LBB85_21:                              ;   in Loop: Header=BB85_22 Depth=1
	s_lshl_b32 s19, s18, 2
	s_add_i32 s19, s19, 0
	v_mov_b32_e32 v9, s19
	ds_write_b32 v9, v8
	v_mov_b32_e32 v9, s18
	v_cmp_eq_u32_e32 vcc, s16, v0
	s_add_i32 s16, s16, 1
	v_cndmask_b32_e32 v2, v2, v9, vcc
	v_cndmask_b32_e32 v3, v3, v11, vcc
	s_cmp_eq_u32 s16, s17
	v_add_f32_e32 v4, v4, v11
	s_cbranch_scc1 .LBB85_29
.LBB85_22:                              ; =>This Loop Header: Depth=1
                                        ;     Child Loop BB85_24 Depth 2
	v_mov_b32_e32 v9, s16
	v_mov_b32_e32 v10, 0xff800000
	s_and_saveexec_b64 s[18:19], s[0:1]
	s_cbranch_execz .LBB85_26
; %bb.23:                               ;   in Loop: Header=BB85_22 Depth=1
	s_load_dword s22, s[2:3], 0xc
	s_mov_b64 s[20:21], 0
	v_mov_b32_e32 v9, s16
	v_mov_b32_e32 v10, 0xff800000
	;; [unrolled: 1-line block ×3, first 2 shown]
	s_waitcnt lgkmcnt(0)
	s_and_b32 s22, s22, 0xffff
	s_lshl_b32 s23, s22, 1
	s_lshl_b32 s24, s22, 3
	v_mov_b32_e32 v12, v5
	v_mov_b32_e32 v13, v0
.LBB85_24:                              ;   Parent Loop BB85_22 Depth=1
                                        ; =>  This Inner Loop Header: Depth=2
	ds_read_b64 v[14:15], v11
	v_add_u32_e32 v13, s22, v13
	v_cmp_le_i32_e32 vcc, s7, v13
	s_or_b64 s[20:21], vcc, s[20:21]
	v_add_u32_e32 v16, 1, v12
	s_waitcnt lgkmcnt(0)
	v_cmp_gt_f32_e32 vcc, v14, v10
	v_cndmask_b32_e32 v10, v10, v14, vcc
	v_cndmask_b32_e32 v9, v9, v12, vcc
	v_cmp_gt_f32_e32 vcc, v15, v10
	v_add_u32_e32 v11, s24, v11
	v_cndmask_b32_e32 v10, v10, v15, vcc
	v_add_u32_e32 v12, s23, v12
	v_cndmask_b32_e32 v9, v9, v16, vcc
	s_andn2_b64 exec, exec, s[20:21]
	s_cbranch_execnz .LBB85_24
; %bb.25:                               ;   in Loop: Header=BB85_22 Depth=1
	s_or_b64 exec, exec, s[20:21]
.LBB85_26:                              ;   in Loop: Header=BB85_22 Depth=1
	s_or_b64 exec, exec, s[18:19]
	;;#ASMSTART
	v_max_f32 v11, v10, v10 quad_perm:[1,0,3,2] row_mask:0xf bank_mask:0xf bound_ctrl:1
	;;#ASMEND
	;;#ASMSTART
	v_max_f32 v12, v11, v11 quad_perm:[2,3,0,1] row_mask:0xf bank_mask:0xf bound_ctrl:1
	;;#ASMEND
	;;#ASMSTART
	v_max_f32 v11, v12, v12 row_half_mirror row_mask:0xf bank_mask:0xf bound_ctrl:1
	;;#ASMEND
	;;#ASMSTART
	v_max_f32 v12, v11, v11 row_mirror row_mask:0xf bank_mask:0xf bound_ctrl:1
	;;#ASMEND
	;;#ASMSTART
	v_max_f32 v11, v12, v12 row_ror:4 row_mask:0xf bank_mask:0xf bound_ctrl:1
	;;#ASMEND
	;;#ASMSTART
	v_max_f32 v12, v11, v11 row_ror:8 row_mask:0xf bank_mask:0xf bound_ctrl:1
	;;#ASMEND
	;;#ASMSTART
	v_max_f32 v11, v12, v12 row_bcast:15 row_mask:0xf bank_mask:0xf bound_ctrl:1
	;;#ASMEND
	;;#ASMSTART
	v_max_f32 v12, v11, v11 row_bcast:31 row_mask:0xf bank_mask:0xf bound_ctrl:1
	;;#ASMEND
	ds_bpermute_b32 v11, v1, v12
	s_waitcnt lgkmcnt(0)
	v_cmp_eq_f32_e32 vcc, v10, v11
	s_ff1_i32_b64 s18, vcc
	s_cmp_lg_u64 vcc, 0
	s_cselect_b32 s18, s18, 0
	s_and_b64 vcc, exec, s[8:9]
	v_readlane_b32 s18, v9, s18
	s_cbranch_vccz .LBB85_21
; %bb.27:                               ;   in Loop: Header=BB85_22 Depth=1
	s_ashr_i32 s19, s18, 31
	s_lshl_b64 s[20:21], s[18:19], 1
	s_add_u32 s20, s10, s20
	s_addc_u32 s21, s11, s21
	global_load_ushort v9, v7, s[20:21]
	s_waitcnt vmcnt(0)
	v_lshlrev_b32_e32 v9, 16, v9
	v_sub_f32_e32 v11, v11, v9
	s_branch .LBB85_21
.LBB85_28:
	v_mov_b32_e32 v2, 0
	v_mov_b32_e32 v4, 0
.LBB85_29:
	v_cmp_gt_i32_e32 vcc, s17, v0
	s_and_saveexec_b64 s[0:1], vcc
	s_cbranch_execz .LBB85_32
; %bb.30:
	s_load_dword s2, s[4:5], 0x34
	v_max_f32_e32 v1, v4, v4
	v_max_f32_e32 v1, 0x1e3ce508, v1
	s_load_dword s3, s[4:5], 0x44
	s_waitcnt lgkmcnt(0)
	v_div_scale_f32 v4, s[0:1], v1, v1, s2
	s_load_dwordx2 s[0:1], s[4:5], 0x20
	v_rcp_f32_e32 v5, v4
	v_div_scale_f32 v6, vcc, s2, v1, s2
	s_and_b32 s3, s3, 0xffff
	v_fma_f32 v7, -v4, v5, 1.0
	v_fmac_f32_e32 v5, v7, v5
	v_mul_f32_e32 v7, v6, v5
	v_fma_f32 v8, -v4, v7, v6
	v_fmac_f32_e32 v7, v8, v5
	v_fma_f32 v4, -v4, v7, v6
	v_div_fmas_f32 v4, v4, v5, v7
	v_div_fixup_f32 v1, v4, v1, s2
	s_ashr_i32 s2, s6, 31
	s_waitcnt lgkmcnt(0)
	s_mul_i32 s1, s6, s1
	s_mul_hi_u32 s4, s6, s0
	s_add_i32 s1, s4, s1
	s_mul_i32 s2, s2, s0
	s_add_i32 s4, s1, s2
	v_mul_f32_e32 v1, v3, v1
	s_mul_i32 s2, s6, s0
	s_mov_b64 s[0:1], 0
	v_mov_b32_e32 v3, s4
	v_mov_b32_e32 v4, s13
	;; [unrolled: 1-line block ×3, first 2 shown]
.LBB85_31:                              ; =>This Inner Loop Header: Depth=1
	v_ashrrev_i32_e32 v7, 31, v0
	v_add_co_u32_e32 v6, vcc, s2, v0
	v_addc_co_u32_e32 v7, vcc, v3, v7, vcc
	v_add_u32_e32 v0, s3, v0
	v_cmp_le_i32_e32 vcc, s17, v0
	v_lshlrev_b64 v[6:7], 2, v[6:7]
	s_or_b64 s[0:1], vcc, s[0:1]
	v_add_co_u32_e32 v8, vcc, s12, v6
	v_addc_co_u32_e32 v9, vcc, v4, v7, vcc
	v_add_co_u32_e32 v6, vcc, s14, v6
	v_addc_co_u32_e32 v7, vcc, v5, v7, vcc
	global_store_dword v[8:9], v1, off
	global_store_dword v[6:7], v2, off
	s_andn2_b64 exec, exec, s[0:1]
	s_cbranch_execnz .LBB85_31
.LBB85_32:
	s_endpgm
	.section	.rodata,"a",@progbits
	.p2align	6, 0x0
	.amdhsa_kernel _ZN5aiter20topk_softplus_kernelIf12hip_bfloat16Dv2_fLb1ELi2EEEvPKT_PKT0_PfPimiiif
		.amdhsa_group_segment_fixed_size 0
		.amdhsa_private_segment_fixed_size 0
		.amdhsa_kernarg_size 312
		.amdhsa_user_sgpr_count 6
		.amdhsa_user_sgpr_private_segment_buffer 1
		.amdhsa_user_sgpr_dispatch_ptr 0
		.amdhsa_user_sgpr_queue_ptr 0
		.amdhsa_user_sgpr_kernarg_segment_ptr 1
		.amdhsa_user_sgpr_dispatch_id 0
		.amdhsa_user_sgpr_flat_scratch_init 0
		.amdhsa_user_sgpr_kernarg_preload_length 0
		.amdhsa_user_sgpr_kernarg_preload_offset 0
		.amdhsa_user_sgpr_private_segment_size 0
		.amdhsa_uses_dynamic_stack 0
		.amdhsa_system_sgpr_private_segment_wavefront_offset 0
		.amdhsa_system_sgpr_workgroup_id_x 1
		.amdhsa_system_sgpr_workgroup_id_y 0
		.amdhsa_system_sgpr_workgroup_id_z 0
		.amdhsa_system_sgpr_workgroup_info 0
		.amdhsa_system_vgpr_workitem_id 0
		.amdhsa_next_free_vgpr 17
		.amdhsa_next_free_sgpr 25
		.amdhsa_accum_offset 20
		.amdhsa_reserve_vcc 1
		.amdhsa_reserve_flat_scratch 0
		.amdhsa_float_round_mode_32 0
		.amdhsa_float_round_mode_16_64 0
		.amdhsa_float_denorm_mode_32 3
		.amdhsa_float_denorm_mode_16_64 3
		.amdhsa_dx10_clamp 1
		.amdhsa_ieee_mode 1
		.amdhsa_fp16_overflow 0
		.amdhsa_tg_split 0
		.amdhsa_exception_fp_ieee_invalid_op 0
		.amdhsa_exception_fp_denorm_src 0
		.amdhsa_exception_fp_ieee_div_zero 0
		.amdhsa_exception_fp_ieee_overflow 0
		.amdhsa_exception_fp_ieee_underflow 0
		.amdhsa_exception_fp_ieee_inexact 0
		.amdhsa_exception_int_div_zero 0
	.end_amdhsa_kernel
	.section	.text._ZN5aiter20topk_softplus_kernelIf12hip_bfloat16Dv2_fLb1ELi2EEEvPKT_PKT0_PfPimiiif,"axG",@progbits,_ZN5aiter20topk_softplus_kernelIf12hip_bfloat16Dv2_fLb1ELi2EEEvPKT_PKT0_PfPimiiif,comdat
.Lfunc_end85:
	.size	_ZN5aiter20topk_softplus_kernelIf12hip_bfloat16Dv2_fLb1ELi2EEEvPKT_PKT0_PfPimiiif, .Lfunc_end85-_ZN5aiter20topk_softplus_kernelIf12hip_bfloat16Dv2_fLb1ELi2EEEvPKT_PKT0_PfPimiiif
                                        ; -- End function
	.section	.AMDGPU.csdata,"",@progbits
; Kernel info:
; codeLenInByte = 1760
; NumSgprs: 29
; NumVgprs: 17
; NumAgprs: 0
; TotalNumVgprs: 17
; ScratchSize: 0
; MemoryBound: 0
; FloatMode: 240
; IeeeMode: 1
; LDSByteSize: 0 bytes/workgroup (compile time only)
; SGPRBlocks: 3
; VGPRBlocks: 2
; NumSGPRsForWavesPerEU: 29
; NumVGPRsForWavesPerEU: 17
; AccumOffset: 20
; Occupancy: 8
; WaveLimiterHint : 0
; COMPUTE_PGM_RSRC2:SCRATCH_EN: 0
; COMPUTE_PGM_RSRC2:USER_SGPR: 6
; COMPUTE_PGM_RSRC2:TRAP_HANDLER: 0
; COMPUTE_PGM_RSRC2:TGID_X_EN: 1
; COMPUTE_PGM_RSRC2:TGID_Y_EN: 0
; COMPUTE_PGM_RSRC2:TGID_Z_EN: 0
; COMPUTE_PGM_RSRC2:TIDIG_COMP_CNT: 0
; COMPUTE_PGM_RSRC3_GFX90A:ACCUM_OFFSET: 4
; COMPUTE_PGM_RSRC3_GFX90A:TG_SPLIT: 0
	.section	.text._ZN5aiter20topk_softplus_kernelIf12hip_bfloat16Dv2_fLb0ELi2EEEvPKT_PKT0_PfPimiiif,"axG",@progbits,_ZN5aiter20topk_softplus_kernelIf12hip_bfloat16Dv2_fLb0ELi2EEEvPKT_PKT0_PfPimiiif,comdat
	.protected	_ZN5aiter20topk_softplus_kernelIf12hip_bfloat16Dv2_fLb0ELi2EEEvPKT_PKT0_PfPimiiif ; -- Begin function _ZN5aiter20topk_softplus_kernelIf12hip_bfloat16Dv2_fLb0ELi2EEEvPKT_PKT0_PfPimiiif
	.globl	_ZN5aiter20topk_softplus_kernelIf12hip_bfloat16Dv2_fLb0ELi2EEEvPKT_PKT0_PfPimiiif
	.p2align	8
	.type	_ZN5aiter20topk_softplus_kernelIf12hip_bfloat16Dv2_fLb0ELi2EEEvPKT_PKT0_PfPimiiif,@function
_ZN5aiter20topk_softplus_kernelIf12hip_bfloat16Dv2_fLb0ELi2EEEvPKT_PKT0_PfPimiiif: ; @_ZN5aiter20topk_softplus_kernelIf12hip_bfloat16Dv2_fLb0ELi2EEEvPKT_PKT0_PfPimiiif
; %bb.0:
	s_load_dwordx2 s[16:17], s[4:5], 0x28
	s_load_dwordx8 s[8:15], s[4:5], 0x0
	s_waitcnt lgkmcnt(0)
	s_lshr_b32 s0, s16, 31
	s_add_i32 s0, s16, s0
	s_mul_i32 s2, s6, s16
	s_ashr_i32 s7, s0, 1
	s_ashr_i32 s3, s2, 31
	v_cmp_gt_i32_e64 s[0:1], s7, v0
	s_and_saveexec_b64 s[18:19], s[0:1]
	s_cbranch_execz .LBB86_3
; %bb.1:
	s_load_dword s22, s[4:5], 0x44
	s_lshl_b64 s[20:21], s[2:3], 2
	v_lshlrev_b32_e32 v1, 3, v0
	s_mov_b32 s24, 0
	v_mov_b32_e32 v4, s24
	s_waitcnt lgkmcnt(0)
	s_and_b32 s22, s22, 0xffff
	s_add_u32 s20, s8, s20
	s_addc_u32 s21, s9, s21
	v_mov_b32_e32 v3, s21
	v_add_co_u32_e32 v2, vcc, s20, v1
	v_addc_co_u32_e32 v3, vcc, 0, v3, vcc
	s_lshl_b32 s23, s22, 3
	v_add_u32_e32 v1, 0, v1
	s_mov_b64 s[20:21], 0
	v_mov_b32_e32 v5, v0
.LBB86_2:                               ; =>This Inner Loop Header: Depth=1
	global_load_dwordx2 v[6:7], v[2:3], off
	v_add_co_u32_e32 v2, vcc, s23, v2
	v_add_u32_e32 v5, s22, v5
	v_addc_co_u32_e32 v3, vcc, v3, v4, vcc
	v_cmp_le_i32_e32 vcc, s7, v5
	s_or_b64 s[20:21], vcc, s[20:21]
	s_waitcnt vmcnt(0)
	ds_write_b64 v1, v[6:7]
	v_add_u32_e32 v1, s23, v1
	s_andn2_b64 exec, exec, s[20:21]
	s_cbranch_execnz .LBB86_2
.LBB86_3:
	s_or_b64 exec, exec, s[18:19]
	v_lshl_add_u32 v2, s7, 1, v0
	v_cmp_gt_i32_e32 vcc, s16, v2
	s_and_saveexec_b64 s[18:19], vcc
	s_cbranch_execz .LBB86_6
; %bb.4:
	s_load_dword s20, s[4:5], 0x44
	s_lshl_b64 s[2:3], s[2:3], 2
	s_add_u32 s8, s8, s2
	s_addc_u32 s21, s9, s3
	s_lshl_b32 s2, s7, 3
	s_waitcnt lgkmcnt(0)
	s_and_b32 s9, s20, 0xffff
	s_add_i32 s2, s2, 0
	v_lshl_add_u32 v1, v0, 2, s2
	s_lshl_b32 s20, s9, 2
	s_mov_b64 s[2:3], 0
	v_mov_b32_e32 v4, s21
.LBB86_5:                               ; =>This Inner Loop Header: Depth=1
	v_ashrrev_i32_e32 v3, 31, v2
	v_lshlrev_b64 v[6:7], 2, v[2:3]
	v_add_co_u32_e32 v6, vcc, s8, v6
	v_addc_co_u32_e32 v7, vcc, v4, v7, vcc
	global_load_dword v3, v[6:7], off
	v_add_u32_e32 v2, s9, v2
	v_cmp_le_i32_e32 vcc, s16, v2
	s_or_b64 s[2:3], vcc, s[2:3]
	s_waitcnt vmcnt(0)
	ds_write_b32 v1, v3
	v_add_u32_e32 v1, s20, v1
	s_andn2_b64 exec, exec, s[2:3]
	s_cbranch_execnz .LBB86_5
.LBB86_6:
	s_or_b64 exec, exec, s[18:19]
	v_cmp_gt_i32_e32 vcc, s16, v0
	v_mov_b32_e32 v1, 0xff800000
	s_waitcnt lgkmcnt(0)
	s_barrier
	s_and_saveexec_b64 s[8:9], vcc
	s_cbranch_execz .LBB86_10
; %bb.7:
	s_load_dword s2, s[4:5], 0x44
	v_lshl_add_u32 v2, v0, 2, 0
	s_mov_b64 s[18:19], 0
	v_mov_b32_e32 v1, 0xff800000
	v_mov_b32_e32 v3, v0
	s_waitcnt lgkmcnt(0)
	s_and_b32 s20, s2, 0xffff
	s_lshl_b32 s21, s20, 2
.LBB86_8:                               ; =>This Inner Loop Header: Depth=1
	ds_read_b32 v4, v2
	v_add_u32_e32 v3, s20, v3
	v_max_f32_e32 v1, v1, v1
	v_cmp_le_i32_e64 s[2:3], s16, v3
	v_add_u32_e32 v2, s21, v2
	s_waitcnt lgkmcnt(0)
	v_max_f32_e32 v4, v4, v4
	s_or_b64 s[18:19], s[2:3], s[18:19]
	v_max_f32_e32 v1, v1, v4
	s_andn2_b64 exec, exec, s[18:19]
	s_cbranch_execnz .LBB86_8
; %bb.9:
	s_or_b64 exec, exec, s[18:19]
.LBB86_10:
	s_or_b64 exec, exec, s[8:9]
	;;#ASMSTART
	v_max_f32 v2, v1, v1 quad_perm:[1,0,3,2] row_mask:0xf bank_mask:0xf bound_ctrl:1
	;;#ASMEND
	;;#ASMSTART
	v_max_f32 v1, v2, v2 quad_perm:[2,3,0,1] row_mask:0xf bank_mask:0xf bound_ctrl:1
	;;#ASMEND
	;;#ASMSTART
	v_max_f32 v2, v1, v1 row_half_mirror row_mask:0xf bank_mask:0xf bound_ctrl:1
	;;#ASMEND
	;;#ASMSTART
	v_max_f32 v1, v2, v2 row_mirror row_mask:0xf bank_mask:0xf bound_ctrl:1
	;;#ASMEND
	;;#ASMSTART
	v_max_f32 v2, v1, v1 row_ror:4 row_mask:0xf bank_mask:0xf bound_ctrl:1
	;;#ASMEND
	;;#ASMSTART
	v_max_f32 v1, v2, v2 row_ror:8 row_mask:0xf bank_mask:0xf bound_ctrl:1
	;;#ASMEND
	;;#ASMSTART
	v_max_f32 v2, v1, v1 row_bcast:15 row_mask:0xf bank_mask:0xf bound_ctrl:1
	;;#ASMEND
	v_mbcnt_lo_u32_b32 v1, -1, 0
	;;#ASMSTART
	v_max_f32 v3, v2, v2 row_bcast:31 row_mask:0xf bank_mask:0xf bound_ctrl:1
	;;#ASMEND
	v_mbcnt_hi_u32_b32 v1, -1, v1
	v_bfrev_b32_e32 v2, 0.5
	v_lshl_or_b32 v1, v1, 2, v2
	ds_bpermute_b32 v3, v1, v3
	v_mov_b32_e32 v2, 0
	s_and_saveexec_b64 s[18:19], vcc
	s_cbranch_execz .LBB86_14
; %bb.11:
	s_load_dword s2, s[4:5], 0x44
	v_lshl_add_u32 v4, v0, 2, 0
	s_mov_b64 s[20:21], 0
	v_mov_b32_e32 v2, 0
	s_mov_b32 s22, 0xc2fc0000
	s_waitcnt lgkmcnt(0)
	s_and_b32 s23, s2, 0xffff
	s_lshl_b32 s24, s23, 2
	v_mov_b32_e32 v5, 0x42800000
	v_mov_b32_e32 v6, 0x1f800000
	;; [unrolled: 1-line block ×3, first 2 shown]
.LBB86_12:                              ; =>This Inner Loop Header: Depth=1
	ds_read_b32 v8, v4
	v_add_u32_e32 v7, s23, v7
	v_cmp_le_i32_e64 s[8:9], s16, v7
	s_or_b64 s[20:21], s[8:9], s[20:21]
	s_waitcnt lgkmcnt(0)
	v_sub_f32_e32 v8, v8, v3
	v_mul_f32_e32 v9, 0x3fb8aa3b, v8
	v_cmp_gt_f32_e64 s[2:3], s22, v9
	v_cndmask_b32_e64 v9, 0, v5, s[2:3]
	v_fmac_f32_e32 v9, 0x3fb8aa3b, v8
	v_exp_f32_e32 v8, v9
	v_cndmask_b32_e64 v9, 1.0, v6, s[2:3]
	v_mul_f32_e32 v10, v8, v9
	v_fmac_f32_e32 v2, v8, v9
	ds_write_b32 v4, v10
	v_add_u32_e32 v4, s24, v4
	s_andn2_b64 exec, exec, s[20:21]
	s_cbranch_execnz .LBB86_12
; %bb.13:
	s_or_b64 exec, exec, s[20:21]
.LBB86_14:
	s_or_b64 exec, exec, s[18:19]
	s_waitcnt lgkmcnt(0)
	v_mov_b32_dpp v3, v2 quad_perm:[1,0,3,2] row_mask:0xf bank_mask:0xf
	v_add_f32_e32 v2, v2, v3
	s_nop 1
	v_mov_b32_dpp v3, v2 quad_perm:[2,3,0,1] row_mask:0xf bank_mask:0xf
	v_add_f32_e32 v2, v2, v3
	s_nop 1
	v_mov_b32_dpp v3, v2 row_half_mirror row_mask:0xf bank_mask:0xf
	v_add_f32_e32 v2, v2, v3
	s_nop 1
	v_mov_b32_dpp v3, v2 row_mirror row_mask:0xf bank_mask:0xf
	v_add_f32_e32 v2, v2, v3
	s_nop 1
	v_mov_b32_dpp v3, v2 row_bcast:15 row_mask:0xf bank_mask:0xf
	v_add_f32_e32 v2, v2, v3
	s_nop 1
	v_mov_b32_dpp v3, v2 row_bcast:31 row_mask:0xf bank_mask:0xf
	v_add_f32_e32 v2, v2, v3
	ds_bpermute_b32 v2, v1, v2
	s_and_saveexec_b64 s[8:9], vcc
	s_cbranch_execz .LBB86_19
; %bb.15:
	s_load_dword s20, s[4:5], 0x44
	s_waitcnt lgkmcnt(0)
	v_rcp_f32_e32 v4, v2
	s_cmp_lg_u64 s[10:11], 0
	s_cselect_b64 s[2:3], -1, 0
	v_cndmask_b32_e64 v2, 0, 1, s[2:3]
	s_and_b32 s20, s20, 0xffff
	s_mov_b64 s[18:19], 0
	v_lshl_add_u32 v5, v0, 2, 0
	s_lshl_b32 s21, s20, 2
	v_cmp_ne_u32_e64 s[2:3], 1, v2
	v_mov_b32_e32 v2, v0
	s_branch .LBB86_17
.LBB86_16:                              ;   in Loop: Header=BB86_17 Depth=1
	v_add_u32_e32 v2, s20, v2
	v_cmp_le_i32_e32 vcc, s16, v2
	s_or_b64 s[18:19], vcc, s[18:19]
	v_add_u32_e32 v5, s21, v5
	s_andn2_b64 exec, exec, s[18:19]
	s_cbranch_execz .LBB86_19
.LBB86_17:                              ; =>This Inner Loop Header: Depth=1
	ds_read_b32 v3, v5
	s_and_b64 vcc, exec, s[2:3]
	s_waitcnt lgkmcnt(0)
	v_mul_f32_e32 v6, v4, v3
	ds_write_b32 v5, v6
	s_cbranch_vccnz .LBB86_16
; %bb.18:                               ;   in Loop: Header=BB86_17 Depth=1
	v_ashrrev_i32_e32 v3, 31, v2
	v_lshlrev_b64 v[8:9], 1, v[2:3]
	v_mov_b32_e32 v3, s11
	v_add_co_u32_e32 v8, vcc, s10, v8
	v_addc_co_u32_e32 v9, vcc, v3, v9, vcc
	global_load_ushort v3, v[8:9], off
	s_waitcnt vmcnt(0)
	v_lshlrev_b32_e32 v3, 16, v3
	v_add_f32_e32 v3, v6, v3
	ds_write_b32 v5, v3
	s_branch .LBB86_16
.LBB86_19:
	s_or_b64 exec, exec, s[8:9]
	s_cmp_lt_i32 s17, 1
	s_waitcnt lgkmcnt(0)
	s_barrier
	s_cbranch_scc1 .LBB86_28
; %bb.20:
	s_add_u32 s2, s4, 56
	s_addc_u32 s3, s5, 0
	s_cmp_lg_u64 s[10:11], 0
	s_cselect_b64 s[8:9], -1, 0
	v_lshlrev_b32_e32 v4, 1, v0
	s_mov_b32 s16, 0
	v_mov_b32_e32 v2, 0
	v_lshl_add_u32 v5, v0, 3, 0
	v_mov_b32_e32 v6, 0
	v_mov_b32_e32 v7, 0xff800000
	;; [unrolled: 1-line block ×3, first 2 shown]
	s_branch .LBB86_22
.LBB86_21:                              ;   in Loop: Header=BB86_22 Depth=1
	s_lshl_b32 s19, s18, 2
	s_add_i32 s19, s19, 0
	v_mov_b32_e32 v8, s19
	ds_write_b32 v8, v7
	v_mov_b32_e32 v8, s18
	v_cmp_eq_u32_e32 vcc, s16, v0
	s_add_i32 s16, s16, 1
	v_cndmask_b32_e32 v2, v2, v8, vcc
	s_cmp_eq_u32 s16, s17
	v_cndmask_b32_e32 v3, v3, v10, vcc
	s_cbranch_scc1 .LBB86_29
.LBB86_22:                              ; =>This Loop Header: Depth=1
                                        ;     Child Loop BB86_24 Depth 2
	v_mov_b32_e32 v8, s16
	v_mov_b32_e32 v9, 0xff800000
	s_and_saveexec_b64 s[18:19], s[0:1]
	s_cbranch_execz .LBB86_26
; %bb.23:                               ;   in Loop: Header=BB86_22 Depth=1
	s_load_dword s22, s[2:3], 0xc
	s_mov_b64 s[20:21], 0
	v_mov_b32_e32 v8, s16
	v_mov_b32_e32 v9, 0xff800000
	;; [unrolled: 1-line block ×3, first 2 shown]
	s_waitcnt lgkmcnt(0)
	s_and_b32 s22, s22, 0xffff
	s_lshl_b32 s23, s22, 1
	s_lshl_b32 s24, s22, 3
	v_mov_b32_e32 v11, v4
	v_mov_b32_e32 v12, v0
.LBB86_24:                              ;   Parent Loop BB86_22 Depth=1
                                        ; =>  This Inner Loop Header: Depth=2
	ds_read_b64 v[14:15], v10
	v_add_u32_e32 v12, s22, v12
	v_cmp_le_i32_e32 vcc, s7, v12
	s_or_b64 s[20:21], vcc, s[20:21]
	v_add_u32_e32 v13, 1, v11
	s_waitcnt lgkmcnt(0)
	v_cmp_gt_f32_e32 vcc, v14, v9
	v_cndmask_b32_e32 v9, v9, v14, vcc
	v_cndmask_b32_e32 v8, v8, v11, vcc
	v_cmp_gt_f32_e32 vcc, v15, v9
	v_add_u32_e32 v10, s24, v10
	v_cndmask_b32_e32 v9, v9, v15, vcc
	v_add_u32_e32 v11, s23, v11
	v_cndmask_b32_e32 v8, v8, v13, vcc
	s_andn2_b64 exec, exec, s[20:21]
	s_cbranch_execnz .LBB86_24
; %bb.25:                               ;   in Loop: Header=BB86_22 Depth=1
	s_or_b64 exec, exec, s[20:21]
.LBB86_26:                              ;   in Loop: Header=BB86_22 Depth=1
	s_or_b64 exec, exec, s[18:19]
	;;#ASMSTART
	v_max_f32 v10, v9, v9 quad_perm:[1,0,3,2] row_mask:0xf bank_mask:0xf bound_ctrl:1
	;;#ASMEND
	;;#ASMSTART
	v_max_f32 v11, v10, v10 quad_perm:[2,3,0,1] row_mask:0xf bank_mask:0xf bound_ctrl:1
	;;#ASMEND
	;;#ASMSTART
	v_max_f32 v10, v11, v11 row_half_mirror row_mask:0xf bank_mask:0xf bound_ctrl:1
	;;#ASMEND
	;;#ASMSTART
	v_max_f32 v11, v10, v10 row_mirror row_mask:0xf bank_mask:0xf bound_ctrl:1
	;;#ASMEND
	;;#ASMSTART
	v_max_f32 v10, v11, v11 row_ror:4 row_mask:0xf bank_mask:0xf bound_ctrl:1
	;;#ASMEND
	;;#ASMSTART
	v_max_f32 v11, v10, v10 row_ror:8 row_mask:0xf bank_mask:0xf bound_ctrl:1
	;;#ASMEND
	;;#ASMSTART
	v_max_f32 v10, v11, v11 row_bcast:15 row_mask:0xf bank_mask:0xf bound_ctrl:1
	;;#ASMEND
	;;#ASMSTART
	v_max_f32 v11, v10, v10 row_bcast:31 row_mask:0xf bank_mask:0xf bound_ctrl:1
	;;#ASMEND
	ds_bpermute_b32 v10, v1, v11
	s_waitcnt lgkmcnt(0)
	v_cmp_eq_f32_e32 vcc, v9, v10
	s_ff1_i32_b64 s18, vcc
	s_cmp_lg_u64 vcc, 0
	s_cselect_b32 s18, s18, 0
	s_and_b64 vcc, exec, s[8:9]
	v_readlane_b32 s18, v8, s18
	s_cbranch_vccz .LBB86_21
; %bb.27:                               ;   in Loop: Header=BB86_22 Depth=1
	s_ashr_i32 s19, s18, 31
	s_lshl_b64 s[20:21], s[18:19], 1
	s_add_u32 s20, s10, s20
	s_addc_u32 s21, s11, s21
	global_load_ushort v8, v6, s[20:21]
	s_waitcnt vmcnt(0)
	v_lshlrev_b32_e32 v8, 16, v8
	v_sub_f32_e32 v10, v10, v8
	s_branch .LBB86_21
.LBB86_28:
	v_mov_b32_e32 v3, 0
	v_mov_b32_e32 v2, 0
.LBB86_29:
	v_cmp_gt_i32_e32 vcc, s17, v0
	s_and_saveexec_b64 s[0:1], vcc
	s_cbranch_execz .LBB86_32
; %bb.30:
	s_load_dword s2, s[4:5], 0x34
	s_load_dwordx2 s[0:1], s[4:5], 0x20
	s_ashr_i32 s3, s6, 31
	s_load_dword s4, s[4:5], 0x44
	v_mov_b32_e32 v4, s13
	s_waitcnt lgkmcnt(0)
	v_mul_f32_e32 v1, s2, v3
	s_mul_i32 s1, s6, s1
	s_mul_hi_u32 s2, s6, s0
	s_add_i32 s1, s2, s1
	s_mul_i32 s3, s3, s0
	s_add_i32 s5, s1, s3
	s_mul_i32 s2, s6, s0
	s_and_b32 s3, s4, 0xffff
	s_mov_b64 s[0:1], 0
	v_mov_b32_e32 v3, s5
	v_mov_b32_e32 v5, s15
.LBB86_31:                              ; =>This Inner Loop Header: Depth=1
	v_ashrrev_i32_e32 v7, 31, v0
	v_add_co_u32_e32 v6, vcc, s2, v0
	v_addc_co_u32_e32 v7, vcc, v3, v7, vcc
	v_add_u32_e32 v0, s3, v0
	v_cmp_le_i32_e32 vcc, s17, v0
	v_lshlrev_b64 v[6:7], 2, v[6:7]
	s_or_b64 s[0:1], vcc, s[0:1]
	v_add_co_u32_e32 v8, vcc, s12, v6
	v_addc_co_u32_e32 v9, vcc, v4, v7, vcc
	v_add_co_u32_e32 v6, vcc, s14, v6
	v_addc_co_u32_e32 v7, vcc, v5, v7, vcc
	global_store_dword v[8:9], v1, off
	global_store_dword v[6:7], v2, off
	s_andn2_b64 exec, exec, s[0:1]
	s_cbranch_execnz .LBB86_31
.LBB86_32:
	s_endpgm
	.section	.rodata,"a",@progbits
	.p2align	6, 0x0
	.amdhsa_kernel _ZN5aiter20topk_softplus_kernelIf12hip_bfloat16Dv2_fLb0ELi2EEEvPKT_PKT0_PfPimiiif
		.amdhsa_group_segment_fixed_size 0
		.amdhsa_private_segment_fixed_size 0
		.amdhsa_kernarg_size 312
		.amdhsa_user_sgpr_count 6
		.amdhsa_user_sgpr_private_segment_buffer 1
		.amdhsa_user_sgpr_dispatch_ptr 0
		.amdhsa_user_sgpr_queue_ptr 0
		.amdhsa_user_sgpr_kernarg_segment_ptr 1
		.amdhsa_user_sgpr_dispatch_id 0
		.amdhsa_user_sgpr_flat_scratch_init 0
		.amdhsa_user_sgpr_kernarg_preload_length 0
		.amdhsa_user_sgpr_kernarg_preload_offset 0
		.amdhsa_user_sgpr_private_segment_size 0
		.amdhsa_uses_dynamic_stack 0
		.amdhsa_system_sgpr_private_segment_wavefront_offset 0
		.amdhsa_system_sgpr_workgroup_id_x 1
		.amdhsa_system_sgpr_workgroup_id_y 0
		.amdhsa_system_sgpr_workgroup_id_z 0
		.amdhsa_system_sgpr_workgroup_info 0
		.amdhsa_system_vgpr_workitem_id 0
		.amdhsa_next_free_vgpr 16
		.amdhsa_next_free_sgpr 25
		.amdhsa_accum_offset 16
		.amdhsa_reserve_vcc 1
		.amdhsa_reserve_flat_scratch 0
		.amdhsa_float_round_mode_32 0
		.amdhsa_float_round_mode_16_64 0
		.amdhsa_float_denorm_mode_32 3
		.amdhsa_float_denorm_mode_16_64 3
		.amdhsa_dx10_clamp 1
		.amdhsa_ieee_mode 1
		.amdhsa_fp16_overflow 0
		.amdhsa_tg_split 0
		.amdhsa_exception_fp_ieee_invalid_op 0
		.amdhsa_exception_fp_denorm_src 0
		.amdhsa_exception_fp_ieee_div_zero 0
		.amdhsa_exception_fp_ieee_overflow 0
		.amdhsa_exception_fp_ieee_underflow 0
		.amdhsa_exception_fp_ieee_inexact 0
		.amdhsa_exception_int_div_zero 0
	.end_amdhsa_kernel
	.section	.text._ZN5aiter20topk_softplus_kernelIf12hip_bfloat16Dv2_fLb0ELi2EEEvPKT_PKT0_PfPimiiif,"axG",@progbits,_ZN5aiter20topk_softplus_kernelIf12hip_bfloat16Dv2_fLb0ELi2EEEvPKT_PKT0_PfPimiiif,comdat
.Lfunc_end86:
	.size	_ZN5aiter20topk_softplus_kernelIf12hip_bfloat16Dv2_fLb0ELi2EEEvPKT_PKT0_PfPimiiif, .Lfunc_end86-_ZN5aiter20topk_softplus_kernelIf12hip_bfloat16Dv2_fLb0ELi2EEEvPKT_PKT0_PfPimiiif
                                        ; -- End function
	.section	.AMDGPU.csdata,"",@progbits
; Kernel info:
; codeLenInByte = 1660
; NumSgprs: 29
; NumVgprs: 16
; NumAgprs: 0
; TotalNumVgprs: 16
; ScratchSize: 0
; MemoryBound: 0
; FloatMode: 240
; IeeeMode: 1
; LDSByteSize: 0 bytes/workgroup (compile time only)
; SGPRBlocks: 3
; VGPRBlocks: 1
; NumSGPRsForWavesPerEU: 29
; NumVGPRsForWavesPerEU: 16
; AccumOffset: 16
; Occupancy: 8
; WaveLimiterHint : 0
; COMPUTE_PGM_RSRC2:SCRATCH_EN: 0
; COMPUTE_PGM_RSRC2:USER_SGPR: 6
; COMPUTE_PGM_RSRC2:TRAP_HANDLER: 0
; COMPUTE_PGM_RSRC2:TGID_X_EN: 1
; COMPUTE_PGM_RSRC2:TGID_Y_EN: 0
; COMPUTE_PGM_RSRC2:TGID_Z_EN: 0
; COMPUTE_PGM_RSRC2:TIDIG_COMP_CNT: 0
; COMPUTE_PGM_RSRC3_GFX90A:ACCUM_OFFSET: 3
; COMPUTE_PGM_RSRC3_GFX90A:TG_SPLIT: 0
	.section	.text._ZN5aiter20topk_softplus_kernelIf12hip_bfloat16Dv1_fLb1ELi2EEEvPKT_PKT0_PfPimiiif,"axG",@progbits,_ZN5aiter20topk_softplus_kernelIf12hip_bfloat16Dv1_fLb1ELi2EEEvPKT_PKT0_PfPimiiif,comdat
	.protected	_ZN5aiter20topk_softplus_kernelIf12hip_bfloat16Dv1_fLb1ELi2EEEvPKT_PKT0_PfPimiiif ; -- Begin function _ZN5aiter20topk_softplus_kernelIf12hip_bfloat16Dv1_fLb1ELi2EEEvPKT_PKT0_PfPimiiif
	.globl	_ZN5aiter20topk_softplus_kernelIf12hip_bfloat16Dv1_fLb1ELi2EEEvPKT_PKT0_PfPimiiif
	.p2align	8
	.type	_ZN5aiter20topk_softplus_kernelIf12hip_bfloat16Dv1_fLb1ELi2EEEvPKT_PKT0_PfPimiiif,@function
_ZN5aiter20topk_softplus_kernelIf12hip_bfloat16Dv1_fLb1ELi2EEEvPKT_PKT0_PfPimiiif: ; @_ZN5aiter20topk_softplus_kernelIf12hip_bfloat16Dv1_fLb1ELi2EEEvPKT_PKT0_PfPimiiif
; %bb.0:
	s_load_dwordx2 s[16:17], s[4:5], 0x28
	s_load_dwordx8 s[8:15], s[4:5], 0x0
	v_lshl_add_u32 v1, v0, 2, 0
	s_waitcnt lgkmcnt(0)
	s_mul_i32 s2, s6, s16
	s_ashr_i32 s3, s2, 31
	s_lshl_b64 s[2:3], s[2:3], 2
	s_add_u32 s7, s8, s2
	v_cmp_gt_i32_e64 s[0:1], s16, v0
	s_addc_u32 s18, s9, s3
	s_and_saveexec_b64 s[2:3], s[0:1]
	s_cbranch_execz .LBB87_3
; %bb.1:
	s_load_dword s19, s[4:5], 0x44
	v_lshl_add_u32 v4, v0, 2, 0
	s_mov_b64 s[8:9], 0
	v_mov_b32_e32 v5, s18
	v_mov_b32_e32 v2, v0
	s_waitcnt lgkmcnt(0)
	s_and_b32 s19, s19, 0xffff
	s_lshl_b32 s20, s19, 2
.LBB87_2:                               ; =>This Inner Loop Header: Depth=1
	v_ashrrev_i32_e32 v3, 31, v2
	v_lshlrev_b64 v[6:7], 2, v[2:3]
	v_add_co_u32_e32 v6, vcc, s7, v6
	v_addc_co_u32_e32 v7, vcc, v5, v7, vcc
	global_load_dword v3, v[6:7], off
	v_add_u32_e32 v2, s19, v2
	v_cmp_le_i32_e32 vcc, s16, v2
	s_or_b64 s[8:9], vcc, s[8:9]
	s_waitcnt vmcnt(0)
	ds_write_b32 v4, v3
	v_add_u32_e32 v4, s20, v4
	s_andn2_b64 exec, exec, s[8:9]
	s_cbranch_execnz .LBB87_2
.LBB87_3:
	s_or_b64 exec, exec, s[2:3]
	v_add_u32_e32 v2, s16, v0
	v_cmp_gt_i32_e32 vcc, s16, v2
	s_and_saveexec_b64 s[2:3], vcc
	s_cbranch_execz .LBB87_6
; %bb.4:
	s_load_dword s19, s[4:5], 0x44
	v_lshl_add_u32 v4, v2, 2, 0
	s_mov_b64 s[8:9], 0
	v_mov_b32_e32 v5, s18
	s_waitcnt lgkmcnt(0)
	s_and_b32 s19, s19, 0xffff
	s_lshl_b32 s20, s19, 2
.LBB87_5:                               ; =>This Inner Loop Header: Depth=1
	v_ashrrev_i32_e32 v3, 31, v2
	v_lshlrev_b64 v[6:7], 2, v[2:3]
	v_add_co_u32_e32 v6, vcc, s7, v6
	v_addc_co_u32_e32 v7, vcc, v5, v7, vcc
	global_load_dword v3, v[6:7], off
	v_add_u32_e32 v2, s19, v2
	v_cmp_le_i32_e32 vcc, s16, v2
	s_or_b64 s[8:9], vcc, s[8:9]
	s_waitcnt vmcnt(0)
	ds_write_b32 v4, v3
	v_add_u32_e32 v4, s20, v4
	s_andn2_b64 exec, exec, s[8:9]
	s_cbranch_execnz .LBB87_5
.LBB87_6:
	s_or_b64 exec, exec, s[2:3]
	v_mov_b32_e32 v2, 0xff800000
	s_waitcnt lgkmcnt(0)
	s_barrier
	s_and_saveexec_b64 s[2:3], s[0:1]
	s_cbranch_execz .LBB87_10
; %bb.7:
	s_load_dword s7, s[4:5], 0x44
	v_lshl_add_u32 v3, v0, 2, 0
	s_mov_b64 s[8:9], 0
	v_mov_b32_e32 v2, 0xff800000
	v_mov_b32_e32 v4, v0
	s_waitcnt lgkmcnt(0)
	s_and_b32 s7, s7, 0xffff
	s_lshl_b32 s18, s7, 2
.LBB87_8:                               ; =>This Inner Loop Header: Depth=1
	ds_read_b32 v5, v3
	v_add_u32_e32 v4, s7, v4
	v_max_f32_e32 v2, v2, v2
	v_cmp_le_i32_e32 vcc, s16, v4
	v_add_u32_e32 v3, s18, v3
	s_waitcnt lgkmcnt(0)
	v_max_f32_e32 v5, v5, v5
	s_or_b64 s[8:9], vcc, s[8:9]
	v_max_f32_e32 v2, v2, v5
	s_andn2_b64 exec, exec, s[8:9]
	s_cbranch_execnz .LBB87_8
; %bb.9:
	s_or_b64 exec, exec, s[8:9]
.LBB87_10:
	s_or_b64 exec, exec, s[2:3]
	;;#ASMSTART
	v_max_f32 v3, v2, v2 quad_perm:[1,0,3,2] row_mask:0xf bank_mask:0xf bound_ctrl:1
	;;#ASMEND
	;;#ASMSTART
	v_max_f32 v2, v3, v3 quad_perm:[2,3,0,1] row_mask:0xf bank_mask:0xf bound_ctrl:1
	;;#ASMEND
	;;#ASMSTART
	v_max_f32 v3, v2, v2 row_half_mirror row_mask:0xf bank_mask:0xf bound_ctrl:1
	;;#ASMEND
	;;#ASMSTART
	v_max_f32 v2, v3, v3 row_mirror row_mask:0xf bank_mask:0xf bound_ctrl:1
	;;#ASMEND
	;;#ASMSTART
	v_max_f32 v3, v2, v2 row_ror:4 row_mask:0xf bank_mask:0xf bound_ctrl:1
	;;#ASMEND
	;;#ASMSTART
	v_max_f32 v2, v3, v3 row_ror:8 row_mask:0xf bank_mask:0xf bound_ctrl:1
	;;#ASMEND
	;;#ASMSTART
	v_max_f32 v3, v2, v2 row_bcast:15 row_mask:0xf bank_mask:0xf bound_ctrl:1
	;;#ASMEND
	;;#ASMSTART
	v_max_f32 v2, v3, v3 row_bcast:31 row_mask:0xf bank_mask:0xf bound_ctrl:1
	;;#ASMEND
	v_mbcnt_lo_u32_b32 v3, -1, 0
	v_mbcnt_hi_u32_b32 v3, -1, v3
	v_bfrev_b32_e32 v4, 0.5
	v_lshl_or_b32 v4, v3, 2, v4
	ds_bpermute_b32 v3, v4, v2
	v_mov_b32_e32 v2, 0
	s_and_saveexec_b64 s[8:9], s[0:1]
	s_cbranch_execz .LBB87_14
; %bb.11:
	s_load_dword s2, s[4:5], 0x44
	v_lshl_add_u32 v5, v0, 2, 0
	s_mov_b64 s[18:19], 0
	v_mov_b32_e32 v2, 0
	s_mov_b32 s7, 0xc2fc0000
	s_waitcnt lgkmcnt(0)
	s_and_b32 s20, s2, 0xffff
	s_lshl_b32 s21, s20, 2
	v_mov_b32_e32 v6, 0x42800000
	v_mov_b32_e32 v7, 0x1f800000
	v_mov_b32_e32 v8, v0
.LBB87_12:                              ; =>This Inner Loop Header: Depth=1
	ds_read_b32 v9, v5
	v_add_u32_e32 v8, s20, v8
	v_cmp_le_i32_e64 s[2:3], s16, v8
	s_or_b64 s[18:19], s[2:3], s[18:19]
	s_waitcnt lgkmcnt(0)
	v_sub_f32_e32 v9, v9, v3
	v_mul_f32_e32 v10, 0x3fb8aa3b, v9
	v_cmp_gt_f32_e32 vcc, s7, v10
	v_cndmask_b32_e32 v10, 0, v6, vcc
	v_fmac_f32_e32 v10, 0x3fb8aa3b, v9
	v_exp_f32_e32 v9, v10
	v_cndmask_b32_e32 v10, 1.0, v7, vcc
	v_mul_f32_e32 v11, v9, v10
	v_fmac_f32_e32 v2, v9, v10
	ds_write_b32 v5, v11
	v_add_u32_e32 v5, s21, v5
	s_andn2_b64 exec, exec, s[18:19]
	s_cbranch_execnz .LBB87_12
; %bb.13:
	s_or_b64 exec, exec, s[18:19]
.LBB87_14:
	s_or_b64 exec, exec, s[8:9]
	s_waitcnt lgkmcnt(0)
	v_mov_b32_dpp v3, v2 quad_perm:[1,0,3,2] row_mask:0xf bank_mask:0xf
	v_add_f32_e32 v2, v2, v3
	s_nop 1
	v_mov_b32_dpp v3, v2 quad_perm:[2,3,0,1] row_mask:0xf bank_mask:0xf
	v_add_f32_e32 v2, v2, v3
	s_nop 1
	v_mov_b32_dpp v3, v2 row_half_mirror row_mask:0xf bank_mask:0xf
	v_add_f32_e32 v2, v2, v3
	s_nop 1
	v_mov_b32_dpp v3, v2 row_mirror row_mask:0xf bank_mask:0xf
	v_add_f32_e32 v2, v2, v3
	s_nop 1
	v_mov_b32_dpp v3, v2 row_bcast:15 row_mask:0xf bank_mask:0xf
	v_add_f32_e32 v2, v2, v3
	s_nop 1
	v_mov_b32_dpp v3, v2 row_bcast:31 row_mask:0xf bank_mask:0xf
	v_add_f32_e32 v2, v2, v3
	ds_bpermute_b32 v2, v4, v2
	s_and_saveexec_b64 s[8:9], s[0:1]
	s_cbranch_execz .LBB87_19
; %bb.15:
	s_load_dword s7, s[4:5], 0x44
	s_waitcnt lgkmcnt(0)
	v_rcp_f32_e32 v5, v2
	s_cmp_lg_u64 s[10:11], 0
	s_cselect_b64 s[2:3], -1, 0
	v_cndmask_b32_e64 v2, 0, 1, s[2:3]
	s_and_b32 s7, s7, 0xffff
	s_mov_b64 s[18:19], 0
	v_lshl_add_u32 v6, v0, 2, 0
	s_lshl_b32 s20, s7, 2
	v_cmp_ne_u32_e64 s[2:3], 1, v2
	v_mov_b32_e32 v2, v0
	s_branch .LBB87_17
.LBB87_16:                              ;   in Loop: Header=BB87_17 Depth=1
	v_add_u32_e32 v2, s7, v2
	v_cmp_le_i32_e32 vcc, s16, v2
	s_or_b64 s[18:19], vcc, s[18:19]
	v_add_u32_e32 v6, s20, v6
	s_andn2_b64 exec, exec, s[18:19]
	s_cbranch_execz .LBB87_19
.LBB87_17:                              ; =>This Inner Loop Header: Depth=1
	ds_read_b32 v3, v6
	s_and_b64 vcc, exec, s[2:3]
	s_waitcnt lgkmcnt(0)
	v_mul_f32_e32 v7, v5, v3
	ds_write_b32 v6, v7
	s_cbranch_vccnz .LBB87_16
; %bb.18:                               ;   in Loop: Header=BB87_17 Depth=1
	v_ashrrev_i32_e32 v3, 31, v2
	v_lshlrev_b64 v[8:9], 1, v[2:3]
	v_mov_b32_e32 v3, s11
	v_add_co_u32_e32 v8, vcc, s10, v8
	v_addc_co_u32_e32 v9, vcc, v3, v9, vcc
	global_load_ushort v3, v[8:9], off
	s_waitcnt vmcnt(0)
	v_lshlrev_b32_e32 v3, 16, v3
	v_add_f32_e32 v3, v7, v3
	ds_write_b32 v6, v3
	s_branch .LBB87_16
.LBB87_19:
	s_or_b64 exec, exec, s[8:9]
	s_cmp_lt_i32 s17, 1
	v_mov_b32_e32 v3, 0
	s_waitcnt lgkmcnt(0)
	s_barrier
	s_cbranch_scc1 .LBB87_28
; %bb.20:
	s_add_u32 s2, s4, 56
	s_addc_u32 s3, s5, 0
	s_cmp_lg_u64 s[10:11], 0
	s_cselect_b64 s[8:9], -1, 0
	s_mov_b32 s7, 0
	v_mov_b32_e32 v3, 0
	v_mov_b32_e32 v6, 0
	;; [unrolled: 1-line block ×5, first 2 shown]
	s_branch .LBB87_22
.LBB87_21:                              ;   in Loop: Header=BB87_22 Depth=1
	s_lshl_b32 s19, s18, 2
	s_add_i32 s19, s19, 0
	v_mov_b32_e32 v8, s19
	ds_write_b32 v8, v7
	v_mov_b32_e32 v8, s18
	v_cmp_eq_u32_e32 vcc, s7, v0
	s_add_i32 s7, s7, 1
	v_cndmask_b32_e32 v2, v2, v8, vcc
	v_cndmask_b32_e32 v3, v3, v10, vcc
	s_cmp_eq_u32 s7, s17
	v_add_f32_e32 v5, v5, v10
	s_cbranch_scc1 .LBB87_29
.LBB87_22:                              ; =>This Loop Header: Depth=1
                                        ;     Child Loop BB87_24 Depth 2
	v_mov_b32_e32 v8, s7
	v_mov_b32_e32 v9, 0xff800000
	s_and_saveexec_b64 s[18:19], s[0:1]
	s_cbranch_execz .LBB87_26
; %bb.23:                               ;   in Loop: Header=BB87_22 Depth=1
	s_load_dword s22, s[2:3], 0xc
	s_mov_b64 s[20:21], 0
	v_mov_b32_e32 v8, s7
	v_mov_b32_e32 v9, 0xff800000
	;; [unrolled: 1-line block ×3, first 2 shown]
	s_waitcnt lgkmcnt(0)
	s_and_b32 s22, s22, 0xffff
	s_lshl_b32 s23, s22, 2
	v_mov_b32_e32 v11, v0
.LBB87_24:                              ;   Parent Loop BB87_22 Depth=1
                                        ; =>  This Inner Loop Header: Depth=2
	ds_read_b32 v12, v10
	v_add_u32_e32 v10, s23, v10
	s_waitcnt lgkmcnt(0)
	v_cmp_gt_f32_e32 vcc, v12, v9
	v_cndmask_b32_e32 v8, v8, v11, vcc
	v_add_u32_e32 v11, s22, v11
	v_cndmask_b32_e32 v9, v9, v12, vcc
	v_cmp_le_i32_e32 vcc, s16, v11
	s_or_b64 s[20:21], vcc, s[20:21]
	s_andn2_b64 exec, exec, s[20:21]
	s_cbranch_execnz .LBB87_24
; %bb.25:                               ;   in Loop: Header=BB87_22 Depth=1
	s_or_b64 exec, exec, s[20:21]
.LBB87_26:                              ;   in Loop: Header=BB87_22 Depth=1
	s_or_b64 exec, exec, s[18:19]
	;;#ASMSTART
	v_max_f32 v10, v9, v9 quad_perm:[1,0,3,2] row_mask:0xf bank_mask:0xf bound_ctrl:1
	;;#ASMEND
	;;#ASMSTART
	v_max_f32 v11, v10, v10 quad_perm:[2,3,0,1] row_mask:0xf bank_mask:0xf bound_ctrl:1
	;;#ASMEND
	;;#ASMSTART
	v_max_f32 v10, v11, v11 row_half_mirror row_mask:0xf bank_mask:0xf bound_ctrl:1
	;;#ASMEND
	;;#ASMSTART
	v_max_f32 v11, v10, v10 row_mirror row_mask:0xf bank_mask:0xf bound_ctrl:1
	;;#ASMEND
	;;#ASMSTART
	v_max_f32 v10, v11, v11 row_ror:4 row_mask:0xf bank_mask:0xf bound_ctrl:1
	;;#ASMEND
	;;#ASMSTART
	v_max_f32 v11, v10, v10 row_ror:8 row_mask:0xf bank_mask:0xf bound_ctrl:1
	;;#ASMEND
	;;#ASMSTART
	v_max_f32 v10, v11, v11 row_bcast:15 row_mask:0xf bank_mask:0xf bound_ctrl:1
	;;#ASMEND
	;;#ASMSTART
	v_max_f32 v11, v10, v10 row_bcast:31 row_mask:0xf bank_mask:0xf bound_ctrl:1
	;;#ASMEND
	ds_bpermute_b32 v10, v4, v11
	s_waitcnt lgkmcnt(0)
	v_cmp_eq_f32_e32 vcc, v9, v10
	s_ff1_i32_b64 s18, vcc
	s_cmp_lg_u64 vcc, 0
	s_cselect_b32 s18, s18, 0
	s_and_b64 vcc, exec, s[8:9]
	v_readlane_b32 s18, v8, s18
	s_cbranch_vccz .LBB87_21
; %bb.27:                               ;   in Loop: Header=BB87_22 Depth=1
	s_ashr_i32 s19, s18, 31
	s_lshl_b64 s[20:21], s[18:19], 1
	s_add_u32 s20, s10, s20
	s_addc_u32 s21, s11, s21
	global_load_ushort v8, v6, s[20:21]
	s_waitcnt vmcnt(0)
	v_lshlrev_b32_e32 v8, 16, v8
	v_sub_f32_e32 v10, v10, v8
	s_branch .LBB87_21
.LBB87_28:
	v_mov_b32_e32 v2, 0
	v_mov_b32_e32 v5, 0
.LBB87_29:
	v_cmp_gt_i32_e32 vcc, s17, v0
	s_and_saveexec_b64 s[0:1], vcc
	s_cbranch_execz .LBB87_32
; %bb.30:
	s_load_dword s2, s[4:5], 0x34
	v_max_f32_e32 v1, v5, v5
	v_max_f32_e32 v1, 0x1e3ce508, v1
	s_load_dword s3, s[4:5], 0x44
	s_waitcnt lgkmcnt(0)
	v_div_scale_f32 v4, s[0:1], v1, v1, s2
	s_load_dwordx2 s[0:1], s[4:5], 0x20
	v_rcp_f32_e32 v5, v4
	v_div_scale_f32 v6, vcc, s2, v1, s2
	s_and_b32 s3, s3, 0xffff
	v_fma_f32 v7, -v4, v5, 1.0
	v_fmac_f32_e32 v5, v7, v5
	v_mul_f32_e32 v7, v6, v5
	v_fma_f32 v8, -v4, v7, v6
	v_fmac_f32_e32 v7, v8, v5
	v_fma_f32 v4, -v4, v7, v6
	v_div_fmas_f32 v4, v4, v5, v7
	v_div_fixup_f32 v1, v4, v1, s2
	s_ashr_i32 s2, s6, 31
	s_waitcnt lgkmcnt(0)
	s_mul_i32 s1, s6, s1
	s_mul_hi_u32 s4, s6, s0
	s_add_i32 s1, s4, s1
	s_mul_i32 s2, s2, s0
	s_add_i32 s4, s1, s2
	v_mul_f32_e32 v1, v3, v1
	s_mul_i32 s2, s6, s0
	s_mov_b64 s[0:1], 0
	v_mov_b32_e32 v3, s4
	v_mov_b32_e32 v4, s13
	;; [unrolled: 1-line block ×3, first 2 shown]
.LBB87_31:                              ; =>This Inner Loop Header: Depth=1
	v_ashrrev_i32_e32 v7, 31, v0
	v_add_co_u32_e32 v6, vcc, s2, v0
	v_addc_co_u32_e32 v7, vcc, v3, v7, vcc
	v_add_u32_e32 v0, s3, v0
	v_cmp_le_i32_e32 vcc, s17, v0
	v_lshlrev_b64 v[6:7], 2, v[6:7]
	s_or_b64 s[0:1], vcc, s[0:1]
	v_add_co_u32_e32 v8, vcc, s12, v6
	v_addc_co_u32_e32 v9, vcc, v4, v7, vcc
	v_add_co_u32_e32 v6, vcc, s14, v6
	v_addc_co_u32_e32 v7, vcc, v5, v7, vcc
	global_store_dword v[8:9], v1, off
	global_store_dword v[6:7], v2, off
	s_andn2_b64 exec, exec, s[0:1]
	s_cbranch_execnz .LBB87_31
.LBB87_32:
	s_endpgm
	.section	.rodata,"a",@progbits
	.p2align	6, 0x0
	.amdhsa_kernel _ZN5aiter20topk_softplus_kernelIf12hip_bfloat16Dv1_fLb1ELi2EEEvPKT_PKT0_PfPimiiif
		.amdhsa_group_segment_fixed_size 0
		.amdhsa_private_segment_fixed_size 0
		.amdhsa_kernarg_size 312
		.amdhsa_user_sgpr_count 6
		.amdhsa_user_sgpr_private_segment_buffer 1
		.amdhsa_user_sgpr_dispatch_ptr 0
		.amdhsa_user_sgpr_queue_ptr 0
		.amdhsa_user_sgpr_kernarg_segment_ptr 1
		.amdhsa_user_sgpr_dispatch_id 0
		.amdhsa_user_sgpr_flat_scratch_init 0
		.amdhsa_user_sgpr_kernarg_preload_length 0
		.amdhsa_user_sgpr_kernarg_preload_offset 0
		.amdhsa_user_sgpr_private_segment_size 0
		.amdhsa_uses_dynamic_stack 0
		.amdhsa_system_sgpr_private_segment_wavefront_offset 0
		.amdhsa_system_sgpr_workgroup_id_x 1
		.amdhsa_system_sgpr_workgroup_id_y 0
		.amdhsa_system_sgpr_workgroup_id_z 0
		.amdhsa_system_sgpr_workgroup_info 0
		.amdhsa_system_vgpr_workitem_id 0
		.amdhsa_next_free_vgpr 13
		.amdhsa_next_free_sgpr 24
		.amdhsa_accum_offset 16
		.amdhsa_reserve_vcc 1
		.amdhsa_reserve_flat_scratch 0
		.amdhsa_float_round_mode_32 0
		.amdhsa_float_round_mode_16_64 0
		.amdhsa_float_denorm_mode_32 3
		.amdhsa_float_denorm_mode_16_64 3
		.amdhsa_dx10_clamp 1
		.amdhsa_ieee_mode 1
		.amdhsa_fp16_overflow 0
		.amdhsa_tg_split 0
		.amdhsa_exception_fp_ieee_invalid_op 0
		.amdhsa_exception_fp_denorm_src 0
		.amdhsa_exception_fp_ieee_div_zero 0
		.amdhsa_exception_fp_ieee_overflow 0
		.amdhsa_exception_fp_ieee_underflow 0
		.amdhsa_exception_fp_ieee_inexact 0
		.amdhsa_exception_int_div_zero 0
	.end_amdhsa_kernel
	.section	.text._ZN5aiter20topk_softplus_kernelIf12hip_bfloat16Dv1_fLb1ELi2EEEvPKT_PKT0_PfPimiiif,"axG",@progbits,_ZN5aiter20topk_softplus_kernelIf12hip_bfloat16Dv1_fLb1ELi2EEEvPKT_PKT0_PfPimiiif,comdat
.Lfunc_end87:
	.size	_ZN5aiter20topk_softplus_kernelIf12hip_bfloat16Dv1_fLb1ELi2EEEvPKT_PKT0_PfPimiiif, .Lfunc_end87-_ZN5aiter20topk_softplus_kernelIf12hip_bfloat16Dv1_fLb1ELi2EEEvPKT_PKT0_PfPimiiif
                                        ; -- End function
	.section	.AMDGPU.csdata,"",@progbits
; Kernel info:
; codeLenInByte = 1668
; NumSgprs: 28
; NumVgprs: 13
; NumAgprs: 0
; TotalNumVgprs: 13
; ScratchSize: 0
; MemoryBound: 0
; FloatMode: 240
; IeeeMode: 1
; LDSByteSize: 0 bytes/workgroup (compile time only)
; SGPRBlocks: 3
; VGPRBlocks: 1
; NumSGPRsForWavesPerEU: 28
; NumVGPRsForWavesPerEU: 13
; AccumOffset: 16
; Occupancy: 8
; WaveLimiterHint : 0
; COMPUTE_PGM_RSRC2:SCRATCH_EN: 0
; COMPUTE_PGM_RSRC2:USER_SGPR: 6
; COMPUTE_PGM_RSRC2:TRAP_HANDLER: 0
; COMPUTE_PGM_RSRC2:TGID_X_EN: 1
; COMPUTE_PGM_RSRC2:TGID_Y_EN: 0
; COMPUTE_PGM_RSRC2:TGID_Z_EN: 0
; COMPUTE_PGM_RSRC2:TIDIG_COMP_CNT: 0
; COMPUTE_PGM_RSRC3_GFX90A:ACCUM_OFFSET: 3
; COMPUTE_PGM_RSRC3_GFX90A:TG_SPLIT: 0
	.section	.text._ZN5aiter20topk_softplus_kernelIf12hip_bfloat16Dv1_fLb0ELi2EEEvPKT_PKT0_PfPimiiif,"axG",@progbits,_ZN5aiter20topk_softplus_kernelIf12hip_bfloat16Dv1_fLb0ELi2EEEvPKT_PKT0_PfPimiiif,comdat
	.protected	_ZN5aiter20topk_softplus_kernelIf12hip_bfloat16Dv1_fLb0ELi2EEEvPKT_PKT0_PfPimiiif ; -- Begin function _ZN5aiter20topk_softplus_kernelIf12hip_bfloat16Dv1_fLb0ELi2EEEvPKT_PKT0_PfPimiiif
	.globl	_ZN5aiter20topk_softplus_kernelIf12hip_bfloat16Dv1_fLb0ELi2EEEvPKT_PKT0_PfPimiiif
	.p2align	8
	.type	_ZN5aiter20topk_softplus_kernelIf12hip_bfloat16Dv1_fLb0ELi2EEEvPKT_PKT0_PfPimiiif,@function
_ZN5aiter20topk_softplus_kernelIf12hip_bfloat16Dv1_fLb0ELi2EEEvPKT_PKT0_PfPimiiif: ; @_ZN5aiter20topk_softplus_kernelIf12hip_bfloat16Dv1_fLb0ELi2EEEvPKT_PKT0_PfPimiiif
; %bb.0:
	s_load_dwordx2 s[16:17], s[4:5], 0x28
	s_load_dwordx8 s[8:15], s[4:5], 0x0
	v_lshl_add_u32 v1, v0, 2, 0
	s_waitcnt lgkmcnt(0)
	s_mul_i32 s2, s6, s16
	s_ashr_i32 s3, s2, 31
	s_lshl_b64 s[2:3], s[2:3], 2
	s_add_u32 s7, s8, s2
	v_cmp_gt_i32_e64 s[0:1], s16, v0
	s_addc_u32 s18, s9, s3
	s_and_saveexec_b64 s[2:3], s[0:1]
	s_cbranch_execz .LBB88_3
; %bb.1:
	s_load_dword s19, s[4:5], 0x44
	v_lshl_add_u32 v4, v0, 2, 0
	s_mov_b64 s[8:9], 0
	v_mov_b32_e32 v5, s18
	v_mov_b32_e32 v2, v0
	s_waitcnt lgkmcnt(0)
	s_and_b32 s19, s19, 0xffff
	s_lshl_b32 s20, s19, 2
.LBB88_2:                               ; =>This Inner Loop Header: Depth=1
	v_ashrrev_i32_e32 v3, 31, v2
	v_lshlrev_b64 v[6:7], 2, v[2:3]
	v_add_co_u32_e32 v6, vcc, s7, v6
	v_addc_co_u32_e32 v7, vcc, v5, v7, vcc
	global_load_dword v3, v[6:7], off
	v_add_u32_e32 v2, s19, v2
	v_cmp_le_i32_e32 vcc, s16, v2
	s_or_b64 s[8:9], vcc, s[8:9]
	s_waitcnt vmcnt(0)
	ds_write_b32 v4, v3
	v_add_u32_e32 v4, s20, v4
	s_andn2_b64 exec, exec, s[8:9]
	s_cbranch_execnz .LBB88_2
.LBB88_3:
	s_or_b64 exec, exec, s[2:3]
	v_add_u32_e32 v2, s16, v0
	v_cmp_gt_i32_e32 vcc, s16, v2
	s_and_saveexec_b64 s[2:3], vcc
	s_cbranch_execz .LBB88_6
; %bb.4:
	s_load_dword s19, s[4:5], 0x44
	v_lshl_add_u32 v4, v2, 2, 0
	s_mov_b64 s[8:9], 0
	v_mov_b32_e32 v5, s18
	s_waitcnt lgkmcnt(0)
	s_and_b32 s19, s19, 0xffff
	s_lshl_b32 s20, s19, 2
.LBB88_5:                               ; =>This Inner Loop Header: Depth=1
	v_ashrrev_i32_e32 v3, 31, v2
	v_lshlrev_b64 v[6:7], 2, v[2:3]
	v_add_co_u32_e32 v6, vcc, s7, v6
	v_addc_co_u32_e32 v7, vcc, v5, v7, vcc
	global_load_dword v3, v[6:7], off
	v_add_u32_e32 v2, s19, v2
	v_cmp_le_i32_e32 vcc, s16, v2
	s_or_b64 s[8:9], vcc, s[8:9]
	s_waitcnt vmcnt(0)
	ds_write_b32 v4, v3
	v_add_u32_e32 v4, s20, v4
	s_andn2_b64 exec, exec, s[8:9]
	s_cbranch_execnz .LBB88_5
.LBB88_6:
	s_or_b64 exec, exec, s[2:3]
	v_mov_b32_e32 v2, 0xff800000
	s_waitcnt lgkmcnt(0)
	s_barrier
	s_and_saveexec_b64 s[2:3], s[0:1]
	s_cbranch_execz .LBB88_10
; %bb.7:
	s_load_dword s7, s[4:5], 0x44
	v_lshl_add_u32 v3, v0, 2, 0
	s_mov_b64 s[8:9], 0
	v_mov_b32_e32 v2, 0xff800000
	v_mov_b32_e32 v4, v0
	s_waitcnt lgkmcnt(0)
	s_and_b32 s7, s7, 0xffff
	s_lshl_b32 s18, s7, 2
.LBB88_8:                               ; =>This Inner Loop Header: Depth=1
	ds_read_b32 v5, v3
	v_add_u32_e32 v4, s7, v4
	v_max_f32_e32 v2, v2, v2
	v_cmp_le_i32_e32 vcc, s16, v4
	v_add_u32_e32 v3, s18, v3
	s_waitcnt lgkmcnt(0)
	v_max_f32_e32 v5, v5, v5
	s_or_b64 s[8:9], vcc, s[8:9]
	v_max_f32_e32 v2, v2, v5
	s_andn2_b64 exec, exec, s[8:9]
	s_cbranch_execnz .LBB88_8
; %bb.9:
	s_or_b64 exec, exec, s[8:9]
.LBB88_10:
	s_or_b64 exec, exec, s[2:3]
	;;#ASMSTART
	v_max_f32 v3, v2, v2 quad_perm:[1,0,3,2] row_mask:0xf bank_mask:0xf bound_ctrl:1
	;;#ASMEND
	;;#ASMSTART
	v_max_f32 v2, v3, v3 quad_perm:[2,3,0,1] row_mask:0xf bank_mask:0xf bound_ctrl:1
	;;#ASMEND
	;;#ASMSTART
	v_max_f32 v3, v2, v2 row_half_mirror row_mask:0xf bank_mask:0xf bound_ctrl:1
	;;#ASMEND
	;;#ASMSTART
	v_max_f32 v2, v3, v3 row_mirror row_mask:0xf bank_mask:0xf bound_ctrl:1
	;;#ASMEND
	;;#ASMSTART
	v_max_f32 v3, v2, v2 row_ror:4 row_mask:0xf bank_mask:0xf bound_ctrl:1
	;;#ASMEND
	;;#ASMSTART
	v_max_f32 v2, v3, v3 row_ror:8 row_mask:0xf bank_mask:0xf bound_ctrl:1
	;;#ASMEND
	;;#ASMSTART
	v_max_f32 v3, v2, v2 row_bcast:15 row_mask:0xf bank_mask:0xf bound_ctrl:1
	;;#ASMEND
	;;#ASMSTART
	v_max_f32 v2, v3, v3 row_bcast:31 row_mask:0xf bank_mask:0xf bound_ctrl:1
	;;#ASMEND
	v_mbcnt_lo_u32_b32 v3, -1, 0
	v_mbcnt_hi_u32_b32 v3, -1, v3
	v_bfrev_b32_e32 v4, 0.5
	v_lshl_or_b32 v4, v3, 2, v4
	ds_bpermute_b32 v3, v4, v2
	v_mov_b32_e32 v2, 0
	s_and_saveexec_b64 s[8:9], s[0:1]
	s_cbranch_execz .LBB88_14
; %bb.11:
	s_load_dword s2, s[4:5], 0x44
	v_lshl_add_u32 v5, v0, 2, 0
	s_mov_b64 s[18:19], 0
	v_mov_b32_e32 v2, 0
	s_mov_b32 s7, 0xc2fc0000
	s_waitcnt lgkmcnt(0)
	s_and_b32 s20, s2, 0xffff
	s_lshl_b32 s21, s20, 2
	v_mov_b32_e32 v6, 0x42800000
	v_mov_b32_e32 v7, 0x1f800000
	;; [unrolled: 1-line block ×3, first 2 shown]
.LBB88_12:                              ; =>This Inner Loop Header: Depth=1
	ds_read_b32 v9, v5
	v_add_u32_e32 v8, s20, v8
	v_cmp_le_i32_e64 s[2:3], s16, v8
	s_or_b64 s[18:19], s[2:3], s[18:19]
	s_waitcnt lgkmcnt(0)
	v_sub_f32_e32 v9, v9, v3
	v_mul_f32_e32 v10, 0x3fb8aa3b, v9
	v_cmp_gt_f32_e32 vcc, s7, v10
	v_cndmask_b32_e32 v10, 0, v6, vcc
	v_fmac_f32_e32 v10, 0x3fb8aa3b, v9
	v_exp_f32_e32 v9, v10
	v_cndmask_b32_e32 v10, 1.0, v7, vcc
	v_mul_f32_e32 v11, v9, v10
	v_fmac_f32_e32 v2, v9, v10
	ds_write_b32 v5, v11
	v_add_u32_e32 v5, s21, v5
	s_andn2_b64 exec, exec, s[18:19]
	s_cbranch_execnz .LBB88_12
; %bb.13:
	s_or_b64 exec, exec, s[18:19]
.LBB88_14:
	s_or_b64 exec, exec, s[8:9]
	s_waitcnt lgkmcnt(0)
	v_mov_b32_dpp v3, v2 quad_perm:[1,0,3,2] row_mask:0xf bank_mask:0xf
	v_add_f32_e32 v2, v2, v3
	s_nop 1
	v_mov_b32_dpp v3, v2 quad_perm:[2,3,0,1] row_mask:0xf bank_mask:0xf
	v_add_f32_e32 v2, v2, v3
	s_nop 1
	v_mov_b32_dpp v3, v2 row_half_mirror row_mask:0xf bank_mask:0xf
	v_add_f32_e32 v2, v2, v3
	s_nop 1
	v_mov_b32_dpp v3, v2 row_mirror row_mask:0xf bank_mask:0xf
	v_add_f32_e32 v2, v2, v3
	s_nop 1
	v_mov_b32_dpp v3, v2 row_bcast:15 row_mask:0xf bank_mask:0xf
	v_add_f32_e32 v2, v2, v3
	s_nop 1
	v_mov_b32_dpp v3, v2 row_bcast:31 row_mask:0xf bank_mask:0xf
	v_add_f32_e32 v2, v2, v3
	ds_bpermute_b32 v2, v4, v2
	s_and_saveexec_b64 s[8:9], s[0:1]
	s_cbranch_execz .LBB88_19
; %bb.15:
	s_load_dword s7, s[4:5], 0x44
	s_waitcnt lgkmcnt(0)
	v_rcp_f32_e32 v5, v2
	s_cmp_lg_u64 s[10:11], 0
	s_cselect_b64 s[2:3], -1, 0
	v_cndmask_b32_e64 v2, 0, 1, s[2:3]
	s_and_b32 s7, s7, 0xffff
	s_mov_b64 s[18:19], 0
	v_lshl_add_u32 v6, v0, 2, 0
	s_lshl_b32 s20, s7, 2
	v_cmp_ne_u32_e64 s[2:3], 1, v2
	v_mov_b32_e32 v2, v0
	s_branch .LBB88_17
.LBB88_16:                              ;   in Loop: Header=BB88_17 Depth=1
	v_add_u32_e32 v2, s7, v2
	v_cmp_le_i32_e32 vcc, s16, v2
	s_or_b64 s[18:19], vcc, s[18:19]
	v_add_u32_e32 v6, s20, v6
	s_andn2_b64 exec, exec, s[18:19]
	s_cbranch_execz .LBB88_19
.LBB88_17:                              ; =>This Inner Loop Header: Depth=1
	ds_read_b32 v3, v6
	s_and_b64 vcc, exec, s[2:3]
	s_waitcnt lgkmcnt(0)
	v_mul_f32_e32 v7, v5, v3
	ds_write_b32 v6, v7
	s_cbranch_vccnz .LBB88_16
; %bb.18:                               ;   in Loop: Header=BB88_17 Depth=1
	v_ashrrev_i32_e32 v3, 31, v2
	v_lshlrev_b64 v[8:9], 1, v[2:3]
	v_mov_b32_e32 v3, s11
	v_add_co_u32_e32 v8, vcc, s10, v8
	v_addc_co_u32_e32 v9, vcc, v3, v9, vcc
	global_load_ushort v3, v[8:9], off
	s_waitcnt vmcnt(0)
	v_lshlrev_b32_e32 v3, 16, v3
	v_add_f32_e32 v3, v7, v3
	ds_write_b32 v6, v3
	s_branch .LBB88_16
.LBB88_19:
	s_or_b64 exec, exec, s[8:9]
	s_cmp_lt_i32 s17, 1
	s_waitcnt lgkmcnt(0)
	s_barrier
	s_cbranch_scc1 .LBB88_28
; %bb.20:
	s_add_u32 s2, s4, 56
	s_addc_u32 s3, s5, 0
	s_cmp_lg_u64 s[10:11], 0
	s_cselect_b64 s[8:9], -1, 0
	s_mov_b32 s7, 0
	v_mov_b32_e32 v2, 0
	v_mov_b32_e32 v5, 0
	;; [unrolled: 1-line block ×4, first 2 shown]
	s_branch .LBB88_22
.LBB88_21:                              ;   in Loop: Header=BB88_22 Depth=1
	s_lshl_b32 s19, s18, 2
	s_add_i32 s19, s19, 0
	v_mov_b32_e32 v7, s19
	ds_write_b32 v7, v6
	v_mov_b32_e32 v7, s18
	v_cmp_eq_u32_e32 vcc, s7, v0
	s_add_i32 s7, s7, 1
	v_cndmask_b32_e32 v2, v2, v7, vcc
	s_cmp_eq_u32 s7, s17
	v_cndmask_b32_e32 v3, v3, v9, vcc
	s_cbranch_scc1 .LBB88_29
.LBB88_22:                              ; =>This Loop Header: Depth=1
                                        ;     Child Loop BB88_24 Depth 2
	v_mov_b32_e32 v7, s7
	v_mov_b32_e32 v8, 0xff800000
	s_and_saveexec_b64 s[18:19], s[0:1]
	s_cbranch_execz .LBB88_26
; %bb.23:                               ;   in Loop: Header=BB88_22 Depth=1
	s_load_dword s22, s[2:3], 0xc
	s_mov_b64 s[20:21], 0
	v_mov_b32_e32 v7, s7
	v_mov_b32_e32 v8, 0xff800000
	;; [unrolled: 1-line block ×3, first 2 shown]
	s_waitcnt lgkmcnt(0)
	s_and_b32 s22, s22, 0xffff
	s_lshl_b32 s23, s22, 2
	v_mov_b32_e32 v10, v0
.LBB88_24:                              ;   Parent Loop BB88_22 Depth=1
                                        ; =>  This Inner Loop Header: Depth=2
	ds_read_b32 v11, v9
	v_add_u32_e32 v9, s23, v9
	s_waitcnt lgkmcnt(0)
	v_cmp_gt_f32_e32 vcc, v11, v8
	v_cndmask_b32_e32 v7, v7, v10, vcc
	v_add_u32_e32 v10, s22, v10
	v_cndmask_b32_e32 v8, v8, v11, vcc
	v_cmp_le_i32_e32 vcc, s16, v10
	s_or_b64 s[20:21], vcc, s[20:21]
	s_andn2_b64 exec, exec, s[20:21]
	s_cbranch_execnz .LBB88_24
; %bb.25:                               ;   in Loop: Header=BB88_22 Depth=1
	s_or_b64 exec, exec, s[20:21]
.LBB88_26:                              ;   in Loop: Header=BB88_22 Depth=1
	s_or_b64 exec, exec, s[18:19]
	;;#ASMSTART
	v_max_f32 v9, v8, v8 quad_perm:[1,0,3,2] row_mask:0xf bank_mask:0xf bound_ctrl:1
	;;#ASMEND
	;;#ASMSTART
	v_max_f32 v10, v9, v9 quad_perm:[2,3,0,1] row_mask:0xf bank_mask:0xf bound_ctrl:1
	;;#ASMEND
	;;#ASMSTART
	v_max_f32 v9, v10, v10 row_half_mirror row_mask:0xf bank_mask:0xf bound_ctrl:1
	;;#ASMEND
	;;#ASMSTART
	v_max_f32 v10, v9, v9 row_mirror row_mask:0xf bank_mask:0xf bound_ctrl:1
	;;#ASMEND
	;;#ASMSTART
	v_max_f32 v9, v10, v10 row_ror:4 row_mask:0xf bank_mask:0xf bound_ctrl:1
	;;#ASMEND
	;;#ASMSTART
	v_max_f32 v10, v9, v9 row_ror:8 row_mask:0xf bank_mask:0xf bound_ctrl:1
	;;#ASMEND
	;;#ASMSTART
	v_max_f32 v9, v10, v10 row_bcast:15 row_mask:0xf bank_mask:0xf bound_ctrl:1
	;;#ASMEND
	;;#ASMSTART
	v_max_f32 v10, v9, v9 row_bcast:31 row_mask:0xf bank_mask:0xf bound_ctrl:1
	;;#ASMEND
	ds_bpermute_b32 v9, v4, v10
	s_waitcnt lgkmcnt(0)
	v_cmp_eq_f32_e32 vcc, v8, v9
	s_ff1_i32_b64 s18, vcc
	s_cmp_lg_u64 vcc, 0
	s_cselect_b32 s18, s18, 0
	s_and_b64 vcc, exec, s[8:9]
	v_readlane_b32 s18, v7, s18
	s_cbranch_vccz .LBB88_21
; %bb.27:                               ;   in Loop: Header=BB88_22 Depth=1
	s_ashr_i32 s19, s18, 31
	s_lshl_b64 s[20:21], s[18:19], 1
	s_add_u32 s20, s10, s20
	s_addc_u32 s21, s11, s21
	global_load_ushort v7, v5, s[20:21]
	s_waitcnt vmcnt(0)
	v_lshlrev_b32_e32 v7, 16, v7
	v_sub_f32_e32 v9, v9, v7
	s_branch .LBB88_21
.LBB88_28:
	v_mov_b32_e32 v3, 0
	v_mov_b32_e32 v2, 0
.LBB88_29:
	v_cmp_gt_i32_e32 vcc, s17, v0
	s_and_saveexec_b64 s[0:1], vcc
	s_cbranch_execz .LBB88_32
; %bb.30:
	s_load_dword s2, s[4:5], 0x34
	s_load_dwordx2 s[0:1], s[4:5], 0x20
	s_ashr_i32 s3, s6, 31
	s_load_dword s4, s[4:5], 0x44
	v_mov_b32_e32 v4, s13
	s_waitcnt lgkmcnt(0)
	v_mul_f32_e32 v1, s2, v3
	s_mul_i32 s1, s6, s1
	s_mul_hi_u32 s2, s6, s0
	s_add_i32 s1, s2, s1
	s_mul_i32 s3, s3, s0
	s_add_i32 s5, s1, s3
	s_mul_i32 s2, s6, s0
	s_and_b32 s3, s4, 0xffff
	s_mov_b64 s[0:1], 0
	v_mov_b32_e32 v3, s5
	v_mov_b32_e32 v5, s15
.LBB88_31:                              ; =>This Inner Loop Header: Depth=1
	v_ashrrev_i32_e32 v7, 31, v0
	v_add_co_u32_e32 v6, vcc, s2, v0
	v_addc_co_u32_e32 v7, vcc, v3, v7, vcc
	v_add_u32_e32 v0, s3, v0
	v_cmp_le_i32_e32 vcc, s17, v0
	v_lshlrev_b64 v[6:7], 2, v[6:7]
	s_or_b64 s[0:1], vcc, s[0:1]
	v_add_co_u32_e32 v8, vcc, s12, v6
	v_addc_co_u32_e32 v9, vcc, v4, v7, vcc
	v_add_co_u32_e32 v6, vcc, s14, v6
	v_addc_co_u32_e32 v7, vcc, v5, v7, vcc
	global_store_dword v[8:9], v1, off
	global_store_dword v[6:7], v2, off
	s_andn2_b64 exec, exec, s[0:1]
	s_cbranch_execnz .LBB88_31
.LBB88_32:
	s_endpgm
	.section	.rodata,"a",@progbits
	.p2align	6, 0x0
	.amdhsa_kernel _ZN5aiter20topk_softplus_kernelIf12hip_bfloat16Dv1_fLb0ELi2EEEvPKT_PKT0_PfPimiiif
		.amdhsa_group_segment_fixed_size 0
		.amdhsa_private_segment_fixed_size 0
		.amdhsa_kernarg_size 312
		.amdhsa_user_sgpr_count 6
		.amdhsa_user_sgpr_private_segment_buffer 1
		.amdhsa_user_sgpr_dispatch_ptr 0
		.amdhsa_user_sgpr_queue_ptr 0
		.amdhsa_user_sgpr_kernarg_segment_ptr 1
		.amdhsa_user_sgpr_dispatch_id 0
		.amdhsa_user_sgpr_flat_scratch_init 0
		.amdhsa_user_sgpr_kernarg_preload_length 0
		.amdhsa_user_sgpr_kernarg_preload_offset 0
		.amdhsa_user_sgpr_private_segment_size 0
		.amdhsa_uses_dynamic_stack 0
		.amdhsa_system_sgpr_private_segment_wavefront_offset 0
		.amdhsa_system_sgpr_workgroup_id_x 1
		.amdhsa_system_sgpr_workgroup_id_y 0
		.amdhsa_system_sgpr_workgroup_id_z 0
		.amdhsa_system_sgpr_workgroup_info 0
		.amdhsa_system_vgpr_workitem_id 0
		.amdhsa_next_free_vgpr 12
		.amdhsa_next_free_sgpr 24
		.amdhsa_accum_offset 12
		.amdhsa_reserve_vcc 1
		.amdhsa_reserve_flat_scratch 0
		.amdhsa_float_round_mode_32 0
		.amdhsa_float_round_mode_16_64 0
		.amdhsa_float_denorm_mode_32 3
		.amdhsa_float_denorm_mode_16_64 3
		.amdhsa_dx10_clamp 1
		.amdhsa_ieee_mode 1
		.amdhsa_fp16_overflow 0
		.amdhsa_tg_split 0
		.amdhsa_exception_fp_ieee_invalid_op 0
		.amdhsa_exception_fp_denorm_src 0
		.amdhsa_exception_fp_ieee_div_zero 0
		.amdhsa_exception_fp_ieee_overflow 0
		.amdhsa_exception_fp_ieee_underflow 0
		.amdhsa_exception_fp_ieee_inexact 0
		.amdhsa_exception_int_div_zero 0
	.end_amdhsa_kernel
	.section	.text._ZN5aiter20topk_softplus_kernelIf12hip_bfloat16Dv1_fLb0ELi2EEEvPKT_PKT0_PfPimiiif,"axG",@progbits,_ZN5aiter20topk_softplus_kernelIf12hip_bfloat16Dv1_fLb0ELi2EEEvPKT_PKT0_PfPimiiif,comdat
.Lfunc_end88:
	.size	_ZN5aiter20topk_softplus_kernelIf12hip_bfloat16Dv1_fLb0ELi2EEEvPKT_PKT0_PfPimiiif, .Lfunc_end88-_ZN5aiter20topk_softplus_kernelIf12hip_bfloat16Dv1_fLb0ELi2EEEvPKT_PKT0_PfPimiiif
                                        ; -- End function
	.section	.AMDGPU.csdata,"",@progbits
; Kernel info:
; codeLenInByte = 1568
; NumSgprs: 28
; NumVgprs: 12
; NumAgprs: 0
; TotalNumVgprs: 12
; ScratchSize: 0
; MemoryBound: 0
; FloatMode: 240
; IeeeMode: 1
; LDSByteSize: 0 bytes/workgroup (compile time only)
; SGPRBlocks: 3
; VGPRBlocks: 1
; NumSGPRsForWavesPerEU: 28
; NumVGPRsForWavesPerEU: 12
; AccumOffset: 12
; Occupancy: 8
; WaveLimiterHint : 0
; COMPUTE_PGM_RSRC2:SCRATCH_EN: 0
; COMPUTE_PGM_RSRC2:USER_SGPR: 6
; COMPUTE_PGM_RSRC2:TRAP_HANDLER: 0
; COMPUTE_PGM_RSRC2:TGID_X_EN: 1
; COMPUTE_PGM_RSRC2:TGID_Y_EN: 0
; COMPUTE_PGM_RSRC2:TGID_Z_EN: 0
; COMPUTE_PGM_RSRC2:TIDIG_COMP_CNT: 0
; COMPUTE_PGM_RSRC3_GFX90A:ACCUM_OFFSET: 2
; COMPUTE_PGM_RSRC3_GFX90A:TG_SPLIT: 0
	.section	.text._ZN5aiter24topk_softplus_kernel_optIf12hip_bfloat16Li64ELb1ELi0EEEvPKT_PKT0_PfPimiif,"axG",@progbits,_ZN5aiter24topk_softplus_kernel_optIf12hip_bfloat16Li64ELb1ELi0EEEvPKT_PKT0_PfPimiif,comdat
	.protected	_ZN5aiter24topk_softplus_kernel_optIf12hip_bfloat16Li64ELb1ELi0EEEvPKT_PKT0_PfPimiif ; -- Begin function _ZN5aiter24topk_softplus_kernel_optIf12hip_bfloat16Li64ELb1ELi0EEEvPKT_PKT0_PfPimiif
	.globl	_ZN5aiter24topk_softplus_kernel_optIf12hip_bfloat16Li64ELb1ELi0EEEvPKT_PKT0_PfPimiif
	.p2align	8
	.type	_ZN5aiter24topk_softplus_kernel_optIf12hip_bfloat16Li64ELb1ELi0EEEvPKT_PKT0_PfPimiif,@function
_ZN5aiter24topk_softplus_kernel_optIf12hip_bfloat16Li64ELb1ELi0EEEvPKT_PKT0_PfPimiif: ; @_ZN5aiter24topk_softplus_kernel_optIf12hip_bfloat16Li64ELb1ELi0EEEvPKT_PKT0_PfPimiif
; %bb.0:
	s_load_dwordx4 s[0:3], s[4:5], 0x0
	s_lshl_b32 s8, s6, 6
	s_ashr_i32 s9, s8, 31
	s_lshl_b64 s[8:9], s[8:9], 2
	v_lshlrev_b32_e32 v1, 2, v0
	s_waitcnt lgkmcnt(0)
	s_add_u32 s0, s0, s8
	s_addc_u32 s1, s1, s9
	global_load_dword v2, v1, s[0:1]
	s_mov_b32 s1, 0xc2fc0000
	v_mov_b32_e32 v3, 0x42800000
	v_mov_b32_e32 v4, 0x1f800000
	s_mov_b32 s0, 0x41a00000
	s_cmp_eq_u64 s[2:3], 0
	s_waitcnt vmcnt(0)
	v_mul_f32_e32 v5, 0x3fb8aa3b, v2
	v_cmp_gt_f32_e32 vcc, s1, v5
	v_cndmask_b32_e32 v3, 0, v3, vcc
	v_fmac_f32_e32 v3, 0x3fb8aa3b, v2
	v_exp_f32_e32 v3, v3
	v_cndmask_b32_e32 v4, 1.0, v4, vcc
	s_mov_b32 s1, 0x800000
	v_mov_b32_e32 v5, 0x4f800000
	v_fma_f32 v3, v3, v4, 1.0
	v_cmp_gt_f32_e32 vcc, s1, v3
	v_cndmask_b32_e32 v4, 1.0, v5, vcc
	v_mul_f32_e32 v3, v3, v4
	v_log_f32_e32 v3, v3
	v_mov_b32_e32 v4, 0x42000000
	v_cndmask_b32_e32 v4, 0, v4, vcc
	v_cmp_lt_f32_e32 vcc, s0, v2
	v_sub_f32_e32 v3, v3, v4
	v_mul_f32_e32 v3, 0x3f317218, v3
	s_mov_b32 s1, 0xf800000
	v_cndmask_b32_e32 v2, v3, v2, vcc
	v_mul_f32_e32 v3, 0x4f800000, v2
	v_cmp_gt_f32_e32 vcc, s1, v2
	v_cndmask_b32_e32 v3, v2, v3, vcc
	v_sqrt_f32_e32 v4, v3
	v_mov_b32_e32 v5, 0x260
	v_mov_b32_e32 v2, 0
	v_add_u32_e32 v6, -1, v4
	v_add_u32_e32 v7, 1, v4
	v_fma_f32 v8, -v6, v4, v3
	v_fma_f32 v9, -v7, v4, v3
	v_cmp_ge_f32_e64 s[0:1], 0, v8
	v_cndmask_b32_e64 v4, v4, v6, s[0:1]
	v_cmp_lt_f32_e64 s[0:1], 0, v9
	v_cndmask_b32_e64 v4, v4, v7, s[0:1]
	v_mul_f32_e32 v6, 0x37800000, v4
	v_cndmask_b32_e32 v4, v4, v6, vcc
	v_cmp_class_f32_e32 vcc, v3, v5
	v_cndmask_b32_e32 v4, v4, v3, vcc
	v_mov_b32_e32 v5, v4
	s_cbranch_scc1 .LBB89_2
; %bb.1:
	v_lshlrev_b32_e32 v3, 1, v0
	global_load_ushort v3, v3, s[2:3]
	s_waitcnt vmcnt(0)
	v_lshlrev_b32_e32 v3, 16, v3
	v_add_f32_e32 v5, v4, v3
.LBB89_2:
	s_load_dword s2, s[4:5], 0x28
	s_load_dwordx4 s[8:11], s[4:5], 0x10
	s_mov_b32 s3, 0
	v_mov_b32_e32 v6, 0
	v_mov_b32_e32 v3, 0
	s_waitcnt lgkmcnt(0)
	s_cmp_lt_i32 s2, 1
	s_cbranch_scc1 .LBB89_5
; %bb.3:
	v_mbcnt_lo_u32_b32 v2, -1, 0
	v_mbcnt_hi_u32_b32 v2, -1, v2
	v_bfrev_b32_e32 v3, 0.5
	v_mov_b32_e32 v7, 0
	v_mov_b32_e32 v8, 0xff800000
	v_lshl_or_b32 v9, v2, 2, v3
	v_mov_b32_e32 v6, 0
	v_mov_b32_e32 v2, 0
	v_mov_b32_e32 v3, 0
.LBB89_4:                               ; =>This Inner Loop Header: Depth=1
	v_cmp_eq_u32_e32 vcc, 0, v7
	v_cndmask_b32_e32 v10, v8, v5, vcc
	;;#ASMSTART
	v_max_f32 v12, v10, v10 quad_perm:[1,0,3,2] row_mask:0xf bank_mask:0xf bound_ctrl:1
	;;#ASMEND
	;;#ASMSTART
	v_max_f32 v13, v12, v12 quad_perm:[2,3,0,1] row_mask:0xf bank_mask:0xf bound_ctrl:1
	;;#ASMEND
	;;#ASMSTART
	v_max_f32 v12, v13, v13 row_half_mirror row_mask:0xf bank_mask:0xf bound_ctrl:1
	;;#ASMEND
	;;#ASMSTART
	v_max_f32 v13, v12, v12 row_mirror row_mask:0xf bank_mask:0xf bound_ctrl:1
	;;#ASMEND
	;;#ASMSTART
	v_max_f32 v12, v13, v13 row_ror:4 row_mask:0xf bank_mask:0xf bound_ctrl:1
	;;#ASMEND
	;;#ASMSTART
	v_max_f32 v13, v12, v12 row_ror:8 row_mask:0xf bank_mask:0xf bound_ctrl:1
	;;#ASMEND
	;;#ASMSTART
	v_max_f32 v12, v13, v13 row_bcast:15 row_mask:0xf bank_mask:0xf bound_ctrl:1
	;;#ASMEND
	;;#ASMSTART
	v_max_f32 v13, v12, v12 row_bcast:31 row_mask:0xf bank_mask:0xf bound_ctrl:1
	;;#ASMEND
	ds_bpermute_b32 v12, v9, v13
	v_cndmask_b32_e32 v11, 0, v0, vcc
	s_waitcnt lgkmcnt(0)
	v_cmp_eq_f32_e64 s[0:1], v10, v12
	s_ff1_i32_b64 s7, s[0:1]
	s_cmp_lg_u64 s[0:1], 0
	s_cselect_b32 s0, s7, 0
	s_nop 0
	v_readlane_b32 s7, v11, s0
	v_cmp_eq_u32_e64 s[0:1], s7, v0
	s_and_b64 vcc, vcc, s[0:1]
	s_and_b32 s12, s7, 63
	v_cndmask_b32_e32 v11, 0, v4, vcc
	v_addc_co_u32_e32 v7, vcc, 0, v7, vcc
	v_readlane_b32 s0, v11, s12
	v_mov_b32_e32 v10, s7
	v_mov_b32_e32 v11, s0
	v_cmp_eq_u32_e32 vcc, s3, v0
	s_add_i32 s3, s3, 1
	v_add_f32_e32 v6, s0, v6
	v_cndmask_b32_e32 v3, v3, v11, vcc
	s_cmp_eq_u32 s2, s3
	v_cndmask_b32_e32 v2, v2, v10, vcc
	s_cbranch_scc0 .LBB89_4
.LBB89_5:
	v_cmp_gt_i32_e32 vcc, s2, v0
	s_and_saveexec_b64 s[0:1], vcc
	s_cbranch_execz .LBB89_7
; %bb.6:
	s_load_dword s2, s[4:5], 0x30
	v_max_f32_e32 v0, v6, v6
	v_max_f32_e32 v0, 0x1e3ce508, v0
	s_waitcnt lgkmcnt(0)
	v_div_scale_f32 v4, s[0:1], v0, v0, s2
	v_rcp_f32_e32 v5, v4
	v_div_scale_f32 v6, vcc, s2, v0, s2
	s_load_dwordx2 s[0:1], s[4:5], 0x20
	v_fma_f32 v7, -v4, v5, 1.0
	v_fmac_f32_e32 v5, v7, v5
	v_mul_f32_e32 v7, v6, v5
	v_fma_f32 v8, -v4, v7, v6
	v_fmac_f32_e32 v7, v8, v5
	v_fma_f32 v4, -v4, v7, v6
	v_div_fmas_f32 v4, v4, v5, v7
	v_div_fixup_f32 v0, v4, v0, s2
	s_ashr_i32 s2, s6, 31
	s_waitcnt lgkmcnt(0)
	s_mul_i32 s1, s6, s1
	s_mul_hi_u32 s3, s6, s0
	s_add_i32 s1, s3, s1
	s_mul_i32 s2, s2, s0
	s_add_i32 s1, s1, s2
	s_mul_i32 s0, s6, s0
	s_lshl_b64 s[0:1], s[0:1], 2
	s_add_u32 s2, s8, s0
	s_addc_u32 s3, s9, s1
	s_add_u32 s0, s10, s0
	v_mul_f32_e32 v0, v3, v0
	s_addc_u32 s1, s11, s1
	global_store_dword v1, v0, s[2:3]
	global_store_dword v1, v2, s[0:1]
.LBB89_7:
	s_endpgm
	.section	.rodata,"a",@progbits
	.p2align	6, 0x0
	.amdhsa_kernel _ZN5aiter24topk_softplus_kernel_optIf12hip_bfloat16Li64ELb1ELi0EEEvPKT_PKT0_PfPimiif
		.amdhsa_group_segment_fixed_size 0
		.amdhsa_private_segment_fixed_size 0
		.amdhsa_kernarg_size 52
		.amdhsa_user_sgpr_count 6
		.amdhsa_user_sgpr_private_segment_buffer 1
		.amdhsa_user_sgpr_dispatch_ptr 0
		.amdhsa_user_sgpr_queue_ptr 0
		.amdhsa_user_sgpr_kernarg_segment_ptr 1
		.amdhsa_user_sgpr_dispatch_id 0
		.amdhsa_user_sgpr_flat_scratch_init 0
		.amdhsa_user_sgpr_kernarg_preload_length 0
		.amdhsa_user_sgpr_kernarg_preload_offset 0
		.amdhsa_user_sgpr_private_segment_size 0
		.amdhsa_uses_dynamic_stack 0
		.amdhsa_system_sgpr_private_segment_wavefront_offset 0
		.amdhsa_system_sgpr_workgroup_id_x 1
		.amdhsa_system_sgpr_workgroup_id_y 0
		.amdhsa_system_sgpr_workgroup_id_z 0
		.amdhsa_system_sgpr_workgroup_info 0
		.amdhsa_system_vgpr_workitem_id 0
		.amdhsa_next_free_vgpr 14
		.amdhsa_next_free_sgpr 13
		.amdhsa_accum_offset 16
		.amdhsa_reserve_vcc 1
		.amdhsa_reserve_flat_scratch 0
		.amdhsa_float_round_mode_32 0
		.amdhsa_float_round_mode_16_64 0
		.amdhsa_float_denorm_mode_32 3
		.amdhsa_float_denorm_mode_16_64 3
		.amdhsa_dx10_clamp 1
		.amdhsa_ieee_mode 1
		.amdhsa_fp16_overflow 0
		.amdhsa_tg_split 0
		.amdhsa_exception_fp_ieee_invalid_op 0
		.amdhsa_exception_fp_denorm_src 0
		.amdhsa_exception_fp_ieee_div_zero 0
		.amdhsa_exception_fp_ieee_overflow 0
		.amdhsa_exception_fp_ieee_underflow 0
		.amdhsa_exception_fp_ieee_inexact 0
		.amdhsa_exception_int_div_zero 0
	.end_amdhsa_kernel
	.section	.text._ZN5aiter24topk_softplus_kernel_optIf12hip_bfloat16Li64ELb1ELi0EEEvPKT_PKT0_PfPimiif,"axG",@progbits,_ZN5aiter24topk_softplus_kernel_optIf12hip_bfloat16Li64ELb1ELi0EEEvPKT_PKT0_PfPimiif,comdat
.Lfunc_end89:
	.size	_ZN5aiter24topk_softplus_kernel_optIf12hip_bfloat16Li64ELb1ELi0EEEvPKT_PKT0_PfPimiif, .Lfunc_end89-_ZN5aiter24topk_softplus_kernel_optIf12hip_bfloat16Li64ELb1ELi0EEEvPKT_PKT0_PfPimiif
                                        ; -- End function
	.section	.AMDGPU.csdata,"",@progbits
; Kernel info:
; codeLenInByte = 808
; NumSgprs: 17
; NumVgprs: 14
; NumAgprs: 0
; TotalNumVgprs: 14
; ScratchSize: 0
; MemoryBound: 0
; FloatMode: 240
; IeeeMode: 1
; LDSByteSize: 0 bytes/workgroup (compile time only)
; SGPRBlocks: 2
; VGPRBlocks: 1
; NumSGPRsForWavesPerEU: 17
; NumVGPRsForWavesPerEU: 14
; AccumOffset: 16
; Occupancy: 8
; WaveLimiterHint : 0
; COMPUTE_PGM_RSRC2:SCRATCH_EN: 0
; COMPUTE_PGM_RSRC2:USER_SGPR: 6
; COMPUTE_PGM_RSRC2:TRAP_HANDLER: 0
; COMPUTE_PGM_RSRC2:TGID_X_EN: 1
; COMPUTE_PGM_RSRC2:TGID_Y_EN: 0
; COMPUTE_PGM_RSRC2:TGID_Z_EN: 0
; COMPUTE_PGM_RSRC2:TIDIG_COMP_CNT: 0
; COMPUTE_PGM_RSRC3_GFX90A:ACCUM_OFFSET: 3
; COMPUTE_PGM_RSRC3_GFX90A:TG_SPLIT: 0
	.section	.text._ZN5aiter24topk_softplus_kernel_optIf12hip_bfloat16Li64ELb0ELi0EEEvPKT_PKT0_PfPimiif,"axG",@progbits,_ZN5aiter24topk_softplus_kernel_optIf12hip_bfloat16Li64ELb0ELi0EEEvPKT_PKT0_PfPimiif,comdat
	.protected	_ZN5aiter24topk_softplus_kernel_optIf12hip_bfloat16Li64ELb0ELi0EEEvPKT_PKT0_PfPimiif ; -- Begin function _ZN5aiter24topk_softplus_kernel_optIf12hip_bfloat16Li64ELb0ELi0EEEvPKT_PKT0_PfPimiif
	.globl	_ZN5aiter24topk_softplus_kernel_optIf12hip_bfloat16Li64ELb0ELi0EEEvPKT_PKT0_PfPimiif
	.p2align	8
	.type	_ZN5aiter24topk_softplus_kernel_optIf12hip_bfloat16Li64ELb0ELi0EEEvPKT_PKT0_PfPimiif,@function
_ZN5aiter24topk_softplus_kernel_optIf12hip_bfloat16Li64ELb0ELi0EEEvPKT_PKT0_PfPimiif: ; @_ZN5aiter24topk_softplus_kernel_optIf12hip_bfloat16Li64ELb0ELi0EEEvPKT_PKT0_PfPimiif
; %bb.0:
	s_load_dwordx4 s[0:3], s[4:5], 0x0
	s_lshl_b32 s8, s6, 6
	s_ashr_i32 s9, s8, 31
	s_lshl_b64 s[8:9], s[8:9], 2
	v_lshlrev_b32_e32 v1, 2, v0
	s_waitcnt lgkmcnt(0)
	s_add_u32 s0, s0, s8
	s_addc_u32 s1, s1, s9
	global_load_dword v2, v1, s[0:1]
	s_mov_b32 s1, 0xc2fc0000
	v_mov_b32_e32 v3, 0x42800000
	v_mov_b32_e32 v4, 0x1f800000
	s_mov_b32 s0, 0x41a00000
	s_cmp_eq_u64 s[2:3], 0
	s_waitcnt vmcnt(0)
	v_mul_f32_e32 v5, 0x3fb8aa3b, v2
	v_cmp_gt_f32_e32 vcc, s1, v5
	v_cndmask_b32_e32 v3, 0, v3, vcc
	v_fmac_f32_e32 v3, 0x3fb8aa3b, v2
	v_exp_f32_e32 v3, v3
	v_cndmask_b32_e32 v4, 1.0, v4, vcc
	s_mov_b32 s1, 0x800000
	v_mov_b32_e32 v5, 0x4f800000
	v_fma_f32 v3, v3, v4, 1.0
	v_cmp_gt_f32_e32 vcc, s1, v3
	v_cndmask_b32_e32 v4, 1.0, v5, vcc
	v_mul_f32_e32 v3, v3, v4
	v_log_f32_e32 v3, v3
	v_mov_b32_e32 v4, 0x42000000
	v_cndmask_b32_e32 v4, 0, v4, vcc
	v_cmp_lt_f32_e32 vcc, s0, v2
	v_sub_f32_e32 v3, v3, v4
	v_mul_f32_e32 v3, 0x3f317218, v3
	s_mov_b32 s1, 0xf800000
	v_cndmask_b32_e32 v2, v3, v2, vcc
	v_mul_f32_e32 v3, 0x4f800000, v2
	v_cmp_gt_f32_e32 vcc, s1, v2
	v_cndmask_b32_e32 v3, v2, v3, vcc
	v_sqrt_f32_e32 v4, v3
	v_mov_b32_e32 v5, 0x260
	v_mov_b32_e32 v2, 0
	v_add_u32_e32 v6, -1, v4
	v_add_u32_e32 v7, 1, v4
	v_fma_f32 v8, -v6, v4, v3
	v_fma_f32 v9, -v7, v4, v3
	v_cmp_ge_f32_e64 s[0:1], 0, v8
	v_cndmask_b32_e64 v4, v4, v6, s[0:1]
	v_cmp_lt_f32_e64 s[0:1], 0, v9
	v_cndmask_b32_e64 v4, v4, v7, s[0:1]
	v_mul_f32_e32 v6, 0x37800000, v4
	v_cndmask_b32_e32 v4, v4, v6, vcc
	v_cmp_class_f32_e32 vcc, v3, v5
	v_cndmask_b32_e32 v4, v4, v3, vcc
	v_mov_b32_e32 v5, v4
	s_cbranch_scc1 .LBB90_2
; %bb.1:
	v_lshlrev_b32_e32 v3, 1, v0
	global_load_ushort v3, v3, s[2:3]
	s_waitcnt vmcnt(0)
	v_lshlrev_b32_e32 v3, 16, v3
	v_add_f32_e32 v5, v4, v3
.LBB90_2:
	s_load_dword s2, s[4:5], 0x28
	s_load_dwordx4 s[8:11], s[4:5], 0x10
	s_waitcnt lgkmcnt(0)
	s_cmp_lt_i32 s2, 1
	s_cbranch_scc1 .LBB90_8
; %bb.3:
	v_mbcnt_lo_u32_b32 v2, -1, 0
	v_mbcnt_hi_u32_b32 v2, -1, v2
	v_bfrev_b32_e32 v8, 0.5
	s_mov_b32 s3, 0
	v_mov_b32_e32 v6, 0
	v_mov_b32_e32 v3, 0
	;; [unrolled: 1-line block ×3, first 2 shown]
	v_lshl_or_b32 v8, v2, 2, v8
	v_mov_b32_e32 v2, 0
.LBB90_4:                               ; =>This Inner Loop Header: Depth=1
	v_cmp_eq_u32_e32 vcc, 0, v6
	v_cndmask_b32_e32 v9, v7, v5, vcc
	;;#ASMSTART
	v_max_f32 v11, v9, v9 quad_perm:[1,0,3,2] row_mask:0xf bank_mask:0xf bound_ctrl:1
	;;#ASMEND
	;;#ASMSTART
	v_max_f32 v12, v11, v11 quad_perm:[2,3,0,1] row_mask:0xf bank_mask:0xf bound_ctrl:1
	;;#ASMEND
	;;#ASMSTART
	v_max_f32 v11, v12, v12 row_half_mirror row_mask:0xf bank_mask:0xf bound_ctrl:1
	;;#ASMEND
	;;#ASMSTART
	v_max_f32 v12, v11, v11 row_mirror row_mask:0xf bank_mask:0xf bound_ctrl:1
	;;#ASMEND
	;;#ASMSTART
	v_max_f32 v11, v12, v12 row_ror:4 row_mask:0xf bank_mask:0xf bound_ctrl:1
	;;#ASMEND
	;;#ASMSTART
	v_max_f32 v12, v11, v11 row_ror:8 row_mask:0xf bank_mask:0xf bound_ctrl:1
	;;#ASMEND
	;;#ASMSTART
	v_max_f32 v11, v12, v12 row_bcast:15 row_mask:0xf bank_mask:0xf bound_ctrl:1
	;;#ASMEND
	;;#ASMSTART
	v_max_f32 v12, v11, v11 row_bcast:31 row_mask:0xf bank_mask:0xf bound_ctrl:1
	;;#ASMEND
	ds_bpermute_b32 v11, v8, v12
	v_cndmask_b32_e32 v10, 0, v0, vcc
	s_waitcnt lgkmcnt(0)
	v_cmp_eq_f32_e64 s[0:1], v9, v11
	s_ff1_i32_b64 s7, s[0:1]
	s_cmp_lg_u64 s[0:1], 0
	s_cselect_b32 s0, s7, 0
	s_nop 0
	v_readlane_b32 s7, v10, s0
	v_cmp_eq_u32_e64 s[0:1], s7, v0
	s_and_b64 vcc, vcc, s[0:1]
	s_and_b32 s12, s7, 63
	v_cndmask_b32_e32 v10, 0, v4, vcc
	v_addc_co_u32_e32 v6, vcc, 0, v6, vcc
	v_readlane_b32 s0, v10, s12
	v_mov_b32_e32 v9, s7
	v_mov_b32_e32 v10, s0
	v_cmp_eq_u32_e32 vcc, s3, v0
	s_add_i32 s3, s3, 1
	v_cndmask_b32_e32 v3, v3, v10, vcc
	s_cmp_eq_u32 s2, s3
	v_cndmask_b32_e32 v2, v2, v9, vcc
	s_cbranch_scc0 .LBB90_4
; %bb.5:
	v_cmp_gt_i32_e32 vcc, s2, v0
	s_and_saveexec_b64 s[0:1], vcc
	s_cbranch_execz .LBB90_7
.LBB90_6:
	s_load_dword s2, s[4:5], 0x30
	s_load_dwordx2 s[0:1], s[4:5], 0x20
	s_ashr_i32 s3, s6, 31
	s_waitcnt lgkmcnt(0)
	v_mul_f32_e32 v0, s2, v3
	s_mul_i32 s1, s6, s1
	s_mul_hi_u32 s2, s6, s0
	s_add_i32 s1, s2, s1
	s_mul_i32 s3, s3, s0
	s_add_i32 s1, s1, s3
	s_mul_i32 s0, s6, s0
	s_lshl_b64 s[0:1], s[0:1], 2
	s_add_u32 s2, s8, s0
	s_addc_u32 s3, s9, s1
	s_add_u32 s0, s10, s0
	s_addc_u32 s1, s11, s1
	global_store_dword v1, v0, s[2:3]
	global_store_dword v1, v2, s[0:1]
.LBB90_7:
	s_endpgm
.LBB90_8:
	v_mov_b32_e32 v3, 0
	v_cmp_gt_i32_e32 vcc, s2, v0
	s_and_saveexec_b64 s[0:1], vcc
	s_cbranch_execnz .LBB90_6
	s_branch .LBB90_7
	.section	.rodata,"a",@progbits
	.p2align	6, 0x0
	.amdhsa_kernel _ZN5aiter24topk_softplus_kernel_optIf12hip_bfloat16Li64ELb0ELi0EEEvPKT_PKT0_PfPimiif
		.amdhsa_group_segment_fixed_size 0
		.amdhsa_private_segment_fixed_size 0
		.amdhsa_kernarg_size 52
		.amdhsa_user_sgpr_count 6
		.amdhsa_user_sgpr_private_segment_buffer 1
		.amdhsa_user_sgpr_dispatch_ptr 0
		.amdhsa_user_sgpr_queue_ptr 0
		.amdhsa_user_sgpr_kernarg_segment_ptr 1
		.amdhsa_user_sgpr_dispatch_id 0
		.amdhsa_user_sgpr_flat_scratch_init 0
		.amdhsa_user_sgpr_kernarg_preload_length 0
		.amdhsa_user_sgpr_kernarg_preload_offset 0
		.amdhsa_user_sgpr_private_segment_size 0
		.amdhsa_uses_dynamic_stack 0
		.amdhsa_system_sgpr_private_segment_wavefront_offset 0
		.amdhsa_system_sgpr_workgroup_id_x 1
		.amdhsa_system_sgpr_workgroup_id_y 0
		.amdhsa_system_sgpr_workgroup_id_z 0
		.amdhsa_system_sgpr_workgroup_info 0
		.amdhsa_system_vgpr_workitem_id 0
		.amdhsa_next_free_vgpr 13
		.amdhsa_next_free_sgpr 13
		.amdhsa_accum_offset 16
		.amdhsa_reserve_vcc 1
		.amdhsa_reserve_flat_scratch 0
		.amdhsa_float_round_mode_32 0
		.amdhsa_float_round_mode_16_64 0
		.amdhsa_float_denorm_mode_32 3
		.amdhsa_float_denorm_mode_16_64 3
		.amdhsa_dx10_clamp 1
		.amdhsa_ieee_mode 1
		.amdhsa_fp16_overflow 0
		.amdhsa_tg_split 0
		.amdhsa_exception_fp_ieee_invalid_op 0
		.amdhsa_exception_fp_denorm_src 0
		.amdhsa_exception_fp_ieee_div_zero 0
		.amdhsa_exception_fp_ieee_overflow 0
		.amdhsa_exception_fp_ieee_underflow 0
		.amdhsa_exception_fp_ieee_inexact 0
		.amdhsa_exception_int_div_zero 0
	.end_amdhsa_kernel
	.section	.text._ZN5aiter24topk_softplus_kernel_optIf12hip_bfloat16Li64ELb0ELi0EEEvPKT_PKT0_PfPimiif,"axG",@progbits,_ZN5aiter24topk_softplus_kernel_optIf12hip_bfloat16Li64ELb0ELi0EEEvPKT_PKT0_PfPimiif,comdat
.Lfunc_end90:
	.size	_ZN5aiter24topk_softplus_kernel_optIf12hip_bfloat16Li64ELb0ELi0EEEvPKT_PKT0_PfPimiif, .Lfunc_end90-_ZN5aiter24topk_softplus_kernel_optIf12hip_bfloat16Li64ELb0ELi0EEEvPKT_PKT0_PfPimiif
                                        ; -- End function
	.section	.AMDGPU.csdata,"",@progbits
; Kernel info:
; codeLenInByte = 724
; NumSgprs: 17
; NumVgprs: 13
; NumAgprs: 0
; TotalNumVgprs: 13
; ScratchSize: 0
; MemoryBound: 0
; FloatMode: 240
; IeeeMode: 1
; LDSByteSize: 0 bytes/workgroup (compile time only)
; SGPRBlocks: 2
; VGPRBlocks: 1
; NumSGPRsForWavesPerEU: 17
; NumVGPRsForWavesPerEU: 13
; AccumOffset: 16
; Occupancy: 8
; WaveLimiterHint : 0
; COMPUTE_PGM_RSRC2:SCRATCH_EN: 0
; COMPUTE_PGM_RSRC2:USER_SGPR: 6
; COMPUTE_PGM_RSRC2:TRAP_HANDLER: 0
; COMPUTE_PGM_RSRC2:TGID_X_EN: 1
; COMPUTE_PGM_RSRC2:TGID_Y_EN: 0
; COMPUTE_PGM_RSRC2:TGID_Z_EN: 0
; COMPUTE_PGM_RSRC2:TIDIG_COMP_CNT: 0
; COMPUTE_PGM_RSRC3_GFX90A:ACCUM_OFFSET: 3
; COMPUTE_PGM_RSRC3_GFX90A:TG_SPLIT: 0
	.section	.text._ZN5aiter24topk_softplus_kernel_optIf12hip_bfloat16Li128ELb1ELi0EEEvPKT_PKT0_PfPimiif,"axG",@progbits,_ZN5aiter24topk_softplus_kernel_optIf12hip_bfloat16Li128ELb1ELi0EEEvPKT_PKT0_PfPimiif,comdat
	.protected	_ZN5aiter24topk_softplus_kernel_optIf12hip_bfloat16Li128ELb1ELi0EEEvPKT_PKT0_PfPimiif ; -- Begin function _ZN5aiter24topk_softplus_kernel_optIf12hip_bfloat16Li128ELb1ELi0EEEvPKT_PKT0_PfPimiif
	.globl	_ZN5aiter24topk_softplus_kernel_optIf12hip_bfloat16Li128ELb1ELi0EEEvPKT_PKT0_PfPimiif
	.p2align	8
	.type	_ZN5aiter24topk_softplus_kernel_optIf12hip_bfloat16Li128ELb1ELi0EEEvPKT_PKT0_PfPimiif,@function
_ZN5aiter24topk_softplus_kernel_optIf12hip_bfloat16Li128ELb1ELi0EEEvPKT_PKT0_PfPimiif: ; @_ZN5aiter24topk_softplus_kernel_optIf12hip_bfloat16Li128ELb1ELi0EEEvPKT_PKT0_PfPimiif
; %bb.0:
	s_load_dwordx4 s[8:11], s[4:5], 0x0
	s_lshl_b32 s0, s6, 7
	s_ashr_i32 s1, s0, 31
	s_lshl_b64 s[0:1], s[0:1], 2
	v_lshlrev_b32_e32 v7, 2, v0
	s_waitcnt lgkmcnt(0)
	s_add_u32 s0, s8, s0
	s_addc_u32 s1, s9, s1
	global_load_dword v2, v7, s[0:1]
	s_mov_b32 s12, 0xc2fc0000
	v_mov_b32_e32 v5, 0x42800000
	v_mov_b32_e32 v10, 0x1f800000
	s_mov_b32 s13, 0x800000
	v_mov_b32_e32 v8, 0x4f800000
	v_mov_b32_e32 v9, 0x42000000
	s_mov_b32 s7, 0x41a00000
	s_mov_b32 s14, 0xf800000
	v_mov_b32_e32 v1, 0x260
	s_cmp_lg_u64 s[10:11], 0
	s_cselect_b64 s[8:9], -1, 0
	v_lshlrev_b32_e32 v4, 1, v0
	s_waitcnt vmcnt(0)
	v_mul_f32_e32 v3, 0x3fb8aa3b, v2
	v_cmp_gt_f32_e32 vcc, s12, v3
	v_cndmask_b32_e32 v3, 0, v5, vcc
	v_fmac_f32_e32 v3, 0x3fb8aa3b, v2
	v_exp_f32_e32 v3, v3
	v_cndmask_b32_e32 v6, 1.0, v10, vcc
	v_fma_f32 v3, v3, v6, 1.0
	v_cmp_gt_f32_e32 vcc, s13, v3
	v_cndmask_b32_e32 v6, 1.0, v8, vcc
	v_mul_f32_e32 v3, v3, v6
	v_log_f32_e32 v3, v3
	v_cndmask_b32_e32 v11, 0, v9, vcc
	v_cmp_lt_f32_e32 vcc, s7, v2
	v_mov_b32_e32 v6, s1
	v_sub_f32_e32 v3, v3, v11
	v_mul_f32_e32 v3, 0x3f317218, v3
	v_cndmask_b32_e32 v2, v3, v2, vcc
	v_mul_f32_e32 v3, 0x4f800000, v2
	v_cmp_gt_f32_e32 vcc, s14, v2
	v_cndmask_b32_e32 v11, v2, v3, vcc
	v_sqrt_f32_e32 v12, v11
	v_add_co_u32_e64 v2, s[0:1], s0, v7
	v_addc_co_u32_e64 v3, s[0:1], 0, v6, s[0:1]
	v_add_u32_e32 v6, -1, v12
	v_add_u32_e32 v13, 1, v12
	v_fma_f32 v14, -v6, v12, v11
	v_fma_f32 v15, -v13, v12, v11
	v_cmp_ge_f32_e64 s[2:3], 0, v14
	v_cndmask_b32_e64 v6, v12, v6, s[2:3]
	v_cmp_lt_f32_e64 s[2:3], 0, v15
	v_cndmask_b32_e64 v6, v6, v13, s[2:3]
	v_mul_f32_e32 v12, 0x37800000, v6
	v_cndmask_b32_e32 v6, v6, v12, vcc
	v_cmp_class_f32_e32 vcc, v11, v1
	s_and_b64 s[0:1], exec, s[8:9]
	v_cndmask_b32_e32 v6, v6, v11, vcc
	v_mov_b32_e32 v11, v6
	s_mov_b64 vcc, s[0:1]
	s_cbranch_vccz .LBB91_2
; %bb.1:
	global_load_ushort v11, v4, s[10:11]
	s_waitcnt vmcnt(0)
	v_lshlrev_b32_e32 v11, 16, v11
	v_add_f32_e32 v11, v6, v11
.LBB91_2:
	global_load_dword v2, v[2:3], off offset:256
	s_waitcnt vmcnt(0)
	v_mul_f32_e32 v3, 0x3fb8aa3b, v2
	v_cmp_gt_f32_e32 vcc, s12, v3
	v_cndmask_b32_e32 v5, 0, v5, vcc
	v_fmac_f32_e32 v5, 0x3fb8aa3b, v2
	v_exp_f32_e32 v5, v5
	v_cndmask_b32_e32 v3, 1.0, v10, vcc
	v_fma_f32 v3, v5, v3, 1.0
	v_cmp_gt_f32_e32 vcc, s13, v3
	v_cndmask_b32_e32 v5, 1.0, v8, vcc
	v_mul_f32_e32 v3, v3, v5
	v_log_f32_e32 v3, v3
	v_cndmask_b32_e32 v5, 0, v9, vcc
	v_cmp_lt_f32_e32 vcc, s7, v2
	v_sub_f32_e32 v3, v3, v5
	v_mul_f32_e32 v3, 0x3f317218, v3
	v_cndmask_b32_e32 v2, v3, v2, vcc
	v_mul_f32_e32 v3, 0x4f800000, v2
	v_cmp_gt_f32_e32 vcc, s14, v2
	v_cndmask_b32_e32 v2, v2, v3, vcc
	v_sqrt_f32_e32 v3, v2
	v_add_u32_e32 v5, -1, v3
	v_add_u32_e32 v8, 1, v3
	v_fma_f32 v9, -v5, v3, v2
	v_fma_f32 v10, -v8, v3, v2
	v_cmp_ge_f32_e64 s[0:1], 0, v9
	v_cndmask_b32_e64 v3, v3, v5, s[0:1]
	v_cmp_lt_f32_e64 s[0:1], 0, v10
	v_cndmask_b32_e64 v3, v3, v8, s[0:1]
	v_mul_f32_e32 v5, 0x37800000, v3
	v_cndmask_b32_e32 v3, v3, v5, vcc
	v_cmp_class_f32_e32 vcc, v2, v1
	v_cndmask_b32_e32 v12, v3, v2, vcc
	s_andn2_b64 vcc, exec, s[8:9]
	v_mov_b32_e32 v5, v12
	s_cbranch_vccnz .LBB91_4
; %bb.3:
	global_load_ushort v1, v4, s[10:11] offset:128
	s_waitcnt vmcnt(0)
	v_lshlrev_b32_e32 v1, 16, v1
	v_add_f32_e32 v5, v12, v1
.LBB91_4:
	s_load_dword s2, s[4:5], 0x28
	s_load_dwordx4 s[8:11], s[4:5], 0x10
	v_mov_b32_e32 v10, 0
	v_mov_b32_e32 v8, 0
	;; [unrolled: 1-line block ×3, first 2 shown]
	s_waitcnt lgkmcnt(0)
	s_cmp_gt_i32 s2, 0
	s_cbranch_scc0 .LBB91_7
; %bb.5:
	v_mbcnt_lo_u32_b32 v8, -1, 0
	v_add_u32_e32 v2, 64, v0
	v_cmp_lt_f32_e32 vcc, v11, v5
	v_mbcnt_hi_u32_b32 v8, -1, v8
	v_bfrev_b32_e32 v9, 0.5
	v_cndmask_b32_e32 v1, v2, v0, vcc
	v_cndmask_b32_e32 v2, v0, v2, vcc
	;; [unrolled: 1-line block ×6, first 2 shown]
	v_mov_b32_e32 v10, 0
	v_mov_b32_e32 v11, 0
	;; [unrolled: 1-line block ×3, first 2 shown]
	v_lshl_or_b32 v13, v8, 2, v9
	v_mov_b32_e32 v14, v0
	s_mov_b32 s3, s2
	v_mov_b32_e32 v8, 0
	v_mov_b32_e32 v9, 0
.LBB91_6:                               ; =>This Inner Loop Header: Depth=1
	v_cmp_eq_u32_e32 vcc, 1, v11
	v_cndmask_b32_e32 v15, v4, v3, vcc
	v_cmp_gt_u32_e64 s[0:1], 2, v11
	v_cndmask_b32_e64 v15, v12, v15, s[0:1]
	;;#ASMSTART
	v_max_f32 v19, v15, v15 quad_perm:[1,0,3,2] row_mask:0xf bank_mask:0xf bound_ctrl:1
	;;#ASMEND
	;;#ASMSTART
	v_max_f32 v20, v19, v19 quad_perm:[2,3,0,1] row_mask:0xf bank_mask:0xf bound_ctrl:1
	;;#ASMEND
	;;#ASMSTART
	v_max_f32 v19, v20, v20 row_half_mirror row_mask:0xf bank_mask:0xf bound_ctrl:1
	;;#ASMEND
	;;#ASMSTART
	v_max_f32 v20, v19, v19 row_mirror row_mask:0xf bank_mask:0xf bound_ctrl:1
	;;#ASMEND
	;;#ASMSTART
	v_max_f32 v19, v20, v20 row_ror:4 row_mask:0xf bank_mask:0xf bound_ctrl:1
	;;#ASMEND
	;;#ASMSTART
	v_max_f32 v20, v19, v19 row_ror:8 row_mask:0xf bank_mask:0xf bound_ctrl:1
	;;#ASMEND
	;;#ASMSTART
	v_max_f32 v19, v20, v20 row_bcast:15 row_mask:0xf bank_mask:0xf bound_ctrl:1
	;;#ASMEND
	;;#ASMSTART
	v_max_f32 v20, v19, v19 row_bcast:31 row_mask:0xf bank_mask:0xf bound_ctrl:1
	;;#ASMEND
	ds_bpermute_b32 v19, v13, v20
	v_cndmask_b32_e32 v16, v2, v1, vcc
	v_cndmask_b32_e32 v17, v6, v5, vcc
	v_cndmask_b32_e64 v18, 0, v16, s[0:1]
	s_waitcnt lgkmcnt(0)
	v_cmp_eq_f32_e32 vcc, v15, v19
	s_ff1_i32_b64 s7, vcc
	s_cmp_lg_u64 vcc, 0
	s_cselect_b32 s7, s7, 0
	v_readlane_b32 s7, v18, s7
	v_cmp_eq_u32_e32 vcc, s7, v16
	s_and_b64 vcc, s[0:1], vcc
	s_and_b32 s12, s7, 63
	v_cndmask_b32_e32 v16, 0, v17, vcc
	v_addc_co_u32_e32 v11, vcc, 0, v11, vcc
	v_readlane_b32 s0, v16, s12
	s_add_i32 s3, s3, -1
	v_mov_b32_e32 v15, s7
	v_mov_b32_e32 v16, s0
	v_cmp_eq_u32_e32 vcc, 0, v14
	s_cmp_eq_u32 s3, 0
	v_add_f32_e32 v10, s0, v10
	v_add_u32_e32 v14, -1, v14
	v_cndmask_b32_e32 v9, v9, v16, vcc
	v_cndmask_b32_e32 v8, v8, v15, vcc
	s_cbranch_scc0 .LBB91_6
.LBB91_7:
	v_cmp_gt_i32_e32 vcc, s2, v0
	s_and_saveexec_b64 s[0:1], vcc
	s_cbranch_execz .LBB91_9
; %bb.8:
	s_load_dword s2, s[4:5], 0x30
	v_max_f32_e32 v0, v10, v10
	v_max_f32_e32 v0, 0x1e3ce508, v0
	s_waitcnt lgkmcnt(0)
	v_div_scale_f32 v1, s[0:1], v0, v0, s2
	v_rcp_f32_e32 v2, v1
	v_div_scale_f32 v3, vcc, s2, v0, s2
	s_load_dwordx2 s[0:1], s[4:5], 0x20
	v_fma_f32 v4, -v1, v2, 1.0
	v_fmac_f32_e32 v2, v4, v2
	v_mul_f32_e32 v4, v3, v2
	v_fma_f32 v5, -v1, v4, v3
	v_fmac_f32_e32 v4, v5, v2
	v_fma_f32 v1, -v1, v4, v3
	v_div_fmas_f32 v1, v1, v2, v4
	v_div_fixup_f32 v0, v1, v0, s2
	s_ashr_i32 s2, s6, 31
	s_waitcnt lgkmcnt(0)
	s_mul_i32 s1, s6, s1
	s_mul_hi_u32 s3, s6, s0
	s_add_i32 s1, s3, s1
	s_mul_i32 s2, s2, s0
	s_add_i32 s1, s1, s2
	s_mul_i32 s0, s6, s0
	s_lshl_b64 s[0:1], s[0:1], 2
	s_add_u32 s2, s8, s0
	s_addc_u32 s3, s9, s1
	s_add_u32 s0, s10, s0
	v_mul_f32_e32 v0, v9, v0
	s_addc_u32 s1, s11, s1
	global_store_dword v7, v0, s[2:3]
	global_store_dword v7, v8, s[0:1]
.LBB91_9:
	s_endpgm
	.section	.rodata,"a",@progbits
	.p2align	6, 0x0
	.amdhsa_kernel _ZN5aiter24topk_softplus_kernel_optIf12hip_bfloat16Li128ELb1ELi0EEEvPKT_PKT0_PfPimiif
		.amdhsa_group_segment_fixed_size 0
		.amdhsa_private_segment_fixed_size 0
		.amdhsa_kernarg_size 52
		.amdhsa_user_sgpr_count 6
		.amdhsa_user_sgpr_private_segment_buffer 1
		.amdhsa_user_sgpr_dispatch_ptr 0
		.amdhsa_user_sgpr_queue_ptr 0
		.amdhsa_user_sgpr_kernarg_segment_ptr 1
		.amdhsa_user_sgpr_dispatch_id 0
		.amdhsa_user_sgpr_flat_scratch_init 0
		.amdhsa_user_sgpr_kernarg_preload_length 0
		.amdhsa_user_sgpr_kernarg_preload_offset 0
		.amdhsa_user_sgpr_private_segment_size 0
		.amdhsa_uses_dynamic_stack 0
		.amdhsa_system_sgpr_private_segment_wavefront_offset 0
		.amdhsa_system_sgpr_workgroup_id_x 1
		.amdhsa_system_sgpr_workgroup_id_y 0
		.amdhsa_system_sgpr_workgroup_id_z 0
		.amdhsa_system_sgpr_workgroup_info 0
		.amdhsa_system_vgpr_workitem_id 0
		.amdhsa_next_free_vgpr 21
		.amdhsa_next_free_sgpr 15
		.amdhsa_accum_offset 24
		.amdhsa_reserve_vcc 1
		.amdhsa_reserve_flat_scratch 0
		.amdhsa_float_round_mode_32 0
		.amdhsa_float_round_mode_16_64 0
		.amdhsa_float_denorm_mode_32 3
		.amdhsa_float_denorm_mode_16_64 3
		.amdhsa_dx10_clamp 1
		.amdhsa_ieee_mode 1
		.amdhsa_fp16_overflow 0
		.amdhsa_tg_split 0
		.amdhsa_exception_fp_ieee_invalid_op 0
		.amdhsa_exception_fp_denorm_src 0
		.amdhsa_exception_fp_ieee_div_zero 0
		.amdhsa_exception_fp_ieee_overflow 0
		.amdhsa_exception_fp_ieee_underflow 0
		.amdhsa_exception_fp_ieee_inexact 0
		.amdhsa_exception_int_div_zero 0
	.end_amdhsa_kernel
	.section	.text._ZN5aiter24topk_softplus_kernel_optIf12hip_bfloat16Li128ELb1ELi0EEEvPKT_PKT0_PfPimiif,"axG",@progbits,_ZN5aiter24topk_softplus_kernel_optIf12hip_bfloat16Li128ELb1ELi0EEEvPKT_PKT0_PfPimiif,comdat
.Lfunc_end91:
	.size	_ZN5aiter24topk_softplus_kernel_optIf12hip_bfloat16Li128ELb1ELi0EEEvPKT_PKT0_PfPimiif, .Lfunc_end91-_ZN5aiter24topk_softplus_kernel_optIf12hip_bfloat16Li128ELb1ELi0EEEvPKT_PKT0_PfPimiif
                                        ; -- End function
	.section	.AMDGPU.csdata,"",@progbits
; Kernel info:
; codeLenInByte = 1116
; NumSgprs: 19
; NumVgprs: 21
; NumAgprs: 0
; TotalNumVgprs: 21
; ScratchSize: 0
; MemoryBound: 0
; FloatMode: 240
; IeeeMode: 1
; LDSByteSize: 0 bytes/workgroup (compile time only)
; SGPRBlocks: 2
; VGPRBlocks: 2
; NumSGPRsForWavesPerEU: 19
; NumVGPRsForWavesPerEU: 21
; AccumOffset: 24
; Occupancy: 8
; WaveLimiterHint : 0
; COMPUTE_PGM_RSRC2:SCRATCH_EN: 0
; COMPUTE_PGM_RSRC2:USER_SGPR: 6
; COMPUTE_PGM_RSRC2:TRAP_HANDLER: 0
; COMPUTE_PGM_RSRC2:TGID_X_EN: 1
; COMPUTE_PGM_RSRC2:TGID_Y_EN: 0
; COMPUTE_PGM_RSRC2:TGID_Z_EN: 0
; COMPUTE_PGM_RSRC2:TIDIG_COMP_CNT: 0
; COMPUTE_PGM_RSRC3_GFX90A:ACCUM_OFFSET: 5
; COMPUTE_PGM_RSRC3_GFX90A:TG_SPLIT: 0
	.section	.text._ZN5aiter24topk_softplus_kernel_optIf12hip_bfloat16Li128ELb0ELi0EEEvPKT_PKT0_PfPimiif,"axG",@progbits,_ZN5aiter24topk_softplus_kernel_optIf12hip_bfloat16Li128ELb0ELi0EEEvPKT_PKT0_PfPimiif,comdat
	.protected	_ZN5aiter24topk_softplus_kernel_optIf12hip_bfloat16Li128ELb0ELi0EEEvPKT_PKT0_PfPimiif ; -- Begin function _ZN5aiter24topk_softplus_kernel_optIf12hip_bfloat16Li128ELb0ELi0EEEvPKT_PKT0_PfPimiif
	.globl	_ZN5aiter24topk_softplus_kernel_optIf12hip_bfloat16Li128ELb0ELi0EEEvPKT_PKT0_PfPimiif
	.p2align	8
	.type	_ZN5aiter24topk_softplus_kernel_optIf12hip_bfloat16Li128ELb0ELi0EEEvPKT_PKT0_PfPimiif,@function
_ZN5aiter24topk_softplus_kernel_optIf12hip_bfloat16Li128ELb0ELi0EEEvPKT_PKT0_PfPimiif: ; @_ZN5aiter24topk_softplus_kernel_optIf12hip_bfloat16Li128ELb0ELi0EEEvPKT_PKT0_PfPimiif
; %bb.0:
	s_load_dwordx4 s[8:11], s[4:5], 0x0
	s_lshl_b32 s0, s6, 7
	s_ashr_i32 s1, s0, 31
	s_lshl_b64 s[0:1], s[0:1], 2
	v_lshlrev_b32_e32 v7, 2, v0
	s_waitcnt lgkmcnt(0)
	s_add_u32 s0, s8, s0
	s_addc_u32 s1, s9, s1
	global_load_dword v2, v7, s[0:1]
	s_mov_b32 s12, 0xc2fc0000
	v_mov_b32_e32 v5, 0x42800000
	v_mov_b32_e32 v10, 0x1f800000
	s_mov_b32 s13, 0x800000
	v_mov_b32_e32 v8, 0x4f800000
	v_mov_b32_e32 v9, 0x42000000
	s_mov_b32 s7, 0x41a00000
	s_mov_b32 s14, 0xf800000
	v_mov_b32_e32 v1, 0x260
	s_cmp_lg_u64 s[10:11], 0
	s_cselect_b64 s[8:9], -1, 0
	v_lshlrev_b32_e32 v4, 1, v0
	s_waitcnt vmcnt(0)
	v_mul_f32_e32 v3, 0x3fb8aa3b, v2
	v_cmp_gt_f32_e32 vcc, s12, v3
	v_cndmask_b32_e32 v3, 0, v5, vcc
	v_fmac_f32_e32 v3, 0x3fb8aa3b, v2
	v_exp_f32_e32 v3, v3
	v_cndmask_b32_e32 v6, 1.0, v10, vcc
	v_fma_f32 v3, v3, v6, 1.0
	v_cmp_gt_f32_e32 vcc, s13, v3
	v_cndmask_b32_e32 v6, 1.0, v8, vcc
	v_mul_f32_e32 v3, v3, v6
	v_log_f32_e32 v3, v3
	v_cndmask_b32_e32 v11, 0, v9, vcc
	v_cmp_lt_f32_e32 vcc, s7, v2
	v_mov_b32_e32 v6, s1
	v_sub_f32_e32 v3, v3, v11
	v_mul_f32_e32 v3, 0x3f317218, v3
	v_cndmask_b32_e32 v2, v3, v2, vcc
	v_mul_f32_e32 v3, 0x4f800000, v2
	v_cmp_gt_f32_e32 vcc, s14, v2
	v_cndmask_b32_e32 v11, v2, v3, vcc
	v_sqrt_f32_e32 v12, v11
	v_add_co_u32_e64 v2, s[0:1], s0, v7
	v_addc_co_u32_e64 v3, s[0:1], 0, v6, s[0:1]
	v_add_u32_e32 v6, -1, v12
	v_add_u32_e32 v13, 1, v12
	v_fma_f32 v14, -v6, v12, v11
	v_fma_f32 v15, -v13, v12, v11
	v_cmp_ge_f32_e64 s[2:3], 0, v14
	v_cndmask_b32_e64 v6, v12, v6, s[2:3]
	v_cmp_lt_f32_e64 s[2:3], 0, v15
	v_cndmask_b32_e64 v6, v6, v13, s[2:3]
	v_mul_f32_e32 v12, 0x37800000, v6
	v_cndmask_b32_e32 v6, v6, v12, vcc
	v_cmp_class_f32_e32 vcc, v11, v1
	s_and_b64 s[0:1], exec, s[8:9]
	v_cndmask_b32_e32 v6, v6, v11, vcc
	v_mov_b32_e32 v11, v6
	s_mov_b64 vcc, s[0:1]
	s_cbranch_vccz .LBB92_2
; %bb.1:
	global_load_ushort v11, v4, s[10:11]
	s_waitcnt vmcnt(0)
	v_lshlrev_b32_e32 v11, 16, v11
	v_add_f32_e32 v11, v6, v11
.LBB92_2:
	global_load_dword v2, v[2:3], off offset:256
	s_waitcnt vmcnt(0)
	v_mul_f32_e32 v3, 0x3fb8aa3b, v2
	v_cmp_gt_f32_e32 vcc, s12, v3
	v_cndmask_b32_e32 v5, 0, v5, vcc
	v_fmac_f32_e32 v5, 0x3fb8aa3b, v2
	v_exp_f32_e32 v5, v5
	v_cndmask_b32_e32 v3, 1.0, v10, vcc
	v_fma_f32 v3, v5, v3, 1.0
	v_cmp_gt_f32_e32 vcc, s13, v3
	v_cndmask_b32_e32 v5, 1.0, v8, vcc
	v_mul_f32_e32 v3, v3, v5
	v_log_f32_e32 v3, v3
	v_cndmask_b32_e32 v5, 0, v9, vcc
	v_cmp_lt_f32_e32 vcc, s7, v2
	v_sub_f32_e32 v3, v3, v5
	v_mul_f32_e32 v3, 0x3f317218, v3
	v_cndmask_b32_e32 v2, v3, v2, vcc
	v_mul_f32_e32 v3, 0x4f800000, v2
	v_cmp_gt_f32_e32 vcc, s14, v2
	v_cndmask_b32_e32 v2, v2, v3, vcc
	v_sqrt_f32_e32 v3, v2
	v_add_u32_e32 v5, -1, v3
	v_add_u32_e32 v8, 1, v3
	v_fma_f32 v9, -v5, v3, v2
	v_fma_f32 v10, -v8, v3, v2
	v_cmp_ge_f32_e64 s[0:1], 0, v9
	v_cndmask_b32_e64 v3, v3, v5, s[0:1]
	v_cmp_lt_f32_e64 s[0:1], 0, v10
	v_cndmask_b32_e64 v3, v3, v8, s[0:1]
	v_mul_f32_e32 v5, 0x37800000, v3
	v_cndmask_b32_e32 v3, v3, v5, vcc
	v_cmp_class_f32_e32 vcc, v2, v1
	v_cndmask_b32_e32 v9, v3, v2, vcc
	s_andn2_b64 vcc, exec, s[8:9]
	v_mov_b32_e32 v5, v9
	s_cbranch_vccnz .LBB92_4
; %bb.3:
	global_load_ushort v1, v4, s[10:11] offset:128
	s_waitcnt vmcnt(0)
	v_lshlrev_b32_e32 v1, 16, v1
	v_add_f32_e32 v5, v9, v1
.LBB92_4:
	s_load_dword s2, s[4:5], 0x28
	s_load_dwordx4 s[8:11], s[4:5], 0x10
	v_mov_b32_e32 v8, 0
	s_waitcnt lgkmcnt(0)
	s_cmp_gt_i32 s2, 0
	s_cbranch_scc0 .LBB92_10
; %bb.5:
	v_mbcnt_lo_u32_b32 v8, -1, 0
	v_add_u32_e32 v2, 64, v0
	v_cmp_lt_f32_e32 vcc, v11, v5
	v_mbcnt_hi_u32_b32 v8, -1, v8
	v_bfrev_b32_e32 v12, 0.5
	v_cndmask_b32_e32 v1, v2, v0, vcc
	v_cndmask_b32_e32 v2, v0, v2, vcc
	;; [unrolled: 1-line block ×6, first 2 shown]
	v_mov_b32_e32 v10, 0
	v_mov_b32_e32 v9, 0
	;; [unrolled: 1-line block ×3, first 2 shown]
	v_lshl_or_b32 v12, v8, 2, v12
	v_mov_b32_e32 v13, v0
	s_mov_b32 s3, s2
	v_mov_b32_e32 v8, 0
.LBB92_6:                               ; =>This Inner Loop Header: Depth=1
	v_cmp_eq_u32_e32 vcc, 1, v10
	v_cndmask_b32_e32 v14, v4, v3, vcc
	v_cmp_gt_u32_e64 s[0:1], 2, v10
	v_cndmask_b32_e64 v14, v11, v14, s[0:1]
	;;#ASMSTART
	v_max_f32 v18, v14, v14 quad_perm:[1,0,3,2] row_mask:0xf bank_mask:0xf bound_ctrl:1
	;;#ASMEND
	;;#ASMSTART
	v_max_f32 v19, v18, v18 quad_perm:[2,3,0,1] row_mask:0xf bank_mask:0xf bound_ctrl:1
	;;#ASMEND
	;;#ASMSTART
	v_max_f32 v18, v19, v19 row_half_mirror row_mask:0xf bank_mask:0xf bound_ctrl:1
	;;#ASMEND
	;;#ASMSTART
	v_max_f32 v19, v18, v18 row_mirror row_mask:0xf bank_mask:0xf bound_ctrl:1
	;;#ASMEND
	;;#ASMSTART
	v_max_f32 v18, v19, v19 row_ror:4 row_mask:0xf bank_mask:0xf bound_ctrl:1
	;;#ASMEND
	;;#ASMSTART
	v_max_f32 v19, v18, v18 row_ror:8 row_mask:0xf bank_mask:0xf bound_ctrl:1
	;;#ASMEND
	;;#ASMSTART
	v_max_f32 v18, v19, v19 row_bcast:15 row_mask:0xf bank_mask:0xf bound_ctrl:1
	;;#ASMEND
	;;#ASMSTART
	v_max_f32 v19, v18, v18 row_bcast:31 row_mask:0xf bank_mask:0xf bound_ctrl:1
	;;#ASMEND
	ds_bpermute_b32 v18, v12, v19
	v_cndmask_b32_e32 v15, v2, v1, vcc
	v_cndmask_b32_e32 v16, v6, v5, vcc
	v_cndmask_b32_e64 v17, 0, v15, s[0:1]
	s_waitcnt lgkmcnt(0)
	v_cmp_eq_f32_e32 vcc, v14, v18
	s_ff1_i32_b64 s7, vcc
	s_cmp_lg_u64 vcc, 0
	s_cselect_b32 s7, s7, 0
	v_readlane_b32 s7, v17, s7
	v_cmp_eq_u32_e32 vcc, s7, v15
	s_and_b64 vcc, s[0:1], vcc
	s_and_b32 s12, s7, 63
	v_cndmask_b32_e32 v15, 0, v16, vcc
	v_addc_co_u32_e32 v10, vcc, 0, v10, vcc
	v_readlane_b32 s0, v15, s12
	s_add_i32 s3, s3, -1
	v_mov_b32_e32 v14, s7
	v_mov_b32_e32 v15, s0
	v_cmp_eq_u32_e32 vcc, 0, v13
	s_cmp_eq_u32 s3, 0
	v_add_u32_e32 v13, -1, v13
	v_cndmask_b32_e32 v9, v9, v15, vcc
	v_cndmask_b32_e32 v8, v8, v14, vcc
	s_cbranch_scc0 .LBB92_6
; %bb.7:
	v_cmp_gt_i32_e32 vcc, s2, v0
	s_and_saveexec_b64 s[0:1], vcc
	s_cbranch_execz .LBB92_9
.LBB92_8:
	s_load_dword s2, s[4:5], 0x30
	s_load_dwordx2 s[0:1], s[4:5], 0x20
	s_ashr_i32 s3, s6, 31
	s_waitcnt lgkmcnt(0)
	v_mul_f32_e32 v0, s2, v9
	s_mul_i32 s1, s6, s1
	s_mul_hi_u32 s2, s6, s0
	s_add_i32 s1, s2, s1
	s_mul_i32 s3, s3, s0
	s_add_i32 s1, s1, s3
	s_mul_i32 s0, s6, s0
	s_lshl_b64 s[0:1], s[0:1], 2
	s_add_u32 s2, s8, s0
	s_addc_u32 s3, s9, s1
	s_add_u32 s0, s10, s0
	s_addc_u32 s1, s11, s1
	global_store_dword v7, v0, s[2:3]
	global_store_dword v7, v8, s[0:1]
.LBB92_9:
	s_endpgm
.LBB92_10:
	v_mov_b32_e32 v9, 0
	v_cmp_gt_i32_e32 vcc, s2, v0
	s_and_saveexec_b64 s[0:1], vcc
	s_cbranch_execnz .LBB92_8
	s_branch .LBB92_9
	.section	.rodata,"a",@progbits
	.p2align	6, 0x0
	.amdhsa_kernel _ZN5aiter24topk_softplus_kernel_optIf12hip_bfloat16Li128ELb0ELi0EEEvPKT_PKT0_PfPimiif
		.amdhsa_group_segment_fixed_size 0
		.amdhsa_private_segment_fixed_size 0
		.amdhsa_kernarg_size 52
		.amdhsa_user_sgpr_count 6
		.amdhsa_user_sgpr_private_segment_buffer 1
		.amdhsa_user_sgpr_dispatch_ptr 0
		.amdhsa_user_sgpr_queue_ptr 0
		.amdhsa_user_sgpr_kernarg_segment_ptr 1
		.amdhsa_user_sgpr_dispatch_id 0
		.amdhsa_user_sgpr_flat_scratch_init 0
		.amdhsa_user_sgpr_kernarg_preload_length 0
		.amdhsa_user_sgpr_kernarg_preload_offset 0
		.amdhsa_user_sgpr_private_segment_size 0
		.amdhsa_uses_dynamic_stack 0
		.amdhsa_system_sgpr_private_segment_wavefront_offset 0
		.amdhsa_system_sgpr_workgroup_id_x 1
		.amdhsa_system_sgpr_workgroup_id_y 0
		.amdhsa_system_sgpr_workgroup_id_z 0
		.amdhsa_system_sgpr_workgroup_info 0
		.amdhsa_system_vgpr_workitem_id 0
		.amdhsa_next_free_vgpr 20
		.amdhsa_next_free_sgpr 15
		.amdhsa_accum_offset 20
		.amdhsa_reserve_vcc 1
		.amdhsa_reserve_flat_scratch 0
		.amdhsa_float_round_mode_32 0
		.amdhsa_float_round_mode_16_64 0
		.amdhsa_float_denorm_mode_32 3
		.amdhsa_float_denorm_mode_16_64 3
		.amdhsa_dx10_clamp 1
		.amdhsa_ieee_mode 1
		.amdhsa_fp16_overflow 0
		.amdhsa_tg_split 0
		.amdhsa_exception_fp_ieee_invalid_op 0
		.amdhsa_exception_fp_denorm_src 0
		.amdhsa_exception_fp_ieee_div_zero 0
		.amdhsa_exception_fp_ieee_overflow 0
		.amdhsa_exception_fp_ieee_underflow 0
		.amdhsa_exception_fp_ieee_inexact 0
		.amdhsa_exception_int_div_zero 0
	.end_amdhsa_kernel
	.section	.text._ZN5aiter24topk_softplus_kernel_optIf12hip_bfloat16Li128ELb0ELi0EEEvPKT_PKT0_PfPimiif,"axG",@progbits,_ZN5aiter24topk_softplus_kernel_optIf12hip_bfloat16Li128ELb0ELi0EEEvPKT_PKT0_PfPimiif,comdat
.Lfunc_end92:
	.size	_ZN5aiter24topk_softplus_kernel_optIf12hip_bfloat16Li128ELb0ELi0EEEvPKT_PKT0_PfPimiif, .Lfunc_end92-_ZN5aiter24topk_softplus_kernel_optIf12hip_bfloat16Li128ELb0ELi0EEEvPKT_PKT0_PfPimiif
                                        ; -- End function
	.section	.AMDGPU.csdata,"",@progbits
; Kernel info:
; codeLenInByte = 1032
; NumSgprs: 19
; NumVgprs: 20
; NumAgprs: 0
; TotalNumVgprs: 20
; ScratchSize: 0
; MemoryBound: 0
; FloatMode: 240
; IeeeMode: 1
; LDSByteSize: 0 bytes/workgroup (compile time only)
; SGPRBlocks: 2
; VGPRBlocks: 2
; NumSGPRsForWavesPerEU: 19
; NumVGPRsForWavesPerEU: 20
; AccumOffset: 20
; Occupancy: 8
; WaveLimiterHint : 0
; COMPUTE_PGM_RSRC2:SCRATCH_EN: 0
; COMPUTE_PGM_RSRC2:USER_SGPR: 6
; COMPUTE_PGM_RSRC2:TRAP_HANDLER: 0
; COMPUTE_PGM_RSRC2:TGID_X_EN: 1
; COMPUTE_PGM_RSRC2:TGID_Y_EN: 0
; COMPUTE_PGM_RSRC2:TGID_Z_EN: 0
; COMPUTE_PGM_RSRC2:TIDIG_COMP_CNT: 0
; COMPUTE_PGM_RSRC3_GFX90A:ACCUM_OFFSET: 4
; COMPUTE_PGM_RSRC3_GFX90A:TG_SPLIT: 0
	.section	.text._ZN5aiter24topk_softplus_kernel_optIf12hip_bfloat16Li256ELb1ELi0EEEvPKT_PKT0_PfPimiif,"axG",@progbits,_ZN5aiter24topk_softplus_kernel_optIf12hip_bfloat16Li256ELb1ELi0EEEvPKT_PKT0_PfPimiif,comdat
	.protected	_ZN5aiter24topk_softplus_kernel_optIf12hip_bfloat16Li256ELb1ELi0EEEvPKT_PKT0_PfPimiif ; -- Begin function _ZN5aiter24topk_softplus_kernel_optIf12hip_bfloat16Li256ELb1ELi0EEEvPKT_PKT0_PfPimiif
	.globl	_ZN5aiter24topk_softplus_kernel_optIf12hip_bfloat16Li256ELb1ELi0EEEvPKT_PKT0_PfPimiif
	.p2align	8
	.type	_ZN5aiter24topk_softplus_kernel_optIf12hip_bfloat16Li256ELb1ELi0EEEvPKT_PKT0_PfPimiif,@function
_ZN5aiter24topk_softplus_kernel_optIf12hip_bfloat16Li256ELb1ELi0EEEvPKT_PKT0_PfPimiif: ; @_ZN5aiter24topk_softplus_kernel_optIf12hip_bfloat16Li256ELb1ELi0EEEvPKT_PKT0_PfPimiif
; %bb.0:
	s_load_dwordx4 s[8:11], s[4:5], 0x0
	s_lshl_b32 s0, s6, 8
	s_ashr_i32 s1, s0, 31
	s_lshl_b64 s[0:1], s[0:1], 2
	v_lshlrev_b32_e32 v13, 2, v0
	s_waitcnt lgkmcnt(0)
	s_add_u32 s0, s8, s0
	s_addc_u32 s1, s9, s1
	global_load_dword v2, v13, s[0:1]
	s_mov_b32 s12, 0xc2fc0000
	v_mov_b32_e32 v7, 0x42800000
	v_mov_b32_e32 v10, 0x1f800000
	s_mov_b32 s13, 0x800000
	v_mov_b32_e32 v8, 0x4f800000
	v_mov_b32_e32 v9, 0x42000000
	s_mov_b32 s7, 0x41a00000
	s_mov_b32 s14, 0xf800000
	v_mov_b32_e32 v3, 0x260
	s_cmp_lg_u64 s[10:11], 0
	s_cselect_b64 s[8:9], -1, 0
	s_waitcnt vmcnt(0)
	v_mul_f32_e32 v1, 0x3fb8aa3b, v2
	v_cmp_gt_f32_e32 vcc, s12, v1
	v_cndmask_b32_e32 v1, 0, v7, vcc
	v_fmac_f32_e32 v1, 0x3fb8aa3b, v2
	v_exp_f32_e32 v4, v1
	v_cndmask_b32_e32 v5, 1.0, v10, vcc
	v_lshlrev_b32_e32 v1, 1, v0
	v_fma_f32 v4, v4, v5, 1.0
	v_cmp_gt_f32_e32 vcc, s13, v4
	v_cndmask_b32_e32 v5, 1.0, v8, vcc
	v_mul_f32_e32 v4, v4, v5
	v_log_f32_e32 v4, v4
	v_cndmask_b32_e32 v6, 0, v9, vcc
	v_cmp_lt_f32_e32 vcc, s7, v2
	v_mov_b32_e32 v5, s1
	v_sub_f32_e32 v4, v4, v6
	v_mul_f32_e32 v4, 0x3f317218, v4
	v_cndmask_b32_e32 v2, v4, v2, vcc
	v_mul_f32_e32 v4, 0x4f800000, v2
	v_cmp_gt_f32_e32 vcc, s14, v2
	v_cndmask_b32_e32 v2, v2, v4, vcc
	v_sqrt_f32_e32 v6, v2
	v_add_co_u32_e64 v4, s[0:1], s0, v13
	v_addc_co_u32_e64 v5, s[0:1], 0, v5, s[0:1]
	v_add_u32_e32 v11, -1, v6
	v_add_u32_e32 v12, 1, v6
	v_fma_f32 v14, -v11, v6, v2
	v_fma_f32 v15, -v12, v6, v2
	v_cmp_ge_f32_e64 s[2:3], 0, v14
	v_cndmask_b32_e64 v6, v6, v11, s[2:3]
	v_cmp_lt_f32_e64 s[2:3], 0, v15
	v_cndmask_b32_e64 v6, v6, v12, s[2:3]
	v_mul_f32_e32 v11, 0x37800000, v6
	v_cndmask_b32_e32 v6, v6, v11, vcc
	v_cmp_class_f32_e32 vcc, v2, v3
	s_and_b64 s[0:1], exec, s[8:9]
	v_cndmask_b32_e32 v2, v6, v2, vcc
	v_mov_b32_e32 v6, v2
	s_mov_b64 vcc, s[0:1]
	s_cbranch_vccz .LBB93_2
; %bb.1:
	global_load_ushort v6, v1, s[10:11]
	s_waitcnt vmcnt(0)
	v_lshlrev_b32_e32 v6, 16, v6
	v_add_f32_e32 v6, v2, v6
.LBB93_2:
	global_load_dword v11, v[4:5], off offset:256
	s_waitcnt vmcnt(0)
	v_mul_f32_e32 v12, 0x3fb8aa3b, v11
	v_cmp_gt_f32_e32 vcc, s12, v12
	v_cndmask_b32_e32 v7, 0, v7, vcc
	v_fmac_f32_e32 v7, 0x3fb8aa3b, v11
	v_exp_f32_e32 v7, v7
	v_cndmask_b32_e32 v10, 1.0, v10, vcc
	v_fma_f32 v7, v7, v10, 1.0
	v_cmp_gt_f32_e32 vcc, s13, v7
	v_cndmask_b32_e32 v8, 1.0, v8, vcc
	v_mul_f32_e32 v7, v7, v8
	v_log_f32_e32 v7, v7
	v_cndmask_b32_e32 v8, 0, v9, vcc
	v_cmp_lt_f32_e32 vcc, s7, v11
	v_cndmask_b32_e64 v9, 0, 1, s[8:9]
	v_sub_f32_e32 v7, v7, v8
	v_mul_f32_e32 v7, 0x3f317218, v7
	v_cndmask_b32_e32 v7, v7, v11, vcc
	v_mul_f32_e32 v8, 0x4f800000, v7
	v_cmp_gt_f32_e32 vcc, s14, v7
	v_cndmask_b32_e32 v7, v7, v8, vcc
	v_sqrt_f32_e32 v8, v7
	v_cmp_ne_u32_e64 s[0:1], 1, v9
	v_add_u32_e32 v9, -1, v8
	v_add_u32_e32 v10, 1, v8
	v_fma_f32 v11, -v9, v8, v7
	v_fma_f32 v12, -v10, v8, v7
	v_cmp_ge_f32_e64 s[2:3], 0, v11
	v_cndmask_b32_e64 v8, v8, v9, s[2:3]
	v_cmp_lt_f32_e64 s[2:3], 0, v12
	v_cndmask_b32_e64 v8, v8, v10, s[2:3]
	v_mul_f32_e32 v9, 0x37800000, v8
	v_cndmask_b32_e32 v8, v8, v9, vcc
	v_cmp_class_f32_e32 vcc, v7, v3
	v_cndmask_b32_e32 v9, v8, v7, vcc
	s_andn2_b64 vcc, exec, s[8:9]
	v_mov_b32_e32 v8, v9
	s_cbranch_vccnz .LBB93_4
; %bb.3:
	global_load_ushort v3, v1, s[10:11] offset:128
	s_waitcnt vmcnt(0)
	v_lshlrev_b32_e32 v3, 16, v3
	v_add_f32_e32 v8, v9, v3
.LBB93_4:
	global_load_dword v10, v[4:5], off offset:512
	s_mov_b32 s9, 0xc2fc0000
	v_mov_b32_e32 v11, 0x42800000
	v_mov_b32_e32 v3, 0x1f800000
	s_mov_b32 s12, 0x800000
	v_mov_b32_e32 v15, 0x4f800000
	s_mov_b32 s8, 0xf800000
	s_waitcnt vmcnt(0)
	v_mul_f32_e32 v7, 0x3fb8aa3b, v10
	v_cmp_gt_f32_e32 vcc, s9, v7
	v_cndmask_b32_e32 v12, 0, v11, vcc
	v_fmac_f32_e32 v12, 0x3fb8aa3b, v10
	v_exp_f32_e32 v12, v12
	v_cndmask_b32_e32 v7, 1.0, v3, vcc
	v_fma_f32 v7, v12, v7, 1.0
	v_cmp_gt_f32_e32 vcc, s12, v7
	v_cndmask_b32_e32 v12, 1.0, v15, vcc
	v_mul_f32_e32 v7, v7, v12
	v_log_f32_e32 v12, v7
	v_mov_b32_e32 v7, 0x42000000
	v_cndmask_b32_e32 v14, 0, v7, vcc
	v_cmp_lt_f32_e32 vcc, s7, v10
	v_sub_f32_e32 v12, v12, v14
	v_mul_f32_e32 v12, 0x3f317218, v12
	v_cndmask_b32_e32 v10, v12, v10, vcc
	v_mul_f32_e32 v12, 0x4f800000, v10
	v_cmp_gt_f32_e32 vcc, s8, v10
	v_cndmask_b32_e32 v10, v10, v12, vcc
	v_sqrt_f32_e32 v12, v10
	v_mov_b32_e32 v14, 0x260
	v_add_u32_e32 v16, -1, v12
	v_add_u32_e32 v17, 1, v12
	v_fma_f32 v18, -v16, v12, v10
	v_fma_f32 v19, -v17, v12, v10
	v_cmp_ge_f32_e64 s[2:3], 0, v18
	v_cndmask_b32_e64 v12, v12, v16, s[2:3]
	v_cmp_lt_f32_e64 s[2:3], 0, v19
	v_cndmask_b32_e64 v12, v12, v17, s[2:3]
	v_mul_f32_e32 v16, 0x37800000, v12
	v_cndmask_b32_e32 v12, v12, v16, vcc
	v_cmp_class_f32_e32 vcc, v10, v14
	v_cndmask_b32_e32 v12, v12, v10, vcc
	s_and_b64 vcc, exec, s[0:1]
	v_mov_b32_e32 v10, v12
	s_cbranch_vccnz .LBB93_6
; %bb.5:
	global_load_ushort v10, v1, s[10:11] offset:256
	s_waitcnt vmcnt(0)
	v_lshlrev_b32_e32 v10, 16, v10
	v_add_f32_e32 v10, v12, v10
.LBB93_6:
	global_load_dword v4, v[4:5], off offset:768
	s_waitcnt vmcnt(0)
	v_mul_f32_e32 v5, 0x3fb8aa3b, v4
	v_cmp_gt_f32_e32 vcc, s9, v5
	v_cndmask_b32_e32 v5, 0, v11, vcc
	v_fmac_f32_e32 v5, 0x3fb8aa3b, v4
	v_exp_f32_e32 v5, v5
	v_cndmask_b32_e32 v3, 1.0, v3, vcc
	v_fma_f32 v3, v5, v3, 1.0
	v_cmp_gt_f32_e32 vcc, s12, v3
	v_cndmask_b32_e32 v5, 1.0, v15, vcc
	v_mul_f32_e32 v3, v3, v5
	v_log_f32_e32 v3, v3
	v_cndmask_b32_e32 v5, 0, v7, vcc
	v_cmp_lt_f32_e32 vcc, s7, v4
	v_sub_f32_e32 v3, v3, v5
	v_mul_f32_e32 v3, 0x3f317218, v3
	v_cndmask_b32_e32 v3, v3, v4, vcc
	v_mul_f32_e32 v4, 0x4f800000, v3
	v_cmp_gt_f32_e32 vcc, s8, v3
	v_cndmask_b32_e32 v3, v3, v4, vcc
	v_sqrt_f32_e32 v4, v3
	v_add_u32_e32 v5, -1, v4
	v_add_u32_e32 v7, 1, v4
	v_fma_f32 v11, -v5, v4, v3
	v_fma_f32 v15, -v7, v4, v3
	v_cmp_ge_f32_e64 s[2:3], 0, v11
	v_cndmask_b32_e64 v4, v4, v5, s[2:3]
	v_cmp_lt_f32_e64 s[2:3], 0, v15
	v_cndmask_b32_e64 v4, v4, v7, s[2:3]
	v_mul_f32_e32 v5, 0x37800000, v4
	v_cndmask_b32_e32 v4, v4, v5, vcc
	v_cmp_class_f32_e32 vcc, v3, v14
	v_cndmask_b32_e32 v3, v4, v3, vcc
	s_and_b64 vcc, exec, s[0:1]
	v_mov_b32_e32 v5, v3
	s_cbranch_vccnz .LBB93_8
; %bb.7:
	global_load_ushort v1, v1, s[10:11] offset:384
	s_waitcnt vmcnt(0)
	v_lshlrev_b32_e32 v1, 16, v1
	v_add_f32_e32 v5, v3, v1
.LBB93_8:
	v_add_u32_e32 v4, 64, v0
	v_cmp_lt_f32_e32 vcc, v6, v8
	v_add_u32_e32 v16, 0x80, v0
	v_add_u32_e32 v7, 0xc0, v0
	v_cndmask_b32_e32 v11, v9, v2, vcc
	v_cndmask_b32_e32 v2, v2, v9, vcc
	;; [unrolled: 1-line block ×6, first 2 shown]
	v_cmp_lt_f32_e32 vcc, v10, v5
	v_mov_b32_e32 v8, v10
	s_and_saveexec_b64 s[0:1], vcc
	s_xor_b64 s[0:1], exec, s[0:1]
; %bb.9:
	v_mov_b32_e32 v8, v12
	v_mov_b32_e32 v15, v10
	;; [unrolled: 1-line block ×4, first 2 shown]
	v_swap_b32 v12, v3
	v_swap_b32 v16, v7
	v_mov_b32_e32 v8, v5
	v_mov_b32_e32 v5, v15
; %bb.10:
	s_or_b64 exec, exec, s[0:1]
	v_cmp_lt_f32_e32 vcc, v6, v10
	v_cndmask_b32_e32 v14, v12, v2, vcc
	v_cndmask_b32_e32 v2, v2, v12, vcc
	;; [unrolled: 1-line block ×6, first 2 shown]
	v_cmp_lt_f32_e32 vcc, v9, v5
	v_mov_b32_e32 v17, v9
	s_and_saveexec_b64 s[0:1], vcc
; %bb.11:
	v_mov_b32_e32 v16, v9
	v_mov_b32_e32 v8, v11
	;; [unrolled: 1-line block ×4, first 2 shown]
	v_swap_b32 v11, v3
	v_swap_b32 v1, v7
	v_mov_b32_e32 v17, v5
	v_mov_b32_e32 v5, v16
; %bb.12:
	s_or_b64 exec, exec, s[0:1]
	s_load_dword s2, s[4:5], 0x28
	s_load_dwordx4 s[8:11], s[4:5], 0x10
	v_mov_b32_e32 v16, 0
	s_waitcnt lgkmcnt(0)
	s_cmp_lt_i32 s2, 1
	s_cbranch_scc1 .LBB93_18
; %bb.13:
	v_cmp_lt_f32_e32 vcc, v9, v12
	v_cndmask_b32_e32 v10, v12, v9, vcc
	v_cndmask_b32_e32 v9, v17, v12, vcc
	;; [unrolled: 1-line block ×4, first 2 shown]
	v_mbcnt_lo_u32_b32 v14, -1, 0
	v_cndmask_b32_e32 v8, v15, v1, vcc
	v_cndmask_b32_e32 v1, v1, v15, vcc
	v_mbcnt_hi_u32_b32 v14, -1, v14
	v_bfrev_b32_e32 v15, 0.5
	v_mov_b32_e32 v16, 0
	v_mov_b32_e32 v17, 0
	;; [unrolled: 1-line block ×3, first 2 shown]
	v_lshl_or_b32 v19, v14, 2, v15
	v_mov_b32_e32 v20, v0
	s_mov_b32 s3, s2
	v_mov_b32_e32 v14, 0
	v_mov_b32_e32 v15, 0
.LBB93_14:                              ; =>This Inner Loop Header: Depth=1
	v_cmp_eq_u32_e32 vcc, 1, v17
	v_cndmask_b32_e32 v21, v6, v9, vcc
	v_cmp_eq_u32_e64 s[0:1], 2, v17
	v_cndmask_b32_e64 v21, v21, v10, s[0:1]
	v_cndmask_b32_e32 v22, v4, v1, vcc
	v_cndmask_b32_e32 v23, v2, v11, vcc
	v_cmp_eq_u32_e32 vcc, 3, v17
	v_cndmask_b32_e32 v21, v21, v5, vcc
	v_cndmask_b32_e64 v22, v22, v8, s[0:1]
	v_cndmask_b32_e64 v23, v23, v12, s[0:1]
	v_cmp_gt_u32_e64 s[0:1], 4, v17
	v_cndmask_b32_e64 v21, v18, v21, s[0:1]
	;;#ASMSTART
	v_max_f32 v25, v21, v21 quad_perm:[1,0,3,2] row_mask:0xf bank_mask:0xf bound_ctrl:1
	;;#ASMEND
	;;#ASMSTART
	v_max_f32 v26, v25, v25 quad_perm:[2,3,0,1] row_mask:0xf bank_mask:0xf bound_ctrl:1
	;;#ASMEND
	;;#ASMSTART
	v_max_f32 v25, v26, v26 row_half_mirror row_mask:0xf bank_mask:0xf bound_ctrl:1
	;;#ASMEND
	;;#ASMSTART
	v_max_f32 v26, v25, v25 row_mirror row_mask:0xf bank_mask:0xf bound_ctrl:1
	;;#ASMEND
	;;#ASMSTART
	v_max_f32 v25, v26, v26 row_ror:4 row_mask:0xf bank_mask:0xf bound_ctrl:1
	;;#ASMEND
	;;#ASMSTART
	v_max_f32 v26, v25, v25 row_ror:8 row_mask:0xf bank_mask:0xf bound_ctrl:1
	;;#ASMEND
	;;#ASMSTART
	v_max_f32 v25, v26, v26 row_bcast:15 row_mask:0xf bank_mask:0xf bound_ctrl:1
	;;#ASMEND
	;;#ASMSTART
	v_max_f32 v26, v25, v25 row_bcast:31 row_mask:0xf bank_mask:0xf bound_ctrl:1
	;;#ASMEND
	ds_bpermute_b32 v25, v19, v26
	v_cndmask_b32_e32 v22, v22, v7, vcc
	v_cndmask_b32_e32 v23, v23, v3, vcc
	v_cndmask_b32_e64 v24, 0, v22, s[0:1]
	s_waitcnt lgkmcnt(0)
	v_cmp_eq_f32_e32 vcc, v21, v25
	s_ff1_i32_b64 s7, vcc
	s_cmp_lg_u64 vcc, 0
	s_cselect_b32 s7, s7, 0
	v_readlane_b32 s7, v24, s7
	v_cmp_eq_u32_e32 vcc, s7, v22
	s_and_b64 vcc, s[0:1], vcc
	s_and_b32 s12, s7, 63
	v_cndmask_b32_e32 v22, 0, v23, vcc
	v_addc_co_u32_e32 v17, vcc, 0, v17, vcc
	v_readlane_b32 s0, v22, s12
	s_add_i32 s3, s3, -1
	v_mov_b32_e32 v21, s7
	v_mov_b32_e32 v22, s0
	v_cmp_eq_u32_e32 vcc, 0, v20
	s_cmp_eq_u32 s3, 0
	v_add_f32_e32 v16, s0, v16
	v_add_u32_e32 v20, -1, v20
	v_cndmask_b32_e32 v15, v15, v22, vcc
	v_cndmask_b32_e32 v14, v14, v21, vcc
	s_cbranch_scc0 .LBB93_14
; %bb.15:
	v_cmp_gt_i32_e32 vcc, s2, v0
	s_and_saveexec_b64 s[0:1], vcc
	s_cbranch_execz .LBB93_17
.LBB93_16:
	s_load_dword s2, s[4:5], 0x30
	v_max_f32_e32 v0, v16, v16
	v_max_f32_e32 v0, 0x1e3ce508, v0
	s_waitcnt lgkmcnt(0)
	v_div_scale_f32 v1, s[0:1], v0, v0, s2
	v_rcp_f32_e32 v2, v1
	v_div_scale_f32 v3, vcc, s2, v0, s2
	s_load_dwordx2 s[0:1], s[4:5], 0x20
	v_fma_f32 v4, -v1, v2, 1.0
	v_fmac_f32_e32 v2, v4, v2
	v_mul_f32_e32 v4, v3, v2
	v_fma_f32 v5, -v1, v4, v3
	v_fmac_f32_e32 v4, v5, v2
	v_fma_f32 v1, -v1, v4, v3
	v_div_fmas_f32 v1, v1, v2, v4
	v_div_fixup_f32 v0, v1, v0, s2
	s_ashr_i32 s2, s6, 31
	s_waitcnt lgkmcnt(0)
	s_mul_i32 s1, s6, s1
	s_mul_hi_u32 s3, s6, s0
	s_add_i32 s1, s3, s1
	s_mul_i32 s2, s2, s0
	s_add_i32 s1, s1, s2
	s_mul_i32 s0, s6, s0
	s_lshl_b64 s[0:1], s[0:1], 2
	s_add_u32 s2, s8, s0
	s_addc_u32 s3, s9, s1
	s_add_u32 s0, s10, s0
	v_mul_f32_e32 v0, v15, v0
	s_addc_u32 s1, s11, s1
	global_store_dword v13, v0, s[2:3]
	global_store_dword v13, v14, s[0:1]
.LBB93_17:
	s_endpgm
.LBB93_18:
	v_mov_b32_e32 v14, 0
	v_mov_b32_e32 v15, 0
	v_cmp_gt_i32_e32 vcc, s2, v0
	s_and_saveexec_b64 s[0:1], vcc
	s_cbranch_execnz .LBB93_16
	s_branch .LBB93_17
	.section	.rodata,"a",@progbits
	.p2align	6, 0x0
	.amdhsa_kernel _ZN5aiter24topk_softplus_kernel_optIf12hip_bfloat16Li256ELb1ELi0EEEvPKT_PKT0_PfPimiif
		.amdhsa_group_segment_fixed_size 0
		.amdhsa_private_segment_fixed_size 0
		.amdhsa_kernarg_size 52
		.amdhsa_user_sgpr_count 6
		.amdhsa_user_sgpr_private_segment_buffer 1
		.amdhsa_user_sgpr_dispatch_ptr 0
		.amdhsa_user_sgpr_queue_ptr 0
		.amdhsa_user_sgpr_kernarg_segment_ptr 1
		.amdhsa_user_sgpr_dispatch_id 0
		.amdhsa_user_sgpr_flat_scratch_init 0
		.amdhsa_user_sgpr_kernarg_preload_length 0
		.amdhsa_user_sgpr_kernarg_preload_offset 0
		.amdhsa_user_sgpr_private_segment_size 0
		.amdhsa_uses_dynamic_stack 0
		.amdhsa_system_sgpr_private_segment_wavefront_offset 0
		.amdhsa_system_sgpr_workgroup_id_x 1
		.amdhsa_system_sgpr_workgroup_id_y 0
		.amdhsa_system_sgpr_workgroup_id_z 0
		.amdhsa_system_sgpr_workgroup_info 0
		.amdhsa_system_vgpr_workitem_id 0
		.amdhsa_next_free_vgpr 27
		.amdhsa_next_free_sgpr 15
		.amdhsa_accum_offset 28
		.amdhsa_reserve_vcc 1
		.amdhsa_reserve_flat_scratch 0
		.amdhsa_float_round_mode_32 0
		.amdhsa_float_round_mode_16_64 0
		.amdhsa_float_denorm_mode_32 3
		.amdhsa_float_denorm_mode_16_64 3
		.amdhsa_dx10_clamp 1
		.amdhsa_ieee_mode 1
		.amdhsa_fp16_overflow 0
		.amdhsa_tg_split 0
		.amdhsa_exception_fp_ieee_invalid_op 0
		.amdhsa_exception_fp_denorm_src 0
		.amdhsa_exception_fp_ieee_div_zero 0
		.amdhsa_exception_fp_ieee_overflow 0
		.amdhsa_exception_fp_ieee_underflow 0
		.amdhsa_exception_fp_ieee_inexact 0
		.amdhsa_exception_int_div_zero 0
	.end_amdhsa_kernel
	.section	.text._ZN5aiter24topk_softplus_kernel_optIf12hip_bfloat16Li256ELb1ELi0EEEvPKT_PKT0_PfPimiif,"axG",@progbits,_ZN5aiter24topk_softplus_kernel_optIf12hip_bfloat16Li256ELb1ELi0EEEvPKT_PKT0_PfPimiif,comdat
.Lfunc_end93:
	.size	_ZN5aiter24topk_softplus_kernel_optIf12hip_bfloat16Li256ELb1ELi0EEEvPKT_PKT0_PfPimiif, .Lfunc_end93-_ZN5aiter24topk_softplus_kernel_optIf12hip_bfloat16Li256ELb1ELi0EEEvPKT_PKT0_PfPimiif
                                        ; -- End function
	.section	.AMDGPU.csdata,"",@progbits
; Kernel info:
; codeLenInByte = 1872
; NumSgprs: 19
; NumVgprs: 27
; NumAgprs: 0
; TotalNumVgprs: 27
; ScratchSize: 0
; MemoryBound: 0
; FloatMode: 240
; IeeeMode: 1
; LDSByteSize: 0 bytes/workgroup (compile time only)
; SGPRBlocks: 2
; VGPRBlocks: 3
; NumSGPRsForWavesPerEU: 19
; NumVGPRsForWavesPerEU: 27
; AccumOffset: 28
; Occupancy: 8
; WaveLimiterHint : 0
; COMPUTE_PGM_RSRC2:SCRATCH_EN: 0
; COMPUTE_PGM_RSRC2:USER_SGPR: 6
; COMPUTE_PGM_RSRC2:TRAP_HANDLER: 0
; COMPUTE_PGM_RSRC2:TGID_X_EN: 1
; COMPUTE_PGM_RSRC2:TGID_Y_EN: 0
; COMPUTE_PGM_RSRC2:TGID_Z_EN: 0
; COMPUTE_PGM_RSRC2:TIDIG_COMP_CNT: 0
; COMPUTE_PGM_RSRC3_GFX90A:ACCUM_OFFSET: 6
; COMPUTE_PGM_RSRC3_GFX90A:TG_SPLIT: 0
	.section	.text._ZN5aiter24topk_softplus_kernel_optIf12hip_bfloat16Li256ELb0ELi0EEEvPKT_PKT0_PfPimiif,"axG",@progbits,_ZN5aiter24topk_softplus_kernel_optIf12hip_bfloat16Li256ELb0ELi0EEEvPKT_PKT0_PfPimiif,comdat
	.protected	_ZN5aiter24topk_softplus_kernel_optIf12hip_bfloat16Li256ELb0ELi0EEEvPKT_PKT0_PfPimiif ; -- Begin function _ZN5aiter24topk_softplus_kernel_optIf12hip_bfloat16Li256ELb0ELi0EEEvPKT_PKT0_PfPimiif
	.globl	_ZN5aiter24topk_softplus_kernel_optIf12hip_bfloat16Li256ELb0ELi0EEEvPKT_PKT0_PfPimiif
	.p2align	8
	.type	_ZN5aiter24topk_softplus_kernel_optIf12hip_bfloat16Li256ELb0ELi0EEEvPKT_PKT0_PfPimiif,@function
_ZN5aiter24topk_softplus_kernel_optIf12hip_bfloat16Li256ELb0ELi0EEEvPKT_PKT0_PfPimiif: ; @_ZN5aiter24topk_softplus_kernel_optIf12hip_bfloat16Li256ELb0ELi0EEEvPKT_PKT0_PfPimiif
; %bb.0:
	s_load_dwordx4 s[8:11], s[4:5], 0x0
	s_lshl_b32 s0, s6, 8
	s_ashr_i32 s1, s0, 31
	s_lshl_b64 s[0:1], s[0:1], 2
	v_lshlrev_b32_e32 v13, 2, v0
	s_waitcnt lgkmcnt(0)
	s_add_u32 s0, s8, s0
	s_addc_u32 s1, s9, s1
	global_load_dword v2, v13, s[0:1]
	s_mov_b32 s12, 0xc2fc0000
	v_mov_b32_e32 v7, 0x42800000
	v_mov_b32_e32 v10, 0x1f800000
	s_mov_b32 s13, 0x800000
	v_mov_b32_e32 v8, 0x4f800000
	v_mov_b32_e32 v9, 0x42000000
	s_mov_b32 s7, 0x41a00000
	s_mov_b32 s14, 0xf800000
	v_mov_b32_e32 v3, 0x260
	s_cmp_lg_u64 s[10:11], 0
	s_cselect_b64 s[8:9], -1, 0
	s_waitcnt vmcnt(0)
	v_mul_f32_e32 v1, 0x3fb8aa3b, v2
	v_cmp_gt_f32_e32 vcc, s12, v1
	v_cndmask_b32_e32 v1, 0, v7, vcc
	v_fmac_f32_e32 v1, 0x3fb8aa3b, v2
	v_exp_f32_e32 v4, v1
	v_cndmask_b32_e32 v5, 1.0, v10, vcc
	v_lshlrev_b32_e32 v1, 1, v0
	v_fma_f32 v4, v4, v5, 1.0
	v_cmp_gt_f32_e32 vcc, s13, v4
	v_cndmask_b32_e32 v5, 1.0, v8, vcc
	v_mul_f32_e32 v4, v4, v5
	v_log_f32_e32 v4, v4
	v_cndmask_b32_e32 v6, 0, v9, vcc
	v_cmp_lt_f32_e32 vcc, s7, v2
	v_mov_b32_e32 v5, s1
	v_sub_f32_e32 v4, v4, v6
	v_mul_f32_e32 v4, 0x3f317218, v4
	v_cndmask_b32_e32 v2, v4, v2, vcc
	v_mul_f32_e32 v4, 0x4f800000, v2
	v_cmp_gt_f32_e32 vcc, s14, v2
	v_cndmask_b32_e32 v2, v2, v4, vcc
	v_sqrt_f32_e32 v6, v2
	v_add_co_u32_e64 v4, s[0:1], s0, v13
	v_addc_co_u32_e64 v5, s[0:1], 0, v5, s[0:1]
	v_add_u32_e32 v11, -1, v6
	v_add_u32_e32 v12, 1, v6
	v_fma_f32 v14, -v11, v6, v2
	v_fma_f32 v15, -v12, v6, v2
	v_cmp_ge_f32_e64 s[2:3], 0, v14
	v_cndmask_b32_e64 v6, v6, v11, s[2:3]
	v_cmp_lt_f32_e64 s[2:3], 0, v15
	v_cndmask_b32_e64 v6, v6, v12, s[2:3]
	v_mul_f32_e32 v11, 0x37800000, v6
	v_cndmask_b32_e32 v6, v6, v11, vcc
	v_cmp_class_f32_e32 vcc, v2, v3
	s_and_b64 s[0:1], exec, s[8:9]
	v_cndmask_b32_e32 v2, v6, v2, vcc
	v_mov_b32_e32 v6, v2
	s_mov_b64 vcc, s[0:1]
	s_cbranch_vccz .LBB94_2
; %bb.1:
	global_load_ushort v6, v1, s[10:11]
	s_waitcnt vmcnt(0)
	v_lshlrev_b32_e32 v6, 16, v6
	v_add_f32_e32 v6, v2, v6
.LBB94_2:
	global_load_dword v11, v[4:5], off offset:256
	s_waitcnt vmcnt(0)
	v_mul_f32_e32 v12, 0x3fb8aa3b, v11
	v_cmp_gt_f32_e32 vcc, s12, v12
	v_cndmask_b32_e32 v7, 0, v7, vcc
	v_fmac_f32_e32 v7, 0x3fb8aa3b, v11
	v_exp_f32_e32 v7, v7
	v_cndmask_b32_e32 v10, 1.0, v10, vcc
	v_fma_f32 v7, v7, v10, 1.0
	v_cmp_gt_f32_e32 vcc, s13, v7
	v_cndmask_b32_e32 v8, 1.0, v8, vcc
	v_mul_f32_e32 v7, v7, v8
	v_log_f32_e32 v7, v7
	v_cndmask_b32_e32 v8, 0, v9, vcc
	v_cmp_lt_f32_e32 vcc, s7, v11
	v_cndmask_b32_e64 v9, 0, 1, s[8:9]
	v_sub_f32_e32 v7, v7, v8
	v_mul_f32_e32 v7, 0x3f317218, v7
	v_cndmask_b32_e32 v7, v7, v11, vcc
	v_mul_f32_e32 v8, 0x4f800000, v7
	v_cmp_gt_f32_e32 vcc, s14, v7
	v_cndmask_b32_e32 v7, v7, v8, vcc
	v_sqrt_f32_e32 v8, v7
	v_cmp_ne_u32_e64 s[0:1], 1, v9
	v_add_u32_e32 v9, -1, v8
	v_add_u32_e32 v10, 1, v8
	v_fma_f32 v11, -v9, v8, v7
	v_fma_f32 v12, -v10, v8, v7
	v_cmp_ge_f32_e64 s[2:3], 0, v11
	v_cndmask_b32_e64 v8, v8, v9, s[2:3]
	v_cmp_lt_f32_e64 s[2:3], 0, v12
	v_cndmask_b32_e64 v8, v8, v10, s[2:3]
	v_mul_f32_e32 v9, 0x37800000, v8
	v_cndmask_b32_e32 v8, v8, v9, vcc
	v_cmp_class_f32_e32 vcc, v7, v3
	v_cndmask_b32_e32 v9, v8, v7, vcc
	s_andn2_b64 vcc, exec, s[8:9]
	v_mov_b32_e32 v8, v9
	s_cbranch_vccnz .LBB94_4
; %bb.3:
	global_load_ushort v3, v1, s[10:11] offset:128
	s_waitcnt vmcnt(0)
	v_lshlrev_b32_e32 v3, 16, v3
	v_add_f32_e32 v8, v9, v3
.LBB94_4:
	global_load_dword v10, v[4:5], off offset:512
	s_mov_b32 s9, 0xc2fc0000
	v_mov_b32_e32 v11, 0x42800000
	v_mov_b32_e32 v3, 0x1f800000
	s_mov_b32 s12, 0x800000
	v_mov_b32_e32 v15, 0x4f800000
	s_mov_b32 s8, 0xf800000
	s_waitcnt vmcnt(0)
	v_mul_f32_e32 v7, 0x3fb8aa3b, v10
	v_cmp_gt_f32_e32 vcc, s9, v7
	v_cndmask_b32_e32 v12, 0, v11, vcc
	v_fmac_f32_e32 v12, 0x3fb8aa3b, v10
	v_exp_f32_e32 v12, v12
	v_cndmask_b32_e32 v7, 1.0, v3, vcc
	v_fma_f32 v7, v12, v7, 1.0
	v_cmp_gt_f32_e32 vcc, s12, v7
	v_cndmask_b32_e32 v12, 1.0, v15, vcc
	v_mul_f32_e32 v7, v7, v12
	v_log_f32_e32 v12, v7
	v_mov_b32_e32 v7, 0x42000000
	v_cndmask_b32_e32 v14, 0, v7, vcc
	v_cmp_lt_f32_e32 vcc, s7, v10
	v_sub_f32_e32 v12, v12, v14
	v_mul_f32_e32 v12, 0x3f317218, v12
	v_cndmask_b32_e32 v10, v12, v10, vcc
	v_mul_f32_e32 v12, 0x4f800000, v10
	v_cmp_gt_f32_e32 vcc, s8, v10
	v_cndmask_b32_e32 v10, v10, v12, vcc
	v_sqrt_f32_e32 v12, v10
	v_mov_b32_e32 v14, 0x260
	v_add_u32_e32 v16, -1, v12
	v_add_u32_e32 v17, 1, v12
	v_fma_f32 v18, -v16, v12, v10
	v_fma_f32 v19, -v17, v12, v10
	v_cmp_ge_f32_e64 s[2:3], 0, v18
	v_cndmask_b32_e64 v12, v12, v16, s[2:3]
	v_cmp_lt_f32_e64 s[2:3], 0, v19
	v_cndmask_b32_e64 v12, v12, v17, s[2:3]
	v_mul_f32_e32 v16, 0x37800000, v12
	v_cndmask_b32_e32 v12, v12, v16, vcc
	v_cmp_class_f32_e32 vcc, v10, v14
	v_cndmask_b32_e32 v12, v12, v10, vcc
	s_and_b64 vcc, exec, s[0:1]
	v_mov_b32_e32 v10, v12
	s_cbranch_vccnz .LBB94_6
; %bb.5:
	global_load_ushort v10, v1, s[10:11] offset:256
	s_waitcnt vmcnt(0)
	v_lshlrev_b32_e32 v10, 16, v10
	v_add_f32_e32 v10, v12, v10
.LBB94_6:
	global_load_dword v4, v[4:5], off offset:768
	s_waitcnt vmcnt(0)
	v_mul_f32_e32 v5, 0x3fb8aa3b, v4
	v_cmp_gt_f32_e32 vcc, s9, v5
	v_cndmask_b32_e32 v5, 0, v11, vcc
	v_fmac_f32_e32 v5, 0x3fb8aa3b, v4
	v_exp_f32_e32 v5, v5
	v_cndmask_b32_e32 v3, 1.0, v3, vcc
	v_fma_f32 v3, v5, v3, 1.0
	v_cmp_gt_f32_e32 vcc, s12, v3
	v_cndmask_b32_e32 v5, 1.0, v15, vcc
	v_mul_f32_e32 v3, v3, v5
	v_log_f32_e32 v3, v3
	v_cndmask_b32_e32 v5, 0, v7, vcc
	v_cmp_lt_f32_e32 vcc, s7, v4
	v_sub_f32_e32 v3, v3, v5
	v_mul_f32_e32 v3, 0x3f317218, v3
	v_cndmask_b32_e32 v3, v3, v4, vcc
	v_mul_f32_e32 v4, 0x4f800000, v3
	v_cmp_gt_f32_e32 vcc, s8, v3
	v_cndmask_b32_e32 v3, v3, v4, vcc
	v_sqrt_f32_e32 v4, v3
	v_add_u32_e32 v5, -1, v4
	v_add_u32_e32 v7, 1, v4
	v_fma_f32 v11, -v5, v4, v3
	v_fma_f32 v15, -v7, v4, v3
	v_cmp_ge_f32_e64 s[2:3], 0, v11
	v_cndmask_b32_e64 v4, v4, v5, s[2:3]
	v_cmp_lt_f32_e64 s[2:3], 0, v15
	v_cndmask_b32_e64 v4, v4, v7, s[2:3]
	v_mul_f32_e32 v5, 0x37800000, v4
	v_cndmask_b32_e32 v4, v4, v5, vcc
	v_cmp_class_f32_e32 vcc, v3, v14
	v_cndmask_b32_e32 v3, v4, v3, vcc
	s_and_b64 vcc, exec, s[0:1]
	v_mov_b32_e32 v5, v3
	s_cbranch_vccnz .LBB94_8
; %bb.7:
	global_load_ushort v1, v1, s[10:11] offset:384
	s_waitcnt vmcnt(0)
	v_lshlrev_b32_e32 v1, 16, v1
	v_add_f32_e32 v5, v3, v1
.LBB94_8:
	v_add_u32_e32 v4, 64, v0
	v_cmp_lt_f32_e32 vcc, v6, v8
	v_add_u32_e32 v16, 0x80, v0
	v_add_u32_e32 v7, 0xc0, v0
	v_cndmask_b32_e32 v11, v9, v2, vcc
	v_cndmask_b32_e32 v2, v2, v9, vcc
	;; [unrolled: 1-line block ×6, first 2 shown]
	v_cmp_lt_f32_e32 vcc, v10, v5
	v_mov_b32_e32 v8, v10
	s_and_saveexec_b64 s[0:1], vcc
	s_xor_b64 s[0:1], exec, s[0:1]
; %bb.9:
	v_mov_b32_e32 v8, v12
	v_mov_b32_e32 v15, v10
	;; [unrolled: 1-line block ×4, first 2 shown]
	v_swap_b32 v12, v3
	v_swap_b32 v16, v7
	v_mov_b32_e32 v8, v5
	v_mov_b32_e32 v5, v15
; %bb.10:
	s_or_b64 exec, exec, s[0:1]
	v_cmp_lt_f32_e32 vcc, v6, v10
	v_cndmask_b32_e32 v14, v12, v2, vcc
	v_cndmask_b32_e32 v2, v2, v12, vcc
	;; [unrolled: 1-line block ×6, first 2 shown]
	v_cmp_lt_f32_e32 vcc, v9, v5
	v_mov_b32_e32 v16, v9
	s_and_saveexec_b64 s[0:1], vcc
; %bb.11:
	v_mov_b32_e32 v17, v9
	v_mov_b32_e32 v8, v11
	;; [unrolled: 1-line block ×4, first 2 shown]
	v_swap_b32 v11, v3
	v_swap_b32 v1, v7
	v_mov_b32_e32 v16, v5
	v_mov_b32_e32 v5, v17
; %bb.12:
	s_or_b64 exec, exec, s[0:1]
	s_load_dword s2, s[4:5], 0x28
	s_load_dwordx4 s[8:11], s[4:5], 0x10
	s_waitcnt lgkmcnt(0)
	s_cmp_lt_i32 s2, 1
	s_cbranch_scc1 .LBB94_18
; %bb.13:
	v_cmp_lt_f32_e32 vcc, v9, v12
	v_cndmask_b32_e32 v10, v12, v9, vcc
	v_cndmask_b32_e32 v9, v16, v12, vcc
	;; [unrolled: 1-line block ×4, first 2 shown]
	v_mbcnt_lo_u32_b32 v14, -1, 0
	v_mbcnt_hi_u32_b32 v14, -1, v14
	v_bfrev_b32_e32 v18, 0.5
	v_cndmask_b32_e32 v8, v15, v1, vcc
	v_cndmask_b32_e32 v1, v1, v15, vcc
	v_mov_b32_e32 v16, 0
	v_mov_b32_e32 v15, 0
	;; [unrolled: 1-line block ×3, first 2 shown]
	v_lshl_or_b32 v18, v14, 2, v18
	v_mov_b32_e32 v19, v0
	s_mov_b32 s3, s2
	v_mov_b32_e32 v14, 0
.LBB94_14:                              ; =>This Inner Loop Header: Depth=1
	v_cmp_eq_u32_e32 vcc, 1, v16
	v_cndmask_b32_e32 v20, v6, v9, vcc
	v_cmp_eq_u32_e64 s[0:1], 2, v16
	v_cndmask_b32_e64 v20, v20, v10, s[0:1]
	v_cndmask_b32_e32 v21, v4, v1, vcc
	v_cndmask_b32_e32 v22, v2, v11, vcc
	v_cmp_eq_u32_e32 vcc, 3, v16
	v_cndmask_b32_e32 v20, v20, v5, vcc
	v_cndmask_b32_e64 v21, v21, v8, s[0:1]
	v_cndmask_b32_e64 v22, v22, v12, s[0:1]
	v_cmp_gt_u32_e64 s[0:1], 4, v16
	v_cndmask_b32_e64 v20, v17, v20, s[0:1]
	;;#ASMSTART
	v_max_f32 v24, v20, v20 quad_perm:[1,0,3,2] row_mask:0xf bank_mask:0xf bound_ctrl:1
	;;#ASMEND
	;;#ASMSTART
	v_max_f32 v25, v24, v24 quad_perm:[2,3,0,1] row_mask:0xf bank_mask:0xf bound_ctrl:1
	;;#ASMEND
	;;#ASMSTART
	v_max_f32 v24, v25, v25 row_half_mirror row_mask:0xf bank_mask:0xf bound_ctrl:1
	;;#ASMEND
	;;#ASMSTART
	v_max_f32 v25, v24, v24 row_mirror row_mask:0xf bank_mask:0xf bound_ctrl:1
	;;#ASMEND
	;;#ASMSTART
	v_max_f32 v24, v25, v25 row_ror:4 row_mask:0xf bank_mask:0xf bound_ctrl:1
	;;#ASMEND
	;;#ASMSTART
	v_max_f32 v25, v24, v24 row_ror:8 row_mask:0xf bank_mask:0xf bound_ctrl:1
	;;#ASMEND
	;;#ASMSTART
	v_max_f32 v24, v25, v25 row_bcast:15 row_mask:0xf bank_mask:0xf bound_ctrl:1
	;;#ASMEND
	;;#ASMSTART
	v_max_f32 v25, v24, v24 row_bcast:31 row_mask:0xf bank_mask:0xf bound_ctrl:1
	;;#ASMEND
	ds_bpermute_b32 v24, v18, v25
	v_cndmask_b32_e32 v21, v21, v7, vcc
	v_cndmask_b32_e32 v22, v22, v3, vcc
	v_cndmask_b32_e64 v23, 0, v21, s[0:1]
	s_waitcnt lgkmcnt(0)
	v_cmp_eq_f32_e32 vcc, v20, v24
	s_ff1_i32_b64 s7, vcc
	s_cmp_lg_u64 vcc, 0
	s_cselect_b32 s7, s7, 0
	v_readlane_b32 s7, v23, s7
	v_cmp_eq_u32_e32 vcc, s7, v21
	s_and_b64 vcc, s[0:1], vcc
	s_and_b32 s12, s7, 63
	v_cndmask_b32_e32 v21, 0, v22, vcc
	v_addc_co_u32_e32 v16, vcc, 0, v16, vcc
	v_readlane_b32 s0, v21, s12
	s_add_i32 s3, s3, -1
	v_mov_b32_e32 v20, s7
	v_mov_b32_e32 v21, s0
	v_cmp_eq_u32_e32 vcc, 0, v19
	s_cmp_eq_u32 s3, 0
	v_add_u32_e32 v19, -1, v19
	v_cndmask_b32_e32 v15, v15, v21, vcc
	v_cndmask_b32_e32 v14, v14, v20, vcc
	s_cbranch_scc0 .LBB94_14
; %bb.15:
	v_cmp_gt_i32_e32 vcc, s2, v0
	s_and_saveexec_b64 s[0:1], vcc
	s_cbranch_execz .LBB94_17
.LBB94_16:
	s_load_dword s2, s[4:5], 0x30
	s_load_dwordx2 s[0:1], s[4:5], 0x20
	s_ashr_i32 s3, s6, 31
	s_waitcnt lgkmcnt(0)
	v_mul_f32_e32 v0, s2, v15
	s_mul_i32 s1, s6, s1
	s_mul_hi_u32 s2, s6, s0
	s_add_i32 s1, s2, s1
	s_mul_i32 s3, s3, s0
	s_add_i32 s1, s1, s3
	s_mul_i32 s0, s6, s0
	s_lshl_b64 s[0:1], s[0:1], 2
	s_add_u32 s2, s8, s0
	s_addc_u32 s3, s9, s1
	s_add_u32 s0, s10, s0
	s_addc_u32 s1, s11, s1
	global_store_dword v13, v0, s[2:3]
	global_store_dword v13, v14, s[0:1]
.LBB94_17:
	s_endpgm
.LBB94_18:
	v_mov_b32_e32 v14, 0
	v_mov_b32_e32 v15, 0
	v_cmp_gt_i32_e32 vcc, s2, v0
	s_and_saveexec_b64 s[0:1], vcc
	s_cbranch_execnz .LBB94_16
	s_branch .LBB94_17
	.section	.rodata,"a",@progbits
	.p2align	6, 0x0
	.amdhsa_kernel _ZN5aiter24topk_softplus_kernel_optIf12hip_bfloat16Li256ELb0ELi0EEEvPKT_PKT0_PfPimiif
		.amdhsa_group_segment_fixed_size 0
		.amdhsa_private_segment_fixed_size 0
		.amdhsa_kernarg_size 52
		.amdhsa_user_sgpr_count 6
		.amdhsa_user_sgpr_private_segment_buffer 1
		.amdhsa_user_sgpr_dispatch_ptr 0
		.amdhsa_user_sgpr_queue_ptr 0
		.amdhsa_user_sgpr_kernarg_segment_ptr 1
		.amdhsa_user_sgpr_dispatch_id 0
		.amdhsa_user_sgpr_flat_scratch_init 0
		.amdhsa_user_sgpr_kernarg_preload_length 0
		.amdhsa_user_sgpr_kernarg_preload_offset 0
		.amdhsa_user_sgpr_private_segment_size 0
		.amdhsa_uses_dynamic_stack 0
		.amdhsa_system_sgpr_private_segment_wavefront_offset 0
		.amdhsa_system_sgpr_workgroup_id_x 1
		.amdhsa_system_sgpr_workgroup_id_y 0
		.amdhsa_system_sgpr_workgroup_id_z 0
		.amdhsa_system_sgpr_workgroup_info 0
		.amdhsa_system_vgpr_workitem_id 0
		.amdhsa_next_free_vgpr 26
		.amdhsa_next_free_sgpr 15
		.amdhsa_accum_offset 28
		.amdhsa_reserve_vcc 1
		.amdhsa_reserve_flat_scratch 0
		.amdhsa_float_round_mode_32 0
		.amdhsa_float_round_mode_16_64 0
		.amdhsa_float_denorm_mode_32 3
		.amdhsa_float_denorm_mode_16_64 3
		.amdhsa_dx10_clamp 1
		.amdhsa_ieee_mode 1
		.amdhsa_fp16_overflow 0
		.amdhsa_tg_split 0
		.amdhsa_exception_fp_ieee_invalid_op 0
		.amdhsa_exception_fp_denorm_src 0
		.amdhsa_exception_fp_ieee_div_zero 0
		.amdhsa_exception_fp_ieee_overflow 0
		.amdhsa_exception_fp_ieee_underflow 0
		.amdhsa_exception_fp_ieee_inexact 0
		.amdhsa_exception_int_div_zero 0
	.end_amdhsa_kernel
	.section	.text._ZN5aiter24topk_softplus_kernel_optIf12hip_bfloat16Li256ELb0ELi0EEEvPKT_PKT0_PfPimiif,"axG",@progbits,_ZN5aiter24topk_softplus_kernel_optIf12hip_bfloat16Li256ELb0ELi0EEEvPKT_PKT0_PfPimiif,comdat
.Lfunc_end94:
	.size	_ZN5aiter24topk_softplus_kernel_optIf12hip_bfloat16Li256ELb0ELi0EEEvPKT_PKT0_PfPimiif, .Lfunc_end94-_ZN5aiter24topk_softplus_kernel_optIf12hip_bfloat16Li256ELb0ELi0EEEvPKT_PKT0_PfPimiif
                                        ; -- End function
	.section	.AMDGPU.csdata,"",@progbits
; Kernel info:
; codeLenInByte = 1772
; NumSgprs: 19
; NumVgprs: 26
; NumAgprs: 0
; TotalNumVgprs: 26
; ScratchSize: 0
; MemoryBound: 0
; FloatMode: 240
; IeeeMode: 1
; LDSByteSize: 0 bytes/workgroup (compile time only)
; SGPRBlocks: 2
; VGPRBlocks: 3
; NumSGPRsForWavesPerEU: 19
; NumVGPRsForWavesPerEU: 26
; AccumOffset: 28
; Occupancy: 8
; WaveLimiterHint : 0
; COMPUTE_PGM_RSRC2:SCRATCH_EN: 0
; COMPUTE_PGM_RSRC2:USER_SGPR: 6
; COMPUTE_PGM_RSRC2:TRAP_HANDLER: 0
; COMPUTE_PGM_RSRC2:TGID_X_EN: 1
; COMPUTE_PGM_RSRC2:TGID_Y_EN: 0
; COMPUTE_PGM_RSRC2:TGID_Z_EN: 0
; COMPUTE_PGM_RSRC2:TIDIG_COMP_CNT: 0
; COMPUTE_PGM_RSRC3_GFX90A:ACCUM_OFFSET: 6
; COMPUTE_PGM_RSRC3_GFX90A:TG_SPLIT: 0
	.section	.text._ZN5aiter24topk_softplus_kernel_optIf12hip_bfloat16Li384ELb1ELi0EEEvPKT_PKT0_PfPimiif,"axG",@progbits,_ZN5aiter24topk_softplus_kernel_optIf12hip_bfloat16Li384ELb1ELi0EEEvPKT_PKT0_PfPimiif,comdat
	.protected	_ZN5aiter24topk_softplus_kernel_optIf12hip_bfloat16Li384ELb1ELi0EEEvPKT_PKT0_PfPimiif ; -- Begin function _ZN5aiter24topk_softplus_kernel_optIf12hip_bfloat16Li384ELb1ELi0EEEvPKT_PKT0_PfPimiif
	.globl	_ZN5aiter24topk_softplus_kernel_optIf12hip_bfloat16Li384ELb1ELi0EEEvPKT_PKT0_PfPimiif
	.p2align	8
	.type	_ZN5aiter24topk_softplus_kernel_optIf12hip_bfloat16Li384ELb1ELi0EEEvPKT_PKT0_PfPimiif,@function
_ZN5aiter24topk_softplus_kernel_optIf12hip_bfloat16Li384ELb1ELi0EEEvPKT_PKT0_PfPimiif: ; @_ZN5aiter24topk_softplus_kernel_optIf12hip_bfloat16Li384ELb1ELi0EEEvPKT_PKT0_PfPimiif
; %bb.0:
	s_load_dwordx4 s[8:11], s[4:5], 0x0
	s_mul_i32 s0, s6, 0x180
	s_ashr_i32 s1, s0, 31
	s_lshl_b64 s[0:1], s[0:1], 2
	v_lshlrev_b32_e32 v19, 2, v0
	s_waitcnt lgkmcnt(0)
	s_add_u32 s0, s8, s0
	s_addc_u32 s1, s9, s1
	global_load_dword v2, v19, s[0:1]
	s_mov_b32 s12, 0xc2fc0000
	v_mov_b32_e32 v7, 0x42800000
	v_mov_b32_e32 v10, 0x1f800000
	s_mov_b32 s13, 0x800000
	v_mov_b32_e32 v8, 0x4f800000
	v_mov_b32_e32 v9, 0x42000000
	s_mov_b32 s7, 0x41a00000
	s_mov_b32 s14, 0xf800000
	v_mov_b32_e32 v6, 0x260
	s_cmp_lg_u64 s[10:11], 0
	s_cselect_b64 s[8:9], -1, 0
	s_waitcnt vmcnt(0)
	v_mul_f32_e32 v1, 0x3fb8aa3b, v2
	v_cmp_gt_f32_e32 vcc, s12, v1
	v_cndmask_b32_e32 v1, 0, v7, vcc
	v_fmac_f32_e32 v1, 0x3fb8aa3b, v2
	v_exp_f32_e32 v3, v1
	v_cndmask_b32_e32 v4, 1.0, v10, vcc
	v_lshlrev_b32_e32 v1, 1, v0
	v_fma_f32 v3, v3, v4, 1.0
	v_cmp_gt_f32_e32 vcc, s13, v3
	v_cndmask_b32_e32 v4, 1.0, v8, vcc
	v_mul_f32_e32 v3, v3, v4
	v_log_f32_e32 v3, v3
	v_cndmask_b32_e32 v5, 0, v9, vcc
	v_cmp_lt_f32_e32 vcc, s7, v2
	v_mov_b32_e32 v4, s1
	v_sub_f32_e32 v3, v3, v5
	v_mul_f32_e32 v3, 0x3f317218, v3
	v_cndmask_b32_e32 v2, v3, v2, vcc
	v_mul_f32_e32 v3, 0x4f800000, v2
	v_cmp_gt_f32_e32 vcc, s14, v2
	v_cndmask_b32_e32 v5, v2, v3, vcc
	v_sqrt_f32_e32 v11, v5
	v_add_co_u32_e64 v2, s[0:1], s0, v19
	v_addc_co_u32_e64 v3, s[0:1], 0, v4, s[0:1]
	v_add_u32_e32 v4, -1, v11
	v_add_u32_e32 v12, 1, v11
	v_fma_f32 v13, -v4, v11, v5
	v_fma_f32 v14, -v12, v11, v5
	v_cmp_ge_f32_e64 s[2:3], 0, v13
	v_cndmask_b32_e64 v4, v11, v4, s[2:3]
	v_cmp_lt_f32_e64 s[2:3], 0, v14
	v_cndmask_b32_e64 v4, v4, v12, s[2:3]
	v_mul_f32_e32 v11, 0x37800000, v4
	v_cndmask_b32_e32 v4, v4, v11, vcc
	v_cmp_class_f32_e32 vcc, v5, v6
	s_and_b64 s[0:1], exec, s[8:9]
	v_cndmask_b32_e32 v4, v4, v5, vcc
	v_mov_b32_e32 v5, v4
	s_mov_b64 vcc, s[0:1]
	s_cbranch_vccz .LBB95_2
; %bb.1:
	global_load_ushort v5, v1, s[10:11]
	s_waitcnt vmcnt(0)
	v_lshlrev_b32_e32 v5, 16, v5
	v_add_f32_e32 v5, v4, v5
.LBB95_2:
	global_load_dword v11, v[2:3], off offset:256
	s_waitcnt vmcnt(0)
	v_mul_f32_e32 v12, 0x3fb8aa3b, v11
	v_cmp_gt_f32_e32 vcc, s12, v12
	v_cndmask_b32_e32 v7, 0, v7, vcc
	v_fmac_f32_e32 v7, 0x3fb8aa3b, v11
	v_exp_f32_e32 v7, v7
	v_cndmask_b32_e32 v10, 1.0, v10, vcc
	v_fma_f32 v7, v7, v10, 1.0
	v_cmp_gt_f32_e32 vcc, s13, v7
	v_cndmask_b32_e32 v8, 1.0, v8, vcc
	v_mul_f32_e32 v7, v7, v8
	v_log_f32_e32 v7, v7
	v_cndmask_b32_e32 v8, 0, v9, vcc
	v_cmp_lt_f32_e32 vcc, s7, v11
	v_cndmask_b32_e64 v9, 0, 1, s[8:9]
	v_sub_f32_e32 v7, v7, v8
	v_mul_f32_e32 v7, 0x3f317218, v7
	v_cndmask_b32_e32 v7, v7, v11, vcc
	v_mul_f32_e32 v8, 0x4f800000, v7
	v_cmp_gt_f32_e32 vcc, s14, v7
	v_cndmask_b32_e32 v7, v7, v8, vcc
	v_sqrt_f32_e32 v8, v7
	v_cmp_ne_u32_e64 s[0:1], 1, v9
	v_add_u32_e32 v9, -1, v8
	v_add_u32_e32 v10, 1, v8
	v_fma_f32 v11, -v9, v8, v7
	v_fma_f32 v12, -v10, v8, v7
	v_cmp_ge_f32_e64 s[2:3], 0, v11
	v_cndmask_b32_e64 v8, v8, v9, s[2:3]
	v_cmp_lt_f32_e64 s[2:3], 0, v12
	v_cndmask_b32_e64 v8, v8, v10, s[2:3]
	v_mul_f32_e32 v9, 0x37800000, v8
	v_cndmask_b32_e32 v8, v8, v9, vcc
	v_cmp_class_f32_e32 vcc, v7, v6
	v_cndmask_b32_e32 v6, v8, v7, vcc
	s_andn2_b64 vcc, exec, s[8:9]
	v_mov_b32_e32 v7, v6
	s_cbranch_vccnz .LBB95_4
; %bb.3:
	global_load_ushort v7, v1, s[10:11] offset:128
	s_waitcnt vmcnt(0)
	v_lshlrev_b32_e32 v7, 16, v7
	v_add_f32_e32 v7, v6, v7
.LBB95_4:
	global_load_dword v8, v[2:3], off offset:512
	s_mov_b32 s9, 0xc2fc0000
	v_mov_b32_e32 v12, 0x42800000
	v_mov_b32_e32 v10, 0x1f800000
	s_mov_b32 s12, 0x800000
	v_mov_b32_e32 v14, 0x4f800000
	s_mov_b32 s8, 0xf800000
	s_waitcnt vmcnt(0)
	v_mul_f32_e32 v9, 0x3fb8aa3b, v8
	v_cmp_gt_f32_e32 vcc, s9, v9
	v_cndmask_b32_e32 v11, 0, v12, vcc
	v_fmac_f32_e32 v11, 0x3fb8aa3b, v8
	v_exp_f32_e32 v11, v11
	v_cndmask_b32_e32 v9, 1.0, v10, vcc
	v_fma_f32 v9, v11, v9, 1.0
	v_cmp_gt_f32_e32 vcc, s12, v9
	v_cndmask_b32_e32 v11, 1.0, v14, vcc
	v_mul_f32_e32 v9, v9, v11
	v_log_f32_e32 v9, v9
	v_mov_b32_e32 v11, 0x42000000
	v_cndmask_b32_e32 v13, 0, v11, vcc
	v_cmp_lt_f32_e32 vcc, s7, v8
	v_sub_f32_e32 v9, v9, v13
	v_mul_f32_e32 v9, 0x3f317218, v9
	v_cndmask_b32_e32 v8, v9, v8, vcc
	v_mul_f32_e32 v9, 0x4f800000, v8
	v_cmp_gt_f32_e32 vcc, s8, v8
	v_cndmask_b32_e32 v8, v8, v9, vcc
	v_sqrt_f32_e32 v9, v8
	v_mov_b32_e32 v13, 0x260
	v_add_u32_e32 v15, -1, v9
	v_add_u32_e32 v16, 1, v9
	v_fma_f32 v17, -v15, v9, v8
	v_fma_f32 v18, -v16, v9, v8
	v_cmp_ge_f32_e64 s[2:3], 0, v17
	v_cndmask_b32_e64 v9, v9, v15, s[2:3]
	v_cmp_lt_f32_e64 s[2:3], 0, v18
	v_cndmask_b32_e64 v9, v9, v16, s[2:3]
	v_mul_f32_e32 v15, 0x37800000, v9
	v_cndmask_b32_e32 v9, v9, v15, vcc
	v_cmp_class_f32_e32 vcc, v8, v13
	v_cndmask_b32_e32 v8, v9, v8, vcc
	s_and_b64 vcc, exec, s[0:1]
	v_mov_b32_e32 v9, v8
	s_cbranch_vccnz .LBB95_6
; %bb.5:
	global_load_ushort v9, v1, s[10:11] offset:256
	s_waitcnt vmcnt(0)
	v_lshlrev_b32_e32 v9, 16, v9
	v_add_f32_e32 v9, v8, v9
.LBB95_6:
	global_load_dword v15, v[2:3], off offset:768
	s_waitcnt vmcnt(0)
	v_mul_f32_e32 v16, 0x3fb8aa3b, v15
	v_cmp_gt_f32_e32 vcc, s9, v16
	v_cndmask_b32_e32 v12, 0, v12, vcc
	v_fmac_f32_e32 v12, 0x3fb8aa3b, v15
	v_exp_f32_e32 v12, v12
	v_cndmask_b32_e32 v10, 1.0, v10, vcc
	v_fma_f32 v10, v12, v10, 1.0
	v_cmp_gt_f32_e32 vcc, s12, v10
	v_cndmask_b32_e32 v12, 1.0, v14, vcc
	v_mul_f32_e32 v10, v10, v12
	v_log_f32_e32 v10, v10
	v_cndmask_b32_e32 v11, 0, v11, vcc
	v_cmp_lt_f32_e32 vcc, s7, v15
	v_sub_f32_e32 v10, v10, v11
	v_mul_f32_e32 v10, 0x3f317218, v10
	v_cndmask_b32_e32 v10, v10, v15, vcc
	v_mul_f32_e32 v11, 0x4f800000, v10
	v_cmp_gt_f32_e32 vcc, s8, v10
	v_cndmask_b32_e32 v10, v10, v11, vcc
	v_sqrt_f32_e32 v11, v10
	v_add_u32_e32 v12, -1, v11
	v_add_u32_e32 v14, 1, v11
	v_fma_f32 v15, -v12, v11, v10
	v_fma_f32 v16, -v14, v11, v10
	v_cmp_ge_f32_e64 s[2:3], 0, v15
	v_cndmask_b32_e64 v11, v11, v12, s[2:3]
	v_cmp_lt_f32_e64 s[2:3], 0, v16
	v_cndmask_b32_e64 v11, v11, v14, s[2:3]
	v_mul_f32_e32 v12, 0x37800000, v11
	v_cndmask_b32_e32 v11, v11, v12, vcc
	v_cmp_class_f32_e32 vcc, v10, v13
	v_cndmask_b32_e32 v10, v11, v10, vcc
	s_and_b64 vcc, exec, s[0:1]
	v_mov_b32_e32 v11, v10
	s_cbranch_vccnz .LBB95_8
; %bb.7:
	global_load_ushort v11, v1, s[10:11] offset:384
	s_waitcnt vmcnt(0)
	v_lshlrev_b32_e32 v11, 16, v11
	v_add_f32_e32 v11, v10, v11
.LBB95_8:
	global_load_dword v12, v[2:3], off offset:1024
	v_mov_b32_e32 v16, 0x42800000
	v_mov_b32_e32 v14, 0x1f800000
	;; [unrolled: 1-line block ×3, first 2 shown]
	s_waitcnt vmcnt(0)
	v_mul_f32_e32 v13, 0x3fb8aa3b, v12
	v_cmp_gt_f32_e32 vcc, s9, v13
	v_cndmask_b32_e32 v15, 0, v16, vcc
	v_fmac_f32_e32 v15, 0x3fb8aa3b, v12
	v_exp_f32_e32 v15, v15
	v_cndmask_b32_e32 v13, 1.0, v14, vcc
	v_fma_f32 v13, v15, v13, 1.0
	v_cmp_gt_f32_e32 vcc, s12, v13
	v_cndmask_b32_e32 v15, 1.0, v18, vcc
	v_mul_f32_e32 v13, v13, v15
	v_log_f32_e32 v13, v13
	v_mov_b32_e32 v15, 0x42000000
	v_cndmask_b32_e32 v17, 0, v15, vcc
	v_cmp_lt_f32_e32 vcc, s7, v12
	v_sub_f32_e32 v13, v13, v17
	v_mul_f32_e32 v13, 0x3f317218, v13
	v_cndmask_b32_e32 v12, v13, v12, vcc
	v_mul_f32_e32 v13, 0x4f800000, v12
	v_cmp_gt_f32_e32 vcc, s8, v12
	v_cndmask_b32_e32 v12, v12, v13, vcc
	v_sqrt_f32_e32 v13, v12
	v_mov_b32_e32 v17, 0x260
	v_add_u32_e32 v20, -1, v13
	v_add_u32_e32 v21, 1, v13
	v_fma_f32 v22, -v20, v13, v12
	v_fma_f32 v23, -v21, v13, v12
	v_cmp_ge_f32_e64 s[2:3], 0, v22
	v_cndmask_b32_e64 v13, v13, v20, s[2:3]
	v_cmp_lt_f32_e64 s[2:3], 0, v23
	v_cndmask_b32_e64 v13, v13, v21, s[2:3]
	v_mul_f32_e32 v20, 0x37800000, v13
	v_cndmask_b32_e32 v13, v13, v20, vcc
	v_cmp_class_f32_e32 vcc, v12, v17
	v_cndmask_b32_e32 v12, v13, v12, vcc
	s_and_b64 vcc, exec, s[0:1]
	v_mov_b32_e32 v13, v12
	s_cbranch_vccnz .LBB95_10
; %bb.9:
	global_load_ushort v13, v1, s[10:11] offset:512
	s_waitcnt vmcnt(0)
	v_lshlrev_b32_e32 v13, 16, v13
	v_add_f32_e32 v13, v12, v13
.LBB95_10:
	global_load_dword v2, v[2:3], off offset:1280
	s_waitcnt vmcnt(0)
	v_mul_f32_e32 v3, 0x3fb8aa3b, v2
	v_cmp_gt_f32_e32 vcc, s9, v3
	v_cndmask_b32_e32 v3, 1.0, v14, vcc
	v_cndmask_b32_e32 v14, 0, v16, vcc
	v_fmac_f32_e32 v14, 0x3fb8aa3b, v2
	v_exp_f32_e32 v14, v14
	v_fma_f32 v3, v14, v3, 1.0
	v_cmp_gt_f32_e32 vcc, s12, v3
	v_cndmask_b32_e32 v14, 1.0, v18, vcc
	v_mul_f32_e32 v3, v3, v14
	v_log_f32_e32 v3, v3
	v_cndmask_b32_e32 v14, 0, v15, vcc
	v_cmp_lt_f32_e32 vcc, s7, v2
	v_sub_f32_e32 v3, v3, v14
	v_mul_f32_e32 v3, 0x3f317218, v3
	v_cndmask_b32_e32 v2, v3, v2, vcc
	v_mul_f32_e32 v3, 0x4f800000, v2
	v_cmp_gt_f32_e32 vcc, s8, v2
	v_cndmask_b32_e32 v2, v2, v3, vcc
	v_sqrt_f32_e32 v3, v2
	v_add_u32_e32 v14, -1, v3
	v_add_u32_e32 v15, 1, v3
	v_fma_f32 v16, -v14, v3, v2
	v_fma_f32 v18, -v15, v3, v2
	v_cmp_ge_f32_e64 s[2:3], 0, v16
	v_cndmask_b32_e64 v3, v3, v14, s[2:3]
	v_cmp_lt_f32_e64 s[2:3], 0, v18
	v_cndmask_b32_e64 v3, v3, v15, s[2:3]
	v_mul_f32_e32 v14, 0x37800000, v3
	v_cndmask_b32_e32 v3, v3, v14, vcc
	v_cmp_class_f32_e32 vcc, v2, v17
	v_cndmask_b32_e32 v2, v3, v2, vcc
	s_and_b64 vcc, exec, s[0:1]
	v_mov_b32_e32 v3, v2
	s_cbranch_vccnz .LBB95_12
; %bb.11:
	global_load_ushort v1, v1, s[10:11] offset:640
	s_waitcnt vmcnt(0)
	v_lshlrev_b32_e32 v1, 16, v1
	v_add_f32_e32 v3, v2, v1
.LBB95_12:
	v_add_u32_e32 v1, 64, v0
	v_cmp_lt_f32_e32 vcc, v5, v7
	v_add_u32_e32 v14, 0x80, v0
	v_add_u32_e32 v15, 0xc0, v0
	v_cndmask_b32_e32 v18, v6, v4, vcc
	v_cndmask_b32_e32 v4, v4, v6, vcc
	;; [unrolled: 1-line block ×6, first 2 shown]
	v_cmp_lt_f32_e32 vcc, v9, v11
	v_add_u32_e32 v16, 0x100, v0
	v_add_u32_e32 v17, 0x140, v0
	v_cndmask_b32_e32 v7, v10, v8, vcc
	v_cndmask_b32_e32 v8, v8, v10, vcc
	v_cndmask_b32_e32 v10, v15, v14, vcc
	v_cndmask_b32_e32 v14, v14, v15, vcc
	v_cndmask_b32_e32 v15, v11, v9, vcc
	v_cndmask_b32_e32 v9, v9, v11, vcc
	v_cmp_lt_f32_e32 vcc, v13, v3
	v_cndmask_b32_e32 v11, v2, v12, vcc
	v_cndmask_b32_e32 v2, v12, v2, vcc
	v_cndmask_b32_e32 v12, v17, v16, vcc
	v_cndmask_b32_e32 v16, v16, v17, vcc
	v_cndmask_b32_e32 v17, v3, v13, vcc
	v_cndmask_b32_e32 v3, v13, v3, vcc
	v_cmp_lt_f32_e32 vcc, v5, v9
	v_cndmask_b32_e32 v13, v8, v4, vcc
	v_cndmask_b32_e32 v4, v4, v8, vcc
	v_cndmask_b32_e32 v8, v14, v1, vcc
	v_cndmask_b32_e32 v1, v1, v14, vcc
	v_cndmask_b32_e32 v14, v9, v5, vcc
	v_cndmask_b32_e32 v5, v5, v9, vcc
	v_cmp_lt_f32_e32 vcc, v20, v3
	v_cndmask_b32_e32 v9, v2, v18, vcc
	v_cndmask_b32_e32 v18, v18, v2, vcc
	v_cndmask_b32_e32 v21, v16, v6, vcc
	v_cndmask_b32_e32 v6, v6, v16, vcc
	v_cndmask_b32_e32 v22, v3, v20, vcc
	v_cndmask_b32_e32 v3, v20, v3, vcc
	v_cmp_lt_f32_e32 vcc, v15, v17
	v_cndmask_b32_e32 v23, v11, v7, vcc
	v_cndmask_b32_e32 v7, v7, v11, vcc
	v_cndmask_b32_e32 v11, v12, v10, vcc
	v_cndmask_b32_e32 v10, v10, v12, vcc
	v_cndmask_b32_e32 v24, v17, v15, vcc
	v_cndmask_b32_e32 v12, v15, v17, vcc
	v_cmp_lt_f32_e32 vcc, v5, v3
	v_cndmask_b32_e32 v2, v4, v18, vcc
	v_cndmask_b32_e32 v25, v18, v4, vcc
	v_cndmask_b32_e32 v4, v1, v6, vcc
	v_cndmask_b32_e32 v26, v6, v1, vcc
	v_cndmask_b32_e32 v6, v5, v3, vcc
	v_cndmask_b32_e32 v27, v3, v5, vcc
	v_cmp_lt_f32_e32 vcc, v14, v12
	v_cndmask_b32_e32 v20, v7, v13, vcc
	v_cndmask_b32_e32 v1, v13, v7, vcc
	v_cndmask_b32_e32 v15, v10, v8, vcc
	v_cndmask_b32_e32 v3, v8, v10, vcc
	v_cndmask_b32_e32 v16, v12, v14, vcc
	v_cndmask_b32_e32 v13, v14, v12, vcc
	v_cmp_lt_f32_e32 vcc, v22, v24
	v_cndmask_b32_e32 v12, v22, v24, vcc
	v_cmp_lt_f32_e64 s[0:1], v27, v13
	v_cndmask_b32_e32 v5, v23, v9, vcc
	v_cndmask_b32_e32 v8, v9, v23, vcc
	;; [unrolled: 1-line block ×3, first 2 shown]
	v_cndmask_b32_e64 v18, v1, v25, s[0:1]
	v_cndmask_b32_e64 v14, v3, v26, s[0:1]
	;; [unrolled: 1-line block ×3, first 2 shown]
	v_cmp_lt_f32_e64 s[2:3], v16, v12
	v_cndmask_b32_e32 v10, v21, v11, vcc
	v_cndmask_b32_e32 v9, v24, v22, vcc
	v_cndmask_b32_e64 v1, v25, v1, s[0:1]
	v_cndmask_b32_e64 v3, v26, v3, s[0:1]
	;; [unrolled: 1-line block ×3, first 2 shown]
	s_and_saveexec_b64 s[0:1], s[2:3]
	s_xor_b64 s[0:1], exec, s[0:1]
; %bb.13:
	v_mov_b32_e32 v13, v20
	v_mov_b32_e32 v21, v15
	;; [unrolled: 1-line block ×3, first 2 shown]
	v_swap_b32 v16, v12
	v_swap_b32 v20, v8
	;; [unrolled: 1-line block ×3, first 2 shown]
; %bb.14:
	s_or_b64 exec, exec, s[0:1]
	s_load_dword s7, s[4:5], 0x28
	s_load_dwordx4 s[16:19], s[4:5], 0x10
	v_mov_b32_e32 v22, 0
	s_waitcnt lgkmcnt(0)
	s_cmp_lt_i32 s7, 1
	s_cbranch_scc1 .LBB95_20
; %bb.15:
	v_cmp_lt_f32_e32 vcc, v17, v16
	v_cndmask_b32_e32 v13, v15, v14, vcc
	v_cndmask_b32_e32 v14, v14, v15, vcc
	;; [unrolled: 1-line block ×6, first 2 shown]
	v_mbcnt_lo_u32_b32 v20, -1, 0
	v_mbcnt_hi_u32_b32 v20, -1, v20
	v_bfrev_b32_e32 v21, 0.5
	v_mov_b32_e32 v22, 0
	v_mov_b32_e32 v23, 0
	;; [unrolled: 1-line block ×3, first 2 shown]
	v_lshl_or_b32 v25, v20, 2, v21
	v_mov_b32_e32 v26, v0
	s_mov_b32 s20, s7
	v_mov_b32_e32 v20, 0
	v_mov_b32_e32 v21, 0
.LBB95_16:                              ; =>This Inner Loop Header: Depth=1
	v_cmp_eq_u32_e32 vcc, 1, v23
	v_cndmask_b32_e32 v27, v6, v11, vcc
	v_cmp_eq_u32_e64 s[0:1], 2, v23
	v_cndmask_b32_e64 v27, v27, v16, s[0:1]
	v_cmp_eq_u32_e64 s[2:3], 3, v23
	v_cndmask_b32_e64 v27, v27, v15, s[2:3]
	;; [unrolled: 2-line block ×4, first 2 shown]
	v_cmp_gt_u32_e64 s[12:13], 6, v23
	v_cndmask_b32_e64 v27, v24, v27, s[12:13]
	;;#ASMSTART
	v_max_f32 v28, v27, v27 quad_perm:[1,0,3,2] row_mask:0xf bank_mask:0xf bound_ctrl:1
	;;#ASMEND
	;;#ASMSTART
	v_max_f32 v29, v28, v28 quad_perm:[2,3,0,1] row_mask:0xf bank_mask:0xf bound_ctrl:1
	;;#ASMEND
	;;#ASMSTART
	v_max_f32 v28, v29, v29 row_half_mirror row_mask:0xf bank_mask:0xf bound_ctrl:1
	;;#ASMEND
	;;#ASMSTART
	v_max_f32 v29, v28, v28 row_mirror row_mask:0xf bank_mask:0xf bound_ctrl:1
	;;#ASMEND
	;;#ASMSTART
	v_max_f32 v28, v29, v29 row_ror:4 row_mask:0xf bank_mask:0xf bound_ctrl:1
	;;#ASMEND
	;;#ASMSTART
	v_max_f32 v29, v28, v28 row_ror:8 row_mask:0xf bank_mask:0xf bound_ctrl:1
	;;#ASMEND
	;;#ASMSTART
	v_max_f32 v28, v29, v29 row_bcast:15 row_mask:0xf bank_mask:0xf bound_ctrl:1
	;;#ASMEND
	;;#ASMSTART
	v_max_f32 v29, v28, v28 row_bcast:31 row_mask:0xf bank_mask:0xf bound_ctrl:1
	;;#ASMEND
	ds_bpermute_b32 v28, v25, v29
	s_waitcnt lgkmcnt(0)
	v_cmp_eq_f32_e64 s[14:15], v27, v28
	v_cndmask_b32_e32 v27, v4, v3, vcc
	v_cndmask_b32_e64 v27, v27, v14, s[0:1]
	v_cndmask_b32_e64 v27, v27, v13, s[2:3]
	;; [unrolled: 1-line block ×4, first 2 shown]
	s_ff1_i32_b64 s21, s[14:15]
	s_cmp_lg_u64 s[14:15], 0
	s_cselect_b32 s14, s21, 0
	v_cndmask_b32_e64 v28, 0, v27, s[12:13]
	v_readlane_b32 s21, v28, s14
	v_cmp_eq_u32_e64 s[14:15], s21, v27
	v_cndmask_b32_e32 v27, v2, v1, vcc
	v_cndmask_b32_e64 v27, v27, v18, s[0:1]
	v_cndmask_b32_e64 v27, v27, v17, s[2:3]
	;; [unrolled: 1-line block ×4, first 2 shown]
	s_and_b64 vcc, s[12:13], s[14:15]
	s_and_b32 s0, s21, 63
	v_cndmask_b32_e32 v27, 0, v27, vcc
	v_readlane_b32 s2, v27, s0
	v_mov_b32_e32 v27, s2
	v_cmp_eq_u32_e64 s[0:1], 0, v26
	v_cndmask_b32_e64 v21, v21, v27, s[0:1]
	v_mov_b32_e32 v27, s21
	s_add_i32 s20, s20, -1
	v_cndmask_b32_e64 v20, v20, v27, s[0:1]
	v_addc_co_u32_e32 v23, vcc, 0, v23, vcc
	s_cmp_eq_u32 s20, 0
	v_add_f32_e32 v22, s2, v22
	v_add_u32_e32 v26, -1, v26
	s_cbranch_scc0 .LBB95_16
; %bb.17:
	v_cmp_gt_i32_e32 vcc, s7, v0
	s_and_saveexec_b64 s[0:1], vcc
	s_cbranch_execz .LBB95_19
.LBB95_18:
	s_load_dword s2, s[4:5], 0x30
	v_max_f32_e32 v0, v22, v22
	v_max_f32_e32 v0, 0x1e3ce508, v0
	s_waitcnt lgkmcnt(0)
	v_div_scale_f32 v1, s[0:1], v0, v0, s2
	v_rcp_f32_e32 v2, v1
	v_div_scale_f32 v3, vcc, s2, v0, s2
	s_load_dwordx2 s[0:1], s[4:5], 0x20
	v_fma_f32 v4, -v1, v2, 1.0
	v_fmac_f32_e32 v2, v4, v2
	v_mul_f32_e32 v4, v3, v2
	v_fma_f32 v5, -v1, v4, v3
	v_fmac_f32_e32 v4, v5, v2
	v_fma_f32 v1, -v1, v4, v3
	v_div_fmas_f32 v1, v1, v2, v4
	v_div_fixup_f32 v0, v1, v0, s2
	s_ashr_i32 s2, s6, 31
	s_waitcnt lgkmcnt(0)
	s_mul_i32 s1, s6, s1
	s_mul_hi_u32 s3, s6, s0
	s_add_i32 s1, s3, s1
	s_mul_i32 s2, s2, s0
	s_add_i32 s1, s1, s2
	s_mul_i32 s0, s6, s0
	s_lshl_b64 s[0:1], s[0:1], 2
	s_add_u32 s2, s16, s0
	s_addc_u32 s3, s17, s1
	s_add_u32 s0, s18, s0
	v_mul_f32_e32 v0, v21, v0
	s_addc_u32 s1, s19, s1
	global_store_dword v19, v0, s[2:3]
	global_store_dword v19, v20, s[0:1]
.LBB95_19:
	s_endpgm
.LBB95_20:
	v_mov_b32_e32 v20, 0
	v_mov_b32_e32 v21, 0
	v_cmp_gt_i32_e32 vcc, s7, v0
	s_and_saveexec_b64 s[0:1], vcc
	s_cbranch_execnz .LBB95_18
	s_branch .LBB95_19
	.section	.rodata,"a",@progbits
	.p2align	6, 0x0
	.amdhsa_kernel _ZN5aiter24topk_softplus_kernel_optIf12hip_bfloat16Li384ELb1ELi0EEEvPKT_PKT0_PfPimiif
		.amdhsa_group_segment_fixed_size 0
		.amdhsa_private_segment_fixed_size 0
		.amdhsa_kernarg_size 52
		.amdhsa_user_sgpr_count 6
		.amdhsa_user_sgpr_private_segment_buffer 1
		.amdhsa_user_sgpr_dispatch_ptr 0
		.amdhsa_user_sgpr_queue_ptr 0
		.amdhsa_user_sgpr_kernarg_segment_ptr 1
		.amdhsa_user_sgpr_dispatch_id 0
		.amdhsa_user_sgpr_flat_scratch_init 0
		.amdhsa_user_sgpr_kernarg_preload_length 0
		.amdhsa_user_sgpr_kernarg_preload_offset 0
		.amdhsa_user_sgpr_private_segment_size 0
		.amdhsa_uses_dynamic_stack 0
		.amdhsa_system_sgpr_private_segment_wavefront_offset 0
		.amdhsa_system_sgpr_workgroup_id_x 1
		.amdhsa_system_sgpr_workgroup_id_y 0
		.amdhsa_system_sgpr_workgroup_id_z 0
		.amdhsa_system_sgpr_workgroup_info 0
		.amdhsa_system_vgpr_workitem_id 0
		.amdhsa_next_free_vgpr 30
		.amdhsa_next_free_sgpr 22
		.amdhsa_accum_offset 32
		.amdhsa_reserve_vcc 1
		.amdhsa_reserve_flat_scratch 0
		.amdhsa_float_round_mode_32 0
		.amdhsa_float_round_mode_16_64 0
		.amdhsa_float_denorm_mode_32 3
		.amdhsa_float_denorm_mode_16_64 3
		.amdhsa_dx10_clamp 1
		.amdhsa_ieee_mode 1
		.amdhsa_fp16_overflow 0
		.amdhsa_tg_split 0
		.amdhsa_exception_fp_ieee_invalid_op 0
		.amdhsa_exception_fp_denorm_src 0
		.amdhsa_exception_fp_ieee_div_zero 0
		.amdhsa_exception_fp_ieee_overflow 0
		.amdhsa_exception_fp_ieee_underflow 0
		.amdhsa_exception_fp_ieee_inexact 0
		.amdhsa_exception_int_div_zero 0
	.end_amdhsa_kernel
	.section	.text._ZN5aiter24topk_softplus_kernel_optIf12hip_bfloat16Li384ELb1ELi0EEEvPKT_PKT0_PfPimiif,"axG",@progbits,_ZN5aiter24topk_softplus_kernel_optIf12hip_bfloat16Li384ELb1ELi0EEEvPKT_PKT0_PfPimiif,comdat
.Lfunc_end95:
	.size	_ZN5aiter24topk_softplus_kernel_optIf12hip_bfloat16Li384ELb1ELi0EEEvPKT_PKT0_PfPimiif, .Lfunc_end95-_ZN5aiter24topk_softplus_kernel_optIf12hip_bfloat16Li384ELb1ELi0EEEvPKT_PKT0_PfPimiif
                                        ; -- End function
	.section	.AMDGPU.csdata,"",@progbits
; Kernel info:
; codeLenInByte = 2668
; NumSgprs: 26
; NumVgprs: 30
; NumAgprs: 0
; TotalNumVgprs: 30
; ScratchSize: 0
; MemoryBound: 0
; FloatMode: 240
; IeeeMode: 1
; LDSByteSize: 0 bytes/workgroup (compile time only)
; SGPRBlocks: 3
; VGPRBlocks: 3
; NumSGPRsForWavesPerEU: 26
; NumVGPRsForWavesPerEU: 30
; AccumOffset: 32
; Occupancy: 8
; WaveLimiterHint : 0
; COMPUTE_PGM_RSRC2:SCRATCH_EN: 0
; COMPUTE_PGM_RSRC2:USER_SGPR: 6
; COMPUTE_PGM_RSRC2:TRAP_HANDLER: 0
; COMPUTE_PGM_RSRC2:TGID_X_EN: 1
; COMPUTE_PGM_RSRC2:TGID_Y_EN: 0
; COMPUTE_PGM_RSRC2:TGID_Z_EN: 0
; COMPUTE_PGM_RSRC2:TIDIG_COMP_CNT: 0
; COMPUTE_PGM_RSRC3_GFX90A:ACCUM_OFFSET: 7
; COMPUTE_PGM_RSRC3_GFX90A:TG_SPLIT: 0
	.section	.text._ZN5aiter24topk_softplus_kernel_optIf12hip_bfloat16Li384ELb0ELi0EEEvPKT_PKT0_PfPimiif,"axG",@progbits,_ZN5aiter24topk_softplus_kernel_optIf12hip_bfloat16Li384ELb0ELi0EEEvPKT_PKT0_PfPimiif,comdat
	.protected	_ZN5aiter24topk_softplus_kernel_optIf12hip_bfloat16Li384ELb0ELi0EEEvPKT_PKT0_PfPimiif ; -- Begin function _ZN5aiter24topk_softplus_kernel_optIf12hip_bfloat16Li384ELb0ELi0EEEvPKT_PKT0_PfPimiif
	.globl	_ZN5aiter24topk_softplus_kernel_optIf12hip_bfloat16Li384ELb0ELi0EEEvPKT_PKT0_PfPimiif
	.p2align	8
	.type	_ZN5aiter24topk_softplus_kernel_optIf12hip_bfloat16Li384ELb0ELi0EEEvPKT_PKT0_PfPimiif,@function
_ZN5aiter24topk_softplus_kernel_optIf12hip_bfloat16Li384ELb0ELi0EEEvPKT_PKT0_PfPimiif: ; @_ZN5aiter24topk_softplus_kernel_optIf12hip_bfloat16Li384ELb0ELi0EEEvPKT_PKT0_PfPimiif
; %bb.0:
	s_load_dwordx4 s[8:11], s[4:5], 0x0
	s_mul_i32 s0, s6, 0x180
	s_ashr_i32 s1, s0, 31
	s_lshl_b64 s[0:1], s[0:1], 2
	v_lshlrev_b32_e32 v19, 2, v0
	s_waitcnt lgkmcnt(0)
	s_add_u32 s0, s8, s0
	s_addc_u32 s1, s9, s1
	global_load_dword v2, v19, s[0:1]
	s_mov_b32 s12, 0xc2fc0000
	v_mov_b32_e32 v7, 0x42800000
	v_mov_b32_e32 v10, 0x1f800000
	s_mov_b32 s13, 0x800000
	v_mov_b32_e32 v8, 0x4f800000
	v_mov_b32_e32 v9, 0x42000000
	s_mov_b32 s7, 0x41a00000
	s_mov_b32 s14, 0xf800000
	v_mov_b32_e32 v6, 0x260
	s_cmp_lg_u64 s[10:11], 0
	s_cselect_b64 s[8:9], -1, 0
	s_waitcnt vmcnt(0)
	v_mul_f32_e32 v1, 0x3fb8aa3b, v2
	v_cmp_gt_f32_e32 vcc, s12, v1
	v_cndmask_b32_e32 v1, 0, v7, vcc
	v_fmac_f32_e32 v1, 0x3fb8aa3b, v2
	v_exp_f32_e32 v3, v1
	v_cndmask_b32_e32 v4, 1.0, v10, vcc
	v_lshlrev_b32_e32 v1, 1, v0
	v_fma_f32 v3, v3, v4, 1.0
	v_cmp_gt_f32_e32 vcc, s13, v3
	v_cndmask_b32_e32 v4, 1.0, v8, vcc
	v_mul_f32_e32 v3, v3, v4
	v_log_f32_e32 v3, v3
	v_cndmask_b32_e32 v5, 0, v9, vcc
	v_cmp_lt_f32_e32 vcc, s7, v2
	v_mov_b32_e32 v4, s1
	v_sub_f32_e32 v3, v3, v5
	v_mul_f32_e32 v3, 0x3f317218, v3
	v_cndmask_b32_e32 v2, v3, v2, vcc
	v_mul_f32_e32 v3, 0x4f800000, v2
	v_cmp_gt_f32_e32 vcc, s14, v2
	v_cndmask_b32_e32 v5, v2, v3, vcc
	v_sqrt_f32_e32 v11, v5
	v_add_co_u32_e64 v2, s[0:1], s0, v19
	v_addc_co_u32_e64 v3, s[0:1], 0, v4, s[0:1]
	v_add_u32_e32 v4, -1, v11
	v_add_u32_e32 v12, 1, v11
	v_fma_f32 v13, -v4, v11, v5
	v_fma_f32 v14, -v12, v11, v5
	v_cmp_ge_f32_e64 s[2:3], 0, v13
	v_cndmask_b32_e64 v4, v11, v4, s[2:3]
	v_cmp_lt_f32_e64 s[2:3], 0, v14
	v_cndmask_b32_e64 v4, v4, v12, s[2:3]
	v_mul_f32_e32 v11, 0x37800000, v4
	v_cndmask_b32_e32 v4, v4, v11, vcc
	v_cmp_class_f32_e32 vcc, v5, v6
	s_and_b64 s[0:1], exec, s[8:9]
	v_cndmask_b32_e32 v4, v4, v5, vcc
	v_mov_b32_e32 v5, v4
	s_mov_b64 vcc, s[0:1]
	s_cbranch_vccz .LBB96_2
; %bb.1:
	global_load_ushort v5, v1, s[10:11]
	s_waitcnt vmcnt(0)
	v_lshlrev_b32_e32 v5, 16, v5
	v_add_f32_e32 v5, v4, v5
.LBB96_2:
	global_load_dword v11, v[2:3], off offset:256
	s_waitcnt vmcnt(0)
	v_mul_f32_e32 v12, 0x3fb8aa3b, v11
	v_cmp_gt_f32_e32 vcc, s12, v12
	v_cndmask_b32_e32 v7, 0, v7, vcc
	v_fmac_f32_e32 v7, 0x3fb8aa3b, v11
	v_exp_f32_e32 v7, v7
	v_cndmask_b32_e32 v10, 1.0, v10, vcc
	v_fma_f32 v7, v7, v10, 1.0
	v_cmp_gt_f32_e32 vcc, s13, v7
	v_cndmask_b32_e32 v8, 1.0, v8, vcc
	v_mul_f32_e32 v7, v7, v8
	v_log_f32_e32 v7, v7
	v_cndmask_b32_e32 v8, 0, v9, vcc
	v_cmp_lt_f32_e32 vcc, s7, v11
	v_cndmask_b32_e64 v9, 0, 1, s[8:9]
	v_sub_f32_e32 v7, v7, v8
	v_mul_f32_e32 v7, 0x3f317218, v7
	v_cndmask_b32_e32 v7, v7, v11, vcc
	v_mul_f32_e32 v8, 0x4f800000, v7
	v_cmp_gt_f32_e32 vcc, s14, v7
	v_cndmask_b32_e32 v7, v7, v8, vcc
	v_sqrt_f32_e32 v8, v7
	v_cmp_ne_u32_e64 s[0:1], 1, v9
	v_add_u32_e32 v9, -1, v8
	v_add_u32_e32 v10, 1, v8
	v_fma_f32 v11, -v9, v8, v7
	v_fma_f32 v12, -v10, v8, v7
	v_cmp_ge_f32_e64 s[2:3], 0, v11
	v_cndmask_b32_e64 v8, v8, v9, s[2:3]
	v_cmp_lt_f32_e64 s[2:3], 0, v12
	v_cndmask_b32_e64 v8, v8, v10, s[2:3]
	v_mul_f32_e32 v9, 0x37800000, v8
	v_cndmask_b32_e32 v8, v8, v9, vcc
	v_cmp_class_f32_e32 vcc, v7, v6
	v_cndmask_b32_e32 v6, v8, v7, vcc
	s_andn2_b64 vcc, exec, s[8:9]
	v_mov_b32_e32 v7, v6
	s_cbranch_vccnz .LBB96_4
; %bb.3:
	global_load_ushort v7, v1, s[10:11] offset:128
	s_waitcnt vmcnt(0)
	v_lshlrev_b32_e32 v7, 16, v7
	v_add_f32_e32 v7, v6, v7
.LBB96_4:
	global_load_dword v8, v[2:3], off offset:512
	s_mov_b32 s9, 0xc2fc0000
	v_mov_b32_e32 v12, 0x42800000
	v_mov_b32_e32 v10, 0x1f800000
	s_mov_b32 s12, 0x800000
	v_mov_b32_e32 v14, 0x4f800000
	s_mov_b32 s8, 0xf800000
	s_waitcnt vmcnt(0)
	v_mul_f32_e32 v9, 0x3fb8aa3b, v8
	v_cmp_gt_f32_e32 vcc, s9, v9
	v_cndmask_b32_e32 v11, 0, v12, vcc
	v_fmac_f32_e32 v11, 0x3fb8aa3b, v8
	v_exp_f32_e32 v11, v11
	v_cndmask_b32_e32 v9, 1.0, v10, vcc
	v_fma_f32 v9, v11, v9, 1.0
	v_cmp_gt_f32_e32 vcc, s12, v9
	v_cndmask_b32_e32 v11, 1.0, v14, vcc
	v_mul_f32_e32 v9, v9, v11
	v_log_f32_e32 v9, v9
	v_mov_b32_e32 v11, 0x42000000
	v_cndmask_b32_e32 v13, 0, v11, vcc
	v_cmp_lt_f32_e32 vcc, s7, v8
	v_sub_f32_e32 v9, v9, v13
	v_mul_f32_e32 v9, 0x3f317218, v9
	v_cndmask_b32_e32 v8, v9, v8, vcc
	v_mul_f32_e32 v9, 0x4f800000, v8
	v_cmp_gt_f32_e32 vcc, s8, v8
	v_cndmask_b32_e32 v8, v8, v9, vcc
	v_sqrt_f32_e32 v9, v8
	v_mov_b32_e32 v13, 0x260
	v_add_u32_e32 v15, -1, v9
	v_add_u32_e32 v16, 1, v9
	v_fma_f32 v17, -v15, v9, v8
	v_fma_f32 v18, -v16, v9, v8
	v_cmp_ge_f32_e64 s[2:3], 0, v17
	v_cndmask_b32_e64 v9, v9, v15, s[2:3]
	v_cmp_lt_f32_e64 s[2:3], 0, v18
	v_cndmask_b32_e64 v9, v9, v16, s[2:3]
	v_mul_f32_e32 v15, 0x37800000, v9
	v_cndmask_b32_e32 v9, v9, v15, vcc
	v_cmp_class_f32_e32 vcc, v8, v13
	v_cndmask_b32_e32 v8, v9, v8, vcc
	s_and_b64 vcc, exec, s[0:1]
	v_mov_b32_e32 v9, v8
	s_cbranch_vccnz .LBB96_6
; %bb.5:
	global_load_ushort v9, v1, s[10:11] offset:256
	s_waitcnt vmcnt(0)
	v_lshlrev_b32_e32 v9, 16, v9
	v_add_f32_e32 v9, v8, v9
.LBB96_6:
	global_load_dword v15, v[2:3], off offset:768
	s_waitcnt vmcnt(0)
	v_mul_f32_e32 v16, 0x3fb8aa3b, v15
	v_cmp_gt_f32_e32 vcc, s9, v16
	v_cndmask_b32_e32 v12, 0, v12, vcc
	v_fmac_f32_e32 v12, 0x3fb8aa3b, v15
	v_exp_f32_e32 v12, v12
	v_cndmask_b32_e32 v10, 1.0, v10, vcc
	v_fma_f32 v10, v12, v10, 1.0
	v_cmp_gt_f32_e32 vcc, s12, v10
	v_cndmask_b32_e32 v12, 1.0, v14, vcc
	v_mul_f32_e32 v10, v10, v12
	v_log_f32_e32 v10, v10
	v_cndmask_b32_e32 v11, 0, v11, vcc
	v_cmp_lt_f32_e32 vcc, s7, v15
	v_sub_f32_e32 v10, v10, v11
	v_mul_f32_e32 v10, 0x3f317218, v10
	v_cndmask_b32_e32 v10, v10, v15, vcc
	v_mul_f32_e32 v11, 0x4f800000, v10
	v_cmp_gt_f32_e32 vcc, s8, v10
	v_cndmask_b32_e32 v10, v10, v11, vcc
	v_sqrt_f32_e32 v11, v10
	v_add_u32_e32 v12, -1, v11
	v_add_u32_e32 v14, 1, v11
	v_fma_f32 v15, -v12, v11, v10
	v_fma_f32 v16, -v14, v11, v10
	v_cmp_ge_f32_e64 s[2:3], 0, v15
	v_cndmask_b32_e64 v11, v11, v12, s[2:3]
	v_cmp_lt_f32_e64 s[2:3], 0, v16
	v_cndmask_b32_e64 v11, v11, v14, s[2:3]
	v_mul_f32_e32 v12, 0x37800000, v11
	v_cndmask_b32_e32 v11, v11, v12, vcc
	v_cmp_class_f32_e32 vcc, v10, v13
	v_cndmask_b32_e32 v10, v11, v10, vcc
	s_and_b64 vcc, exec, s[0:1]
	v_mov_b32_e32 v11, v10
	s_cbranch_vccnz .LBB96_8
; %bb.7:
	global_load_ushort v11, v1, s[10:11] offset:384
	s_waitcnt vmcnt(0)
	v_lshlrev_b32_e32 v11, 16, v11
	v_add_f32_e32 v11, v10, v11
.LBB96_8:
	global_load_dword v12, v[2:3], off offset:1024
	v_mov_b32_e32 v16, 0x42800000
	v_mov_b32_e32 v14, 0x1f800000
	;; [unrolled: 1-line block ×3, first 2 shown]
	s_waitcnt vmcnt(0)
	v_mul_f32_e32 v13, 0x3fb8aa3b, v12
	v_cmp_gt_f32_e32 vcc, s9, v13
	v_cndmask_b32_e32 v15, 0, v16, vcc
	v_fmac_f32_e32 v15, 0x3fb8aa3b, v12
	v_exp_f32_e32 v15, v15
	v_cndmask_b32_e32 v13, 1.0, v14, vcc
	v_fma_f32 v13, v15, v13, 1.0
	v_cmp_gt_f32_e32 vcc, s12, v13
	v_cndmask_b32_e32 v15, 1.0, v18, vcc
	v_mul_f32_e32 v13, v13, v15
	v_log_f32_e32 v13, v13
	v_mov_b32_e32 v15, 0x42000000
	v_cndmask_b32_e32 v17, 0, v15, vcc
	v_cmp_lt_f32_e32 vcc, s7, v12
	v_sub_f32_e32 v13, v13, v17
	v_mul_f32_e32 v13, 0x3f317218, v13
	v_cndmask_b32_e32 v12, v13, v12, vcc
	v_mul_f32_e32 v13, 0x4f800000, v12
	v_cmp_gt_f32_e32 vcc, s8, v12
	v_cndmask_b32_e32 v12, v12, v13, vcc
	v_sqrt_f32_e32 v13, v12
	v_mov_b32_e32 v17, 0x260
	v_add_u32_e32 v20, -1, v13
	v_add_u32_e32 v21, 1, v13
	v_fma_f32 v22, -v20, v13, v12
	v_fma_f32 v23, -v21, v13, v12
	v_cmp_ge_f32_e64 s[2:3], 0, v22
	v_cndmask_b32_e64 v13, v13, v20, s[2:3]
	v_cmp_lt_f32_e64 s[2:3], 0, v23
	v_cndmask_b32_e64 v13, v13, v21, s[2:3]
	v_mul_f32_e32 v20, 0x37800000, v13
	v_cndmask_b32_e32 v13, v13, v20, vcc
	v_cmp_class_f32_e32 vcc, v12, v17
	v_cndmask_b32_e32 v12, v13, v12, vcc
	s_and_b64 vcc, exec, s[0:1]
	v_mov_b32_e32 v13, v12
	s_cbranch_vccnz .LBB96_10
; %bb.9:
	global_load_ushort v13, v1, s[10:11] offset:512
	s_waitcnt vmcnt(0)
	v_lshlrev_b32_e32 v13, 16, v13
	v_add_f32_e32 v13, v12, v13
.LBB96_10:
	global_load_dword v2, v[2:3], off offset:1280
	s_waitcnt vmcnt(0)
	v_mul_f32_e32 v3, 0x3fb8aa3b, v2
	v_cmp_gt_f32_e32 vcc, s9, v3
	v_cndmask_b32_e32 v3, 1.0, v14, vcc
	v_cndmask_b32_e32 v14, 0, v16, vcc
	v_fmac_f32_e32 v14, 0x3fb8aa3b, v2
	v_exp_f32_e32 v14, v14
	v_fma_f32 v3, v14, v3, 1.0
	v_cmp_gt_f32_e32 vcc, s12, v3
	v_cndmask_b32_e32 v14, 1.0, v18, vcc
	v_mul_f32_e32 v3, v3, v14
	v_log_f32_e32 v3, v3
	v_cndmask_b32_e32 v14, 0, v15, vcc
	v_cmp_lt_f32_e32 vcc, s7, v2
	v_sub_f32_e32 v3, v3, v14
	v_mul_f32_e32 v3, 0x3f317218, v3
	v_cndmask_b32_e32 v2, v3, v2, vcc
	v_mul_f32_e32 v3, 0x4f800000, v2
	v_cmp_gt_f32_e32 vcc, s8, v2
	v_cndmask_b32_e32 v2, v2, v3, vcc
	v_sqrt_f32_e32 v3, v2
	v_add_u32_e32 v14, -1, v3
	v_add_u32_e32 v15, 1, v3
	v_fma_f32 v16, -v14, v3, v2
	v_fma_f32 v18, -v15, v3, v2
	v_cmp_ge_f32_e64 s[2:3], 0, v16
	v_cndmask_b32_e64 v3, v3, v14, s[2:3]
	v_cmp_lt_f32_e64 s[2:3], 0, v18
	v_cndmask_b32_e64 v3, v3, v15, s[2:3]
	v_mul_f32_e32 v14, 0x37800000, v3
	v_cndmask_b32_e32 v3, v3, v14, vcc
	v_cmp_class_f32_e32 vcc, v2, v17
	v_cndmask_b32_e32 v2, v3, v2, vcc
	s_and_b64 vcc, exec, s[0:1]
	v_mov_b32_e32 v3, v2
	s_cbranch_vccnz .LBB96_12
; %bb.11:
	global_load_ushort v1, v1, s[10:11] offset:640
	s_waitcnt vmcnt(0)
	v_lshlrev_b32_e32 v1, 16, v1
	v_add_f32_e32 v3, v2, v1
.LBB96_12:
	v_add_u32_e32 v1, 64, v0
	v_cmp_lt_f32_e32 vcc, v5, v7
	v_add_u32_e32 v14, 0x80, v0
	v_add_u32_e32 v15, 0xc0, v0
	v_cndmask_b32_e32 v18, v6, v4, vcc
	v_cndmask_b32_e32 v4, v4, v6, vcc
	;; [unrolled: 1-line block ×6, first 2 shown]
	v_cmp_lt_f32_e32 vcc, v9, v11
	v_add_u32_e32 v16, 0x100, v0
	v_add_u32_e32 v17, 0x140, v0
	v_cndmask_b32_e32 v7, v10, v8, vcc
	v_cndmask_b32_e32 v8, v8, v10, vcc
	v_cndmask_b32_e32 v10, v15, v14, vcc
	v_cndmask_b32_e32 v14, v14, v15, vcc
	v_cndmask_b32_e32 v15, v11, v9, vcc
	v_cndmask_b32_e32 v9, v9, v11, vcc
	v_cmp_lt_f32_e32 vcc, v13, v3
	v_cndmask_b32_e32 v11, v2, v12, vcc
	v_cndmask_b32_e32 v2, v12, v2, vcc
	v_cndmask_b32_e32 v12, v17, v16, vcc
	v_cndmask_b32_e32 v16, v16, v17, vcc
	v_cndmask_b32_e32 v17, v3, v13, vcc
	v_cndmask_b32_e32 v3, v13, v3, vcc
	v_cmp_lt_f32_e32 vcc, v5, v9
	;; [unrolled: 7-line block ×7, first 2 shown]
	v_cndmask_b32_e32 v12, v22, v24, vcc
	v_cmp_lt_f32_e64 s[0:1], v27, v13
	v_cndmask_b32_e32 v5, v23, v9, vcc
	v_cndmask_b32_e32 v8, v9, v23, vcc
	;; [unrolled: 1-line block ×3, first 2 shown]
	v_cndmask_b32_e64 v18, v1, v25, s[0:1]
	v_cndmask_b32_e64 v14, v3, v26, s[0:1]
	;; [unrolled: 1-line block ×3, first 2 shown]
	v_cmp_lt_f32_e64 s[2:3], v16, v12
	v_cndmask_b32_e32 v10, v21, v11, vcc
	v_cndmask_b32_e32 v9, v24, v22, vcc
	v_cndmask_b32_e64 v1, v25, v1, s[0:1]
	v_cndmask_b32_e64 v3, v26, v3, s[0:1]
	;; [unrolled: 1-line block ×3, first 2 shown]
	s_and_saveexec_b64 s[0:1], s[2:3]
	s_xor_b64 s[0:1], exec, s[0:1]
; %bb.13:
	v_mov_b32_e32 v13, v20
	v_mov_b32_e32 v21, v15
	v_mov_b32_e32 v22, v16
	v_swap_b32 v16, v12
	v_swap_b32 v20, v8
	;; [unrolled: 1-line block ×3, first 2 shown]
; %bb.14:
	s_or_b64 exec, exec, s[0:1]
	s_load_dword s7, s[4:5], 0x28
	s_load_dwordx4 s[16:19], s[4:5], 0x10
	s_waitcnt lgkmcnt(0)
	s_cmp_lt_i32 s7, 1
	s_cbranch_scc1 .LBB96_20
; %bb.15:
	v_cmp_lt_f32_e32 vcc, v17, v16
	v_cndmask_b32_e32 v13, v15, v14, vcc
	v_cndmask_b32_e32 v14, v14, v15, vcc
	;; [unrolled: 1-line block ×6, first 2 shown]
	v_mbcnt_lo_u32_b32 v20, -1, 0
	v_mbcnt_hi_u32_b32 v20, -1, v20
	v_bfrev_b32_e32 v24, 0.5
	v_mov_b32_e32 v22, 0
	v_mov_b32_e32 v21, 0
	;; [unrolled: 1-line block ×3, first 2 shown]
	v_lshl_or_b32 v24, v20, 2, v24
	v_mov_b32_e32 v25, v0
	s_mov_b32 s20, s7
	v_mov_b32_e32 v20, 0
.LBB96_16:                              ; =>This Inner Loop Header: Depth=1
	v_cmp_eq_u32_e32 vcc, 1, v22
	v_cndmask_b32_e32 v26, v6, v11, vcc
	v_cmp_eq_u32_e64 s[0:1], 2, v22
	v_cndmask_b32_e64 v26, v26, v16, s[0:1]
	v_cmp_eq_u32_e64 s[2:3], 3, v22
	v_cndmask_b32_e64 v26, v26, v15, s[2:3]
	;; [unrolled: 2-line block ×4, first 2 shown]
	v_cmp_gt_u32_e64 s[12:13], 6, v22
	v_cndmask_b32_e64 v26, v23, v26, s[12:13]
	;;#ASMSTART
	v_max_f32 v27, v26, v26 quad_perm:[1,0,3,2] row_mask:0xf bank_mask:0xf bound_ctrl:1
	;;#ASMEND
	;;#ASMSTART
	v_max_f32 v28, v27, v27 quad_perm:[2,3,0,1] row_mask:0xf bank_mask:0xf bound_ctrl:1
	;;#ASMEND
	;;#ASMSTART
	v_max_f32 v27, v28, v28 row_half_mirror row_mask:0xf bank_mask:0xf bound_ctrl:1
	;;#ASMEND
	;;#ASMSTART
	v_max_f32 v28, v27, v27 row_mirror row_mask:0xf bank_mask:0xf bound_ctrl:1
	;;#ASMEND
	;;#ASMSTART
	v_max_f32 v27, v28, v28 row_ror:4 row_mask:0xf bank_mask:0xf bound_ctrl:1
	;;#ASMEND
	;;#ASMSTART
	v_max_f32 v28, v27, v27 row_ror:8 row_mask:0xf bank_mask:0xf bound_ctrl:1
	;;#ASMEND
	;;#ASMSTART
	v_max_f32 v27, v28, v28 row_bcast:15 row_mask:0xf bank_mask:0xf bound_ctrl:1
	;;#ASMEND
	;;#ASMSTART
	v_max_f32 v28, v27, v27 row_bcast:31 row_mask:0xf bank_mask:0xf bound_ctrl:1
	;;#ASMEND
	ds_bpermute_b32 v27, v24, v28
	s_waitcnt lgkmcnt(0)
	v_cmp_eq_f32_e64 s[14:15], v26, v27
	v_cndmask_b32_e32 v26, v4, v3, vcc
	v_cndmask_b32_e64 v26, v26, v14, s[0:1]
	v_cndmask_b32_e64 v26, v26, v13, s[2:3]
	;; [unrolled: 1-line block ×4, first 2 shown]
	s_ff1_i32_b64 s21, s[14:15]
	s_cmp_lg_u64 s[14:15], 0
	s_cselect_b32 s14, s21, 0
	v_cndmask_b32_e64 v27, 0, v26, s[12:13]
	v_readlane_b32 s21, v27, s14
	v_cmp_eq_u32_e64 s[14:15], s21, v26
	v_cndmask_b32_e32 v26, v2, v1, vcc
	v_cndmask_b32_e64 v26, v26, v18, s[0:1]
	v_cndmask_b32_e64 v26, v26, v17, s[2:3]
	;; [unrolled: 1-line block ×4, first 2 shown]
	s_and_b64 vcc, s[12:13], s[14:15]
	s_and_b32 s0, s21, 63
	v_cndmask_b32_e32 v26, 0, v26, vcc
	v_readlane_b32 s0, v26, s0
	v_mov_b32_e32 v26, s0
	v_cmp_eq_u32_e64 s[0:1], 0, v25
	v_cndmask_b32_e64 v21, v21, v26, s[0:1]
	v_mov_b32_e32 v26, s21
	s_add_i32 s20, s20, -1
	v_cndmask_b32_e64 v20, v20, v26, s[0:1]
	v_addc_co_u32_e32 v22, vcc, 0, v22, vcc
	s_cmp_eq_u32 s20, 0
	v_add_u32_e32 v25, -1, v25
	s_cbranch_scc0 .LBB96_16
; %bb.17:
	v_cmp_gt_i32_e32 vcc, s7, v0
	s_and_saveexec_b64 s[0:1], vcc
	s_cbranch_execz .LBB96_19
.LBB96_18:
	s_load_dword s2, s[4:5], 0x30
	s_load_dwordx2 s[0:1], s[4:5], 0x20
	s_ashr_i32 s3, s6, 31
	s_waitcnt lgkmcnt(0)
	v_mul_f32_e32 v0, s2, v21
	s_mul_i32 s1, s6, s1
	s_mul_hi_u32 s2, s6, s0
	s_add_i32 s1, s2, s1
	s_mul_i32 s3, s3, s0
	s_add_i32 s1, s1, s3
	s_mul_i32 s0, s6, s0
	s_lshl_b64 s[0:1], s[0:1], 2
	s_add_u32 s2, s16, s0
	s_addc_u32 s3, s17, s1
	s_add_u32 s0, s18, s0
	s_addc_u32 s1, s19, s1
	global_store_dword v19, v0, s[2:3]
	global_store_dword v19, v20, s[0:1]
.LBB96_19:
	s_endpgm
.LBB96_20:
	v_mov_b32_e32 v20, 0
	v_mov_b32_e32 v21, 0
	v_cmp_gt_i32_e32 vcc, s7, v0
	s_and_saveexec_b64 s[0:1], vcc
	s_cbranch_execnz .LBB96_18
	s_branch .LBB96_19
	.section	.rodata,"a",@progbits
	.p2align	6, 0x0
	.amdhsa_kernel _ZN5aiter24topk_softplus_kernel_optIf12hip_bfloat16Li384ELb0ELi0EEEvPKT_PKT0_PfPimiif
		.amdhsa_group_segment_fixed_size 0
		.amdhsa_private_segment_fixed_size 0
		.amdhsa_kernarg_size 52
		.amdhsa_user_sgpr_count 6
		.amdhsa_user_sgpr_private_segment_buffer 1
		.amdhsa_user_sgpr_dispatch_ptr 0
		.amdhsa_user_sgpr_queue_ptr 0
		.amdhsa_user_sgpr_kernarg_segment_ptr 1
		.amdhsa_user_sgpr_dispatch_id 0
		.amdhsa_user_sgpr_flat_scratch_init 0
		.amdhsa_user_sgpr_kernarg_preload_length 0
		.amdhsa_user_sgpr_kernarg_preload_offset 0
		.amdhsa_user_sgpr_private_segment_size 0
		.amdhsa_uses_dynamic_stack 0
		.amdhsa_system_sgpr_private_segment_wavefront_offset 0
		.amdhsa_system_sgpr_workgroup_id_x 1
		.amdhsa_system_sgpr_workgroup_id_y 0
		.amdhsa_system_sgpr_workgroup_id_z 0
		.amdhsa_system_sgpr_workgroup_info 0
		.amdhsa_system_vgpr_workitem_id 0
		.amdhsa_next_free_vgpr 29
		.amdhsa_next_free_sgpr 22
		.amdhsa_accum_offset 32
		.amdhsa_reserve_vcc 1
		.amdhsa_reserve_flat_scratch 0
		.amdhsa_float_round_mode_32 0
		.amdhsa_float_round_mode_16_64 0
		.amdhsa_float_denorm_mode_32 3
		.amdhsa_float_denorm_mode_16_64 3
		.amdhsa_dx10_clamp 1
		.amdhsa_ieee_mode 1
		.amdhsa_fp16_overflow 0
		.amdhsa_tg_split 0
		.amdhsa_exception_fp_ieee_invalid_op 0
		.amdhsa_exception_fp_denorm_src 0
		.amdhsa_exception_fp_ieee_div_zero 0
		.amdhsa_exception_fp_ieee_overflow 0
		.amdhsa_exception_fp_ieee_underflow 0
		.amdhsa_exception_fp_ieee_inexact 0
		.amdhsa_exception_int_div_zero 0
	.end_amdhsa_kernel
	.section	.text._ZN5aiter24topk_softplus_kernel_optIf12hip_bfloat16Li384ELb0ELi0EEEvPKT_PKT0_PfPimiif,"axG",@progbits,_ZN5aiter24topk_softplus_kernel_optIf12hip_bfloat16Li384ELb0ELi0EEEvPKT_PKT0_PfPimiif,comdat
.Lfunc_end96:
	.size	_ZN5aiter24topk_softplus_kernel_optIf12hip_bfloat16Li384ELb0ELi0EEEvPKT_PKT0_PfPimiif, .Lfunc_end96-_ZN5aiter24topk_softplus_kernel_optIf12hip_bfloat16Li384ELb0ELi0EEEvPKT_PKT0_PfPimiif
                                        ; -- End function
	.section	.AMDGPU.csdata,"",@progbits
; Kernel info:
; codeLenInByte = 2568
; NumSgprs: 26
; NumVgprs: 29
; NumAgprs: 0
; TotalNumVgprs: 29
; ScratchSize: 0
; MemoryBound: 0
; FloatMode: 240
; IeeeMode: 1
; LDSByteSize: 0 bytes/workgroup (compile time only)
; SGPRBlocks: 3
; VGPRBlocks: 3
; NumSGPRsForWavesPerEU: 26
; NumVGPRsForWavesPerEU: 29
; AccumOffset: 32
; Occupancy: 8
; WaveLimiterHint : 0
; COMPUTE_PGM_RSRC2:SCRATCH_EN: 0
; COMPUTE_PGM_RSRC2:USER_SGPR: 6
; COMPUTE_PGM_RSRC2:TRAP_HANDLER: 0
; COMPUTE_PGM_RSRC2:TGID_X_EN: 1
; COMPUTE_PGM_RSRC2:TGID_Y_EN: 0
; COMPUTE_PGM_RSRC2:TGID_Z_EN: 0
; COMPUTE_PGM_RSRC2:TIDIG_COMP_CNT: 0
; COMPUTE_PGM_RSRC3_GFX90A:ACCUM_OFFSET: 7
; COMPUTE_PGM_RSRC3_GFX90A:TG_SPLIT: 0
	.section	.text._ZN5aiter20topk_softplus_kernelIf12hip_bfloat16Dv4_fLb1ELi0EEEvPKT_PKT0_PfPimiiif,"axG",@progbits,_ZN5aiter20topk_softplus_kernelIf12hip_bfloat16Dv4_fLb1ELi0EEEvPKT_PKT0_PfPimiiif,comdat
	.protected	_ZN5aiter20topk_softplus_kernelIf12hip_bfloat16Dv4_fLb1ELi0EEEvPKT_PKT0_PfPimiiif ; -- Begin function _ZN5aiter20topk_softplus_kernelIf12hip_bfloat16Dv4_fLb1ELi0EEEvPKT_PKT0_PfPimiiif
	.globl	_ZN5aiter20topk_softplus_kernelIf12hip_bfloat16Dv4_fLb1ELi0EEEvPKT_PKT0_PfPimiiif
	.p2align	8
	.type	_ZN5aiter20topk_softplus_kernelIf12hip_bfloat16Dv4_fLb1ELi0EEEvPKT_PKT0_PfPimiiif,@function
_ZN5aiter20topk_softplus_kernelIf12hip_bfloat16Dv4_fLb1ELi0EEEvPKT_PKT0_PfPimiiif: ; @_ZN5aiter20topk_softplus_kernelIf12hip_bfloat16Dv4_fLb1ELi0EEEvPKT_PKT0_PfPimiiif
; %bb.0:
	s_load_dwordx2 s[20:21], s[4:5], 0x28
	s_load_dwordx8 s[12:19], s[4:5], 0x0
	v_lshlrev_b32_e32 v1, 2, v0
	s_waitcnt lgkmcnt(0)
	s_ashr_i32 s0, s20, 31
	s_lshr_b32 s0, s0, 30
	s_add_i32 s0, s20, s0
	s_mul_i32 s22, s6, s20
	s_ashr_i32 s7, s0, 2
	s_ashr_i32 s23, s22, 31
	v_cmp_gt_i32_e64 s[0:1], s7, v0
	s_and_saveexec_b64 s[24:25], s[0:1]
	s_cbranch_execz .LBB97_11
; %bb.1:
	s_load_dword s8, s[4:5], 0x44
	s_cmp_lg_u64 s[14:15], 0
	s_cselect_b64 s[2:3], -1, 0
	v_lshlrev_b32_e32 v2, 4, v0
	v_add_u32_e32 v12, 0, v2
	s_waitcnt lgkmcnt(0)
	s_and_b32 s29, s8, 0xffff
	s_add_u32 s30, s14, 2
	s_addc_u32 s31, s15, 0
	s_add_u32 s33, s14, 4
	s_addc_u32 s34, s15, 0
	;; [unrolled: 2-line block ×3, first 2 shown]
	s_lshl_b64 s[8:9], s[22:23], 2
	s_add_u32 s8, s12, s8
	s_addc_u32 s9, s13, s9
	v_mov_b32_e32 v3, s9
	v_add_co_u32_e32 v6, vcc, s8, v2
	v_cndmask_b32_e64 v2, 0, 1, s[2:3]
	s_mov_b64 s[26:27], 0
	s_mov_b32 s28, 0
	v_addc_co_u32_e32 v7, vcc, 0, v3, vcc
	s_lshl_b32 s37, s29, 4
	v_lshlrev_b32_e32 v8, 2, v0
	s_lshl_b32 s38, s29, 2
	v_mov_b32_e32 v9, 0
	s_mov_b32 s39, 0x41a00000
	s_mov_b32 s40, 0xc2fc0000
	v_mov_b32_e32 v13, 0x1f800000
	v_mov_b32_e32 v14, 0x42800000
	s_mov_b32 s41, 0x800000
	v_mov_b32_e32 v15, 0x4f800000
	v_mov_b32_e32 v16, 0x42000000
	s_mov_b32 s42, 0xf800000
	v_mov_b32_e32 v17, 0x260
	v_cmp_ne_u32_e64 s[2:3], 1, v2
	v_mov_b32_e32 v18, v0
	s_branch .LBB97_3
.LBB97_2:                               ;   in Loop: Header=BB97_3 Depth=1
	ds_write_b128 v12, v[2:5]
	v_mov_b32_e32 v2, s28
	v_add_co_u32_e32 v6, vcc, s37, v6
	v_add_u32_e32 v18, s29, v18
	v_addc_co_u32_e32 v7, vcc, v7, v2, vcc
	v_cmp_le_i32_e32 vcc, s7, v18
	v_add_u32_e32 v8, s38, v8
	s_or_b64 s[26:27], vcc, s[26:27]
	v_add_u32_e32 v12, s37, v12
	s_andn2_b64 exec, exec, s[26:27]
	s_cbranch_execz .LBB97_11
.LBB97_3:                               ; =>This Inner Loop Header: Depth=1
	global_load_dwordx4 v[2:5], v[6:7], off
	s_waitcnt vmcnt(0)
	v_mul_f32_e32 v10, 0x3fb8aa3b, v2
	v_cmp_gt_f32_e32 vcc, s40, v10
	v_cndmask_b32_e32 v11, 0, v14, vcc
	v_fmac_f32_e32 v11, 0x3fb8aa3b, v2
	v_exp_f32_e32 v11, v11
	v_cndmask_b32_e32 v10, 1.0, v13, vcc
	v_fma_f32 v10, v11, v10, 1.0
	v_cmp_gt_f32_e32 vcc, s41, v10
	v_cndmask_b32_e32 v11, 1.0, v15, vcc
	v_mul_f32_e32 v10, v10, v11
	v_log_f32_e32 v10, v10
	v_cndmask_b32_e32 v11, 0, v16, vcc
	v_cmp_lt_f32_e32 vcc, s39, v2
	v_sub_f32_e32 v10, v10, v11
	v_mul_f32_e32 v10, 0x3f317218, v10
	v_cndmask_b32_e32 v2, v10, v2, vcc
	v_mul_f32_e32 v10, 0x4f800000, v2
	v_cmp_gt_f32_e64 s[8:9], s42, v2
	v_cndmask_b32_e64 v2, v2, v10, s[8:9]
	v_sqrt_f32_e32 v10, v2
	s_and_b64 vcc, exec, s[2:3]
	v_add_u32_e32 v11, -1, v10
	v_add_u32_e32 v19, 1, v10
	v_fma_f32 v20, -v11, v10, v2
	v_fma_f32 v21, -v19, v10, v2
	v_cmp_ge_f32_e64 s[10:11], 0, v20
	v_cndmask_b32_e64 v10, v10, v11, s[10:11]
	v_cmp_lt_f32_e64 s[10:11], 0, v21
	v_cndmask_b32_e64 v10, v10, v19, s[10:11]
	v_mul_f32_e32 v11, 0x37800000, v10
	v_cndmask_b32_e64 v10, v10, v11, s[8:9]
	v_cmp_class_f32_e64 s[8:9], v2, v17
	v_cndmask_b32_e64 v2, v10, v2, s[8:9]
	v_lshlrev_b64 v[10:11], 1, v[8:9]
	s_cbranch_vccnz .LBB97_5
; %bb.4:                                ;   in Loop: Header=BB97_3 Depth=1
	v_mov_b32_e32 v19, s15
	v_add_co_u32_e32 v20, vcc, s14, v10
	v_addc_co_u32_e32 v21, vcc, v19, v11, vcc
	global_load_ushort v19, v[20:21], off
	s_waitcnt vmcnt(0)
	v_lshlrev_b32_e32 v19, 16, v19
	v_add_f32_e32 v2, v2, v19
.LBB97_5:                               ;   in Loop: Header=BB97_3 Depth=1
	v_mul_f32_e32 v19, 0x3fb8aa3b, v3
	v_cmp_gt_f32_e32 vcc, s40, v19
	v_cndmask_b32_e32 v20, 0, v14, vcc
	v_fmac_f32_e32 v20, 0x3fb8aa3b, v3
	v_exp_f32_e32 v20, v20
	v_cndmask_b32_e32 v19, 1.0, v13, vcc
	v_fma_f32 v19, v20, v19, 1.0
	v_cmp_gt_f32_e32 vcc, s41, v19
	v_cndmask_b32_e32 v20, 1.0, v15, vcc
	v_mul_f32_e32 v19, v19, v20
	v_log_f32_e32 v19, v19
	v_cndmask_b32_e32 v20, 0, v16, vcc
	v_cmp_lt_f32_e32 vcc, s39, v3
	v_sub_f32_e32 v19, v19, v20
	v_mul_f32_e32 v19, 0x3f317218, v19
	v_cndmask_b32_e32 v3, v19, v3, vcc
	v_mul_f32_e32 v19, 0x4f800000, v3
	v_cmp_gt_f32_e32 vcc, s42, v3
	v_cndmask_b32_e32 v3, v3, v19, vcc
	v_sqrt_f32_e32 v19, v3
	v_add_u32_e32 v20, -1, v19
	v_add_u32_e32 v21, 1, v19
	v_fma_f32 v22, -v20, v19, v3
	v_fma_f32 v23, -v21, v19, v3
	v_cmp_ge_f32_e64 s[8:9], 0, v22
	v_cndmask_b32_e64 v19, v19, v20, s[8:9]
	v_cmp_lt_f32_e64 s[8:9], 0, v23
	v_cndmask_b32_e64 v19, v19, v21, s[8:9]
	v_mul_f32_e32 v20, 0x37800000, v19
	v_cndmask_b32_e32 v19, v19, v20, vcc
	v_cmp_class_f32_e64 s[8:9], v3, v17
	s_and_b64 vcc, exec, s[2:3]
	v_cndmask_b32_e64 v3, v19, v3, s[8:9]
	s_cbranch_vccnz .LBB97_7
; %bb.6:                                ;   in Loop: Header=BB97_3 Depth=1
	v_mov_b32_e32 v19, s31
	v_add_co_u32_e32 v20, vcc, s30, v10
	v_addc_co_u32_e32 v21, vcc, v19, v11, vcc
	global_load_ushort v19, v[20:21], off
	s_waitcnt vmcnt(0)
	v_lshlrev_b32_e32 v19, 16, v19
	v_add_f32_e32 v3, v3, v19
.LBB97_7:                               ;   in Loop: Header=BB97_3 Depth=1
	v_mul_f32_e32 v19, 0x3fb8aa3b, v4
	v_cmp_gt_f32_e32 vcc, s40, v19
	v_cndmask_b32_e32 v20, 0, v14, vcc
	v_fmac_f32_e32 v20, 0x3fb8aa3b, v4
	v_exp_f32_e32 v20, v20
	v_cndmask_b32_e32 v19, 1.0, v13, vcc
	v_fma_f32 v19, v20, v19, 1.0
	v_cmp_gt_f32_e32 vcc, s41, v19
	v_cndmask_b32_e32 v20, 1.0, v15, vcc
	v_mul_f32_e32 v19, v19, v20
	v_log_f32_e32 v19, v19
	v_cndmask_b32_e32 v20, 0, v16, vcc
	v_cmp_lt_f32_e32 vcc, s39, v4
	v_sub_f32_e32 v19, v19, v20
	v_mul_f32_e32 v19, 0x3f317218, v19
	v_cndmask_b32_e32 v4, v19, v4, vcc
	v_mul_f32_e32 v19, 0x4f800000, v4
	v_cmp_gt_f32_e32 vcc, s42, v4
	v_cndmask_b32_e32 v4, v4, v19, vcc
	v_sqrt_f32_e32 v19, v4
	v_add_u32_e32 v20, -1, v19
	v_add_u32_e32 v21, 1, v19
	v_fma_f32 v22, -v20, v19, v4
	v_fma_f32 v23, -v21, v19, v4
	v_cmp_ge_f32_e64 s[8:9], 0, v22
	v_cndmask_b32_e64 v19, v19, v20, s[8:9]
	v_cmp_lt_f32_e64 s[8:9], 0, v23
	v_cndmask_b32_e64 v19, v19, v21, s[8:9]
	v_mul_f32_e32 v20, 0x37800000, v19
	v_cndmask_b32_e32 v19, v19, v20, vcc
	v_cmp_class_f32_e64 s[8:9], v4, v17
	s_and_b64 vcc, exec, s[2:3]
	v_cndmask_b32_e64 v4, v19, v4, s[8:9]
	;; [unrolled: 43-line block ×3, first 2 shown]
	s_cbranch_vccnz .LBB97_2
; %bb.10:                               ;   in Loop: Header=BB97_3 Depth=1
	v_mov_b32_e32 v19, s36
	v_add_co_u32_e32 v10, vcc, s35, v10
	v_addc_co_u32_e32 v11, vcc, v19, v11, vcc
	global_load_ushort v10, v[10:11], off
	s_waitcnt vmcnt(0)
	v_lshlrev_b32_e32 v10, 16, v10
	v_add_f32_e32 v5, v5, v10
	s_branch .LBB97_2
.LBB97_11:
	s_or_b64 exec, exec, s[24:25]
	v_lshl_add_u32 v2, s7, 2, v0
	v_cmp_gt_i32_e32 vcc, s20, v2
	s_and_saveexec_b64 s[10:11], vcc
	s_cbranch_execz .LBB97_16
; %bb.12:
	s_load_dword s8, s[4:5], 0x44
	s_lshl_b64 s[2:3], s[22:23], 2
	s_add_u32 s22, s12, s2
	s_addc_u32 s9, s13, s3
	s_cmp_lg_u64 s[14:15], 0
	s_cselect_b64 s[2:3], -1, 0
	s_waitcnt lgkmcnt(0)
	s_and_b32 s23, s8, 0xffff
	s_lshl_b32 s8, s7, 4
	s_add_i32 s8, s8, 0
	v_cndmask_b32_e64 v3, 0, 1, s[2:3]
	s_mov_b64 s[12:13], 0
	v_lshl_add_u32 v4, v0, 2, s8
	s_lshl_b32 s24, s23, 2
	v_mov_b32_e32 v5, s9
	s_mov_b32 s25, 0x41a00000
	s_mov_b32 s26, 0xc2fc0000
	v_mov_b32_e32 v6, 0x42800000
	v_mov_b32_e32 v7, 0x1f800000
	s_mov_b32 s27, 0x800000
	v_mov_b32_e32 v8, 0x4f800000
	v_mov_b32_e32 v9, 0x42000000
	s_mov_b32 s28, 0xf800000
	v_mov_b32_e32 v10, 0x260
	v_cmp_ne_u32_e64 s[2:3], 1, v3
	s_branch .LBB97_14
.LBB97_13:                              ;   in Loop: Header=BB97_14 Depth=1
	v_add_u32_e32 v2, s23, v2
	v_cmp_le_i32_e32 vcc, s20, v2
	s_or_b64 s[12:13], vcc, s[12:13]
	v_add_u32_e32 v4, s24, v4
	s_andn2_b64 exec, exec, s[12:13]
	s_cbranch_execz .LBB97_16
.LBB97_14:                              ; =>This Inner Loop Header: Depth=1
	v_ashrrev_i32_e32 v3, 31, v2
	v_lshlrev_b64 v[12:13], 2, v[2:3]
	v_add_co_u32_e32 v12, vcc, s22, v12
	v_addc_co_u32_e32 v13, vcc, v5, v13, vcc
	global_load_dword v11, v[12:13], off
	s_waitcnt vmcnt(0)
	v_mul_f32_e32 v12, 0x3fb8aa3b, v11
	v_cmp_gt_f32_e32 vcc, s26, v12
	v_cndmask_b32_e32 v12, 0, v6, vcc
	v_fmac_f32_e32 v12, 0x3fb8aa3b, v11
	v_exp_f32_e32 v12, v12
	v_cndmask_b32_e32 v13, 1.0, v7, vcc
	v_fma_f32 v12, v12, v13, 1.0
	v_cmp_gt_f32_e32 vcc, s27, v12
	v_cndmask_b32_e32 v13, 1.0, v8, vcc
	v_mul_f32_e32 v12, v12, v13
	v_log_f32_e32 v12, v12
	v_cndmask_b32_e32 v13, 0, v9, vcc
	v_cmp_lt_f32_e32 vcc, s25, v11
	v_sub_f32_e32 v12, v12, v13
	v_mul_f32_e32 v12, 0x3f317218, v12
	v_cndmask_b32_e32 v11, v12, v11, vcc
	v_mul_f32_e32 v12, 0x4f800000, v11
	v_cmp_gt_f32_e32 vcc, s28, v11
	v_cndmask_b32_e32 v11, v11, v12, vcc
	v_sqrt_f32_e32 v12, v11
	v_add_u32_e32 v13, -1, v12
	v_add_u32_e32 v14, 1, v12
	v_fma_f32 v15, -v13, v12, v11
	v_fma_f32 v16, -v14, v12, v11
	v_cmp_ge_f32_e64 s[8:9], 0, v15
	v_cndmask_b32_e64 v12, v12, v13, s[8:9]
	v_cmp_lt_f32_e64 s[8:9], 0, v16
	v_cndmask_b32_e64 v12, v12, v14, s[8:9]
	v_mul_f32_e32 v13, 0x37800000, v12
	v_cndmask_b32_e32 v12, v12, v13, vcc
	v_cmp_class_f32_e32 vcc, v11, v10
	v_cndmask_b32_e32 v11, v12, v11, vcc
	s_and_b64 vcc, exec, s[2:3]
	ds_write_b32 v4, v11
	s_cbranch_vccnz .LBB97_13
; %bb.15:                               ;   in Loop: Header=BB97_14 Depth=1
	v_lshlrev_b64 v[12:13], 1, v[2:3]
	v_mov_b32_e32 v3, s15
	v_add_co_u32_e32 v12, vcc, s14, v12
	v_addc_co_u32_e32 v13, vcc, v3, v13, vcc
	global_load_ushort v3, v[12:13], off
	s_waitcnt vmcnt(0)
	v_lshlrev_b32_e32 v3, 16, v3
	v_add_f32_e32 v3, v11, v3
	ds_write_b32 v4, v3
	s_branch .LBB97_13
.LBB97_16:
	s_or_b64 exec, exec, s[10:11]
	s_cmp_lt_i32 s21, 1
	v_mov_b32_e32 v3, 0
	s_waitcnt lgkmcnt(0)
	s_barrier
	s_cbranch_scc1 .LBB97_25
; %bb.17:
	s_add_u32 s2, s4, 56
	s_addc_u32 s3, s5, 0
	v_mbcnt_lo_u32_b32 v2, -1, 0
	s_cmp_lg_u64 s[14:15], 0
	v_mbcnt_hi_u32_b32 v2, -1, v2
	v_bfrev_b32_e32 v4, 0.5
	s_cselect_b64 s[8:9], -1, 0
	v_lshl_add_u32 v5, v0, 4, 0
	s_mov_b32 s20, 0
	v_mov_b32_e32 v3, 0
	v_lshl_or_b32 v6, v2, 2, v4
	v_mov_b32_e32 v7, 0
	v_mov_b32_e32 v8, 0xff800000
	;; [unrolled: 1-line block ×4, first 2 shown]
	s_branch .LBB97_19
.LBB97_18:                              ;   in Loop: Header=BB97_19 Depth=1
	s_lshl_b32 s11, s10, 2
	s_add_i32 s11, s11, 0
	v_mov_b32_e32 v9, s11
	ds_write_b32 v9, v8
	v_mov_b32_e32 v9, s10
	v_cmp_eq_u32_e32 vcc, s20, v0
	s_add_i32 s20, s20, 1
	v_cndmask_b32_e32 v2, v2, v9, vcc
	v_cndmask_b32_e32 v3, v3, v11, vcc
	s_cmp_eq_u32 s20, s21
	v_add_f32_e32 v4, v4, v11
	s_cbranch_scc1 .LBB97_26
.LBB97_19:                              ; =>This Loop Header: Depth=1
                                        ;     Child Loop BB97_21 Depth 2
	v_mov_b32_e32 v9, s20
	v_mov_b32_e32 v10, 0xff800000
	s_and_saveexec_b64 s[10:11], s[0:1]
	s_cbranch_execz .LBB97_23
; %bb.20:                               ;   in Loop: Header=BB97_19 Depth=1
	s_load_dword s22, s[2:3], 0xc
	s_mov_b64 s[12:13], 0
	v_mov_b32_e32 v9, s20
	v_mov_b32_e32 v10, 0xff800000
	;; [unrolled: 1-line block ×3, first 2 shown]
	s_waitcnt lgkmcnt(0)
	s_and_b32 s22, s22, 0xffff
	s_lshl_b32 s23, s22, 2
	s_lshl_b32 s24, s22, 4
	v_mov_b32_e32 v12, v1
	v_mov_b32_e32 v13, v0
.LBB97_21:                              ;   Parent Loop BB97_19 Depth=1
                                        ; =>  This Inner Loop Header: Depth=2
	ds_read_b128 v[14:17], v11
	v_add_u32_e32 v13, s22, v13
	v_cmp_le_i32_e32 vcc, s7, v13
	s_or_b64 s[12:13], vcc, s[12:13]
	v_add_u32_e32 v18, 1, v12
	s_waitcnt lgkmcnt(0)
	v_cmp_gt_f32_e32 vcc, v14, v10
	v_cndmask_b32_e32 v10, v10, v14, vcc
	v_cndmask_b32_e32 v9, v9, v12, vcc
	v_cmp_gt_f32_e32 vcc, v15, v10
	v_cndmask_b32_e32 v10, v10, v15, vcc
	v_cndmask_b32_e32 v9, v9, v18, vcc
	v_cmp_gt_f32_e32 vcc, v16, v10
	v_add_u32_e32 v19, 2, v12
	v_cndmask_b32_e32 v10, v10, v16, vcc
	v_add_u32_e32 v20, 3, v12
	v_cndmask_b32_e32 v9, v9, v19, vcc
	v_cmp_gt_f32_e32 vcc, v17, v10
	v_add_u32_e32 v11, s24, v11
	v_add_u32_e32 v12, s23, v12
	v_cndmask_b32_e32 v10, v10, v17, vcc
	v_cndmask_b32_e32 v9, v9, v20, vcc
	s_andn2_b64 exec, exec, s[12:13]
	s_cbranch_execnz .LBB97_21
; %bb.22:                               ;   in Loop: Header=BB97_19 Depth=1
	s_or_b64 exec, exec, s[12:13]
.LBB97_23:                              ;   in Loop: Header=BB97_19 Depth=1
	s_or_b64 exec, exec, s[10:11]
	;;#ASMSTART
	v_max_f32 v11, v10, v10 quad_perm:[1,0,3,2] row_mask:0xf bank_mask:0xf bound_ctrl:1
	;;#ASMEND
	;;#ASMSTART
	v_max_f32 v12, v11, v11 quad_perm:[2,3,0,1] row_mask:0xf bank_mask:0xf bound_ctrl:1
	;;#ASMEND
	;;#ASMSTART
	v_max_f32 v11, v12, v12 row_half_mirror row_mask:0xf bank_mask:0xf bound_ctrl:1
	;;#ASMEND
	;;#ASMSTART
	v_max_f32 v12, v11, v11 row_mirror row_mask:0xf bank_mask:0xf bound_ctrl:1
	;;#ASMEND
	;;#ASMSTART
	v_max_f32 v11, v12, v12 row_ror:4 row_mask:0xf bank_mask:0xf bound_ctrl:1
	;;#ASMEND
	;;#ASMSTART
	v_max_f32 v12, v11, v11 row_ror:8 row_mask:0xf bank_mask:0xf bound_ctrl:1
	;;#ASMEND
	;;#ASMSTART
	v_max_f32 v11, v12, v12 row_bcast:15 row_mask:0xf bank_mask:0xf bound_ctrl:1
	;;#ASMEND
	;;#ASMSTART
	v_max_f32 v12, v11, v11 row_bcast:31 row_mask:0xf bank_mask:0xf bound_ctrl:1
	;;#ASMEND
	ds_bpermute_b32 v11, v6, v12
	s_waitcnt lgkmcnt(0)
	v_cmp_eq_f32_e32 vcc, v10, v11
	s_ff1_i32_b64 s10, vcc
	s_cmp_lg_u64 vcc, 0
	s_cselect_b32 s10, s10, 0
	s_and_b64 vcc, exec, s[8:9]
	v_readlane_b32 s10, v9, s10
	s_cbranch_vccz .LBB97_18
; %bb.24:                               ;   in Loop: Header=BB97_19 Depth=1
	s_ashr_i32 s11, s10, 31
	s_lshl_b64 s[12:13], s[10:11], 1
	s_add_u32 s12, s14, s12
	s_addc_u32 s13, s15, s13
	global_load_ushort v9, v7, s[12:13]
	s_waitcnt vmcnt(0)
	v_lshlrev_b32_e32 v9, 16, v9
	v_sub_f32_e32 v11, v11, v9
	s_branch .LBB97_18
.LBB97_25:
	v_mov_b32_e32 v2, 0
	v_mov_b32_e32 v4, 0
.LBB97_26:
	v_cmp_gt_i32_e32 vcc, s21, v0
	s_and_saveexec_b64 s[0:1], vcc
	s_cbranch_execz .LBB97_29
; %bb.27:
	s_load_dword s2, s[4:5], 0x34
	v_max_f32_e32 v1, v4, v4
	v_max_f32_e32 v1, 0x1e3ce508, v1
	s_load_dword s3, s[4:5], 0x44
	s_waitcnt lgkmcnt(0)
	v_div_scale_f32 v4, s[0:1], v1, v1, s2
	s_load_dwordx2 s[0:1], s[4:5], 0x20
	v_rcp_f32_e32 v5, v4
	v_div_scale_f32 v6, vcc, s2, v1, s2
	s_and_b32 s3, s3, 0xffff
	v_fma_f32 v7, -v4, v5, 1.0
	v_fmac_f32_e32 v5, v7, v5
	v_mul_f32_e32 v7, v6, v5
	v_fma_f32 v8, -v4, v7, v6
	v_fmac_f32_e32 v7, v8, v5
	v_fma_f32 v4, -v4, v7, v6
	v_div_fmas_f32 v4, v4, v5, v7
	v_div_fixup_f32 v1, v4, v1, s2
	s_ashr_i32 s2, s6, 31
	s_waitcnt lgkmcnt(0)
	s_mul_i32 s1, s6, s1
	s_mul_hi_u32 s4, s6, s0
	s_add_i32 s1, s4, s1
	s_mul_i32 s2, s2, s0
	s_add_i32 s4, s1, s2
	v_mul_f32_e32 v1, v3, v1
	s_mul_i32 s2, s6, s0
	s_mov_b64 s[0:1], 0
	v_mov_b32_e32 v3, s4
	v_mov_b32_e32 v4, s17
	;; [unrolled: 1-line block ×3, first 2 shown]
.LBB97_28:                              ; =>This Inner Loop Header: Depth=1
	v_ashrrev_i32_e32 v7, 31, v0
	v_add_co_u32_e32 v6, vcc, s2, v0
	v_addc_co_u32_e32 v7, vcc, v3, v7, vcc
	v_add_u32_e32 v0, s3, v0
	v_cmp_le_i32_e32 vcc, s21, v0
	v_lshlrev_b64 v[6:7], 2, v[6:7]
	s_or_b64 s[0:1], vcc, s[0:1]
	v_add_co_u32_e32 v8, vcc, s16, v6
	v_addc_co_u32_e32 v9, vcc, v4, v7, vcc
	v_add_co_u32_e32 v6, vcc, s18, v6
	v_addc_co_u32_e32 v7, vcc, v5, v7, vcc
	global_store_dword v[8:9], v1, off
	global_store_dword v[6:7], v2, off
	s_andn2_b64 exec, exec, s[0:1]
	s_cbranch_execnz .LBB97_28
.LBB97_29:
	s_endpgm
	.section	.rodata,"a",@progbits
	.p2align	6, 0x0
	.amdhsa_kernel _ZN5aiter20topk_softplus_kernelIf12hip_bfloat16Dv4_fLb1ELi0EEEvPKT_PKT0_PfPimiiif
		.amdhsa_group_segment_fixed_size 0
		.amdhsa_private_segment_fixed_size 0
		.amdhsa_kernarg_size 312
		.amdhsa_user_sgpr_count 6
		.amdhsa_user_sgpr_private_segment_buffer 1
		.amdhsa_user_sgpr_dispatch_ptr 0
		.amdhsa_user_sgpr_queue_ptr 0
		.amdhsa_user_sgpr_kernarg_segment_ptr 1
		.amdhsa_user_sgpr_dispatch_id 0
		.amdhsa_user_sgpr_flat_scratch_init 0
		.amdhsa_user_sgpr_kernarg_preload_length 0
		.amdhsa_user_sgpr_kernarg_preload_offset 0
		.amdhsa_user_sgpr_private_segment_size 0
		.amdhsa_uses_dynamic_stack 0
		.amdhsa_system_sgpr_private_segment_wavefront_offset 0
		.amdhsa_system_sgpr_workgroup_id_x 1
		.amdhsa_system_sgpr_workgroup_id_y 0
		.amdhsa_system_sgpr_workgroup_id_z 0
		.amdhsa_system_sgpr_workgroup_info 0
		.amdhsa_system_vgpr_workitem_id 0
		.amdhsa_next_free_vgpr 24
		.amdhsa_next_free_sgpr 43
		.amdhsa_accum_offset 24
		.amdhsa_reserve_vcc 1
		.amdhsa_reserve_flat_scratch 0
		.amdhsa_float_round_mode_32 0
		.amdhsa_float_round_mode_16_64 0
		.amdhsa_float_denorm_mode_32 3
		.amdhsa_float_denorm_mode_16_64 3
		.amdhsa_dx10_clamp 1
		.amdhsa_ieee_mode 1
		.amdhsa_fp16_overflow 0
		.amdhsa_tg_split 0
		.amdhsa_exception_fp_ieee_invalid_op 0
		.amdhsa_exception_fp_denorm_src 0
		.amdhsa_exception_fp_ieee_div_zero 0
		.amdhsa_exception_fp_ieee_overflow 0
		.amdhsa_exception_fp_ieee_underflow 0
		.amdhsa_exception_fp_ieee_inexact 0
		.amdhsa_exception_int_div_zero 0
	.end_amdhsa_kernel
	.section	.text._ZN5aiter20topk_softplus_kernelIf12hip_bfloat16Dv4_fLb1ELi0EEEvPKT_PKT0_PfPimiiif,"axG",@progbits,_ZN5aiter20topk_softplus_kernelIf12hip_bfloat16Dv4_fLb1ELi0EEEvPKT_PKT0_PfPimiiif,comdat
.Lfunc_end97:
	.size	_ZN5aiter20topk_softplus_kernelIf12hip_bfloat16Dv4_fLb1ELi0EEEvPKT_PKT0_PfPimiiif, .Lfunc_end97-_ZN5aiter20topk_softplus_kernelIf12hip_bfloat16Dv4_fLb1ELi0EEEvPKT_PKT0_PfPimiiif
                                        ; -- End function
	.section	.AMDGPU.csdata,"",@progbits
; Kernel info:
; codeLenInByte = 2492
; NumSgprs: 47
; NumVgprs: 24
; NumAgprs: 0
; TotalNumVgprs: 24
; ScratchSize: 0
; MemoryBound: 0
; FloatMode: 240
; IeeeMode: 1
; LDSByteSize: 0 bytes/workgroup (compile time only)
; SGPRBlocks: 5
; VGPRBlocks: 2
; NumSGPRsForWavesPerEU: 47
; NumVGPRsForWavesPerEU: 24
; AccumOffset: 24
; Occupancy: 8
; WaveLimiterHint : 0
; COMPUTE_PGM_RSRC2:SCRATCH_EN: 0
; COMPUTE_PGM_RSRC2:USER_SGPR: 6
; COMPUTE_PGM_RSRC2:TRAP_HANDLER: 0
; COMPUTE_PGM_RSRC2:TGID_X_EN: 1
; COMPUTE_PGM_RSRC2:TGID_Y_EN: 0
; COMPUTE_PGM_RSRC2:TGID_Z_EN: 0
; COMPUTE_PGM_RSRC2:TIDIG_COMP_CNT: 0
; COMPUTE_PGM_RSRC3_GFX90A:ACCUM_OFFSET: 5
; COMPUTE_PGM_RSRC3_GFX90A:TG_SPLIT: 0
	.section	.text._ZN5aiter20topk_softplus_kernelIf12hip_bfloat16Dv4_fLb0ELi0EEEvPKT_PKT0_PfPimiiif,"axG",@progbits,_ZN5aiter20topk_softplus_kernelIf12hip_bfloat16Dv4_fLb0ELi0EEEvPKT_PKT0_PfPimiiif,comdat
	.protected	_ZN5aiter20topk_softplus_kernelIf12hip_bfloat16Dv4_fLb0ELi0EEEvPKT_PKT0_PfPimiiif ; -- Begin function _ZN5aiter20topk_softplus_kernelIf12hip_bfloat16Dv4_fLb0ELi0EEEvPKT_PKT0_PfPimiiif
	.globl	_ZN5aiter20topk_softplus_kernelIf12hip_bfloat16Dv4_fLb0ELi0EEEvPKT_PKT0_PfPimiiif
	.p2align	8
	.type	_ZN5aiter20topk_softplus_kernelIf12hip_bfloat16Dv4_fLb0ELi0EEEvPKT_PKT0_PfPimiiif,@function
_ZN5aiter20topk_softplus_kernelIf12hip_bfloat16Dv4_fLb0ELi0EEEvPKT_PKT0_PfPimiiif: ; @_ZN5aiter20topk_softplus_kernelIf12hip_bfloat16Dv4_fLb0ELi0EEEvPKT_PKT0_PfPimiiif
; %bb.0:
	s_load_dwordx2 s[20:21], s[4:5], 0x28
	s_load_dwordx8 s[12:19], s[4:5], 0x0
	v_lshlrev_b32_e32 v1, 2, v0
	s_waitcnt lgkmcnt(0)
	s_ashr_i32 s0, s20, 31
	s_lshr_b32 s0, s0, 30
	s_add_i32 s0, s20, s0
	s_mul_i32 s22, s6, s20
	s_ashr_i32 s7, s0, 2
	s_ashr_i32 s23, s22, 31
	v_cmp_gt_i32_e64 s[0:1], s7, v0
	s_and_saveexec_b64 s[24:25], s[0:1]
	s_cbranch_execz .LBB98_11
; %bb.1:
	s_load_dword s8, s[4:5], 0x44
	s_cmp_lg_u64 s[14:15], 0
	s_cselect_b64 s[2:3], -1, 0
	v_lshlrev_b32_e32 v2, 4, v0
	v_add_u32_e32 v12, 0, v2
	s_waitcnt lgkmcnt(0)
	s_and_b32 s29, s8, 0xffff
	s_add_u32 s30, s14, 2
	s_addc_u32 s31, s15, 0
	s_add_u32 s33, s14, 4
	s_addc_u32 s34, s15, 0
	;; [unrolled: 2-line block ×3, first 2 shown]
	s_lshl_b64 s[8:9], s[22:23], 2
	s_add_u32 s8, s12, s8
	s_addc_u32 s9, s13, s9
	v_mov_b32_e32 v3, s9
	v_add_co_u32_e32 v6, vcc, s8, v2
	v_cndmask_b32_e64 v2, 0, 1, s[2:3]
	s_mov_b64 s[26:27], 0
	s_mov_b32 s28, 0
	v_addc_co_u32_e32 v7, vcc, 0, v3, vcc
	s_lshl_b32 s37, s29, 4
	v_lshlrev_b32_e32 v8, 2, v0
	s_lshl_b32 s38, s29, 2
	v_mov_b32_e32 v9, 0
	s_mov_b32 s39, 0x41a00000
	s_mov_b32 s40, 0xc2fc0000
	v_mov_b32_e32 v13, 0x1f800000
	v_mov_b32_e32 v14, 0x42800000
	s_mov_b32 s41, 0x800000
	v_mov_b32_e32 v15, 0x4f800000
	v_mov_b32_e32 v16, 0x42000000
	s_mov_b32 s42, 0xf800000
	v_mov_b32_e32 v17, 0x260
	v_cmp_ne_u32_e64 s[2:3], 1, v2
	v_mov_b32_e32 v18, v0
	s_branch .LBB98_3
.LBB98_2:                               ;   in Loop: Header=BB98_3 Depth=1
	ds_write_b128 v12, v[2:5]
	v_mov_b32_e32 v2, s28
	v_add_co_u32_e32 v6, vcc, s37, v6
	v_add_u32_e32 v18, s29, v18
	v_addc_co_u32_e32 v7, vcc, v7, v2, vcc
	v_cmp_le_i32_e32 vcc, s7, v18
	v_add_u32_e32 v8, s38, v8
	s_or_b64 s[26:27], vcc, s[26:27]
	v_add_u32_e32 v12, s37, v12
	s_andn2_b64 exec, exec, s[26:27]
	s_cbranch_execz .LBB98_11
.LBB98_3:                               ; =>This Inner Loop Header: Depth=1
	global_load_dwordx4 v[2:5], v[6:7], off
	s_waitcnt vmcnt(0)
	v_mul_f32_e32 v10, 0x3fb8aa3b, v2
	v_cmp_gt_f32_e32 vcc, s40, v10
	v_cndmask_b32_e32 v11, 0, v14, vcc
	v_fmac_f32_e32 v11, 0x3fb8aa3b, v2
	v_exp_f32_e32 v11, v11
	v_cndmask_b32_e32 v10, 1.0, v13, vcc
	v_fma_f32 v10, v11, v10, 1.0
	v_cmp_gt_f32_e32 vcc, s41, v10
	v_cndmask_b32_e32 v11, 1.0, v15, vcc
	v_mul_f32_e32 v10, v10, v11
	v_log_f32_e32 v10, v10
	v_cndmask_b32_e32 v11, 0, v16, vcc
	v_cmp_lt_f32_e32 vcc, s39, v2
	v_sub_f32_e32 v10, v10, v11
	v_mul_f32_e32 v10, 0x3f317218, v10
	v_cndmask_b32_e32 v2, v10, v2, vcc
	v_mul_f32_e32 v10, 0x4f800000, v2
	v_cmp_gt_f32_e64 s[8:9], s42, v2
	v_cndmask_b32_e64 v2, v2, v10, s[8:9]
	v_sqrt_f32_e32 v10, v2
	s_and_b64 vcc, exec, s[2:3]
	v_add_u32_e32 v11, -1, v10
	v_add_u32_e32 v19, 1, v10
	v_fma_f32 v20, -v11, v10, v2
	v_fma_f32 v21, -v19, v10, v2
	v_cmp_ge_f32_e64 s[10:11], 0, v20
	v_cndmask_b32_e64 v10, v10, v11, s[10:11]
	v_cmp_lt_f32_e64 s[10:11], 0, v21
	v_cndmask_b32_e64 v10, v10, v19, s[10:11]
	v_mul_f32_e32 v11, 0x37800000, v10
	v_cndmask_b32_e64 v10, v10, v11, s[8:9]
	v_cmp_class_f32_e64 s[8:9], v2, v17
	v_cndmask_b32_e64 v2, v10, v2, s[8:9]
	v_lshlrev_b64 v[10:11], 1, v[8:9]
	s_cbranch_vccnz .LBB98_5
; %bb.4:                                ;   in Loop: Header=BB98_3 Depth=1
	v_mov_b32_e32 v19, s15
	v_add_co_u32_e32 v20, vcc, s14, v10
	v_addc_co_u32_e32 v21, vcc, v19, v11, vcc
	global_load_ushort v19, v[20:21], off
	s_waitcnt vmcnt(0)
	v_lshlrev_b32_e32 v19, 16, v19
	v_add_f32_e32 v2, v2, v19
.LBB98_5:                               ;   in Loop: Header=BB98_3 Depth=1
	v_mul_f32_e32 v19, 0x3fb8aa3b, v3
	v_cmp_gt_f32_e32 vcc, s40, v19
	v_cndmask_b32_e32 v20, 0, v14, vcc
	v_fmac_f32_e32 v20, 0x3fb8aa3b, v3
	v_exp_f32_e32 v20, v20
	v_cndmask_b32_e32 v19, 1.0, v13, vcc
	v_fma_f32 v19, v20, v19, 1.0
	v_cmp_gt_f32_e32 vcc, s41, v19
	v_cndmask_b32_e32 v20, 1.0, v15, vcc
	v_mul_f32_e32 v19, v19, v20
	v_log_f32_e32 v19, v19
	v_cndmask_b32_e32 v20, 0, v16, vcc
	v_cmp_lt_f32_e32 vcc, s39, v3
	v_sub_f32_e32 v19, v19, v20
	v_mul_f32_e32 v19, 0x3f317218, v19
	v_cndmask_b32_e32 v3, v19, v3, vcc
	v_mul_f32_e32 v19, 0x4f800000, v3
	v_cmp_gt_f32_e32 vcc, s42, v3
	v_cndmask_b32_e32 v3, v3, v19, vcc
	v_sqrt_f32_e32 v19, v3
	v_add_u32_e32 v20, -1, v19
	v_add_u32_e32 v21, 1, v19
	v_fma_f32 v22, -v20, v19, v3
	v_fma_f32 v23, -v21, v19, v3
	v_cmp_ge_f32_e64 s[8:9], 0, v22
	v_cndmask_b32_e64 v19, v19, v20, s[8:9]
	v_cmp_lt_f32_e64 s[8:9], 0, v23
	v_cndmask_b32_e64 v19, v19, v21, s[8:9]
	v_mul_f32_e32 v20, 0x37800000, v19
	v_cndmask_b32_e32 v19, v19, v20, vcc
	v_cmp_class_f32_e64 s[8:9], v3, v17
	s_and_b64 vcc, exec, s[2:3]
	v_cndmask_b32_e64 v3, v19, v3, s[8:9]
	s_cbranch_vccnz .LBB98_7
; %bb.6:                                ;   in Loop: Header=BB98_3 Depth=1
	v_mov_b32_e32 v19, s31
	v_add_co_u32_e32 v20, vcc, s30, v10
	v_addc_co_u32_e32 v21, vcc, v19, v11, vcc
	global_load_ushort v19, v[20:21], off
	s_waitcnt vmcnt(0)
	v_lshlrev_b32_e32 v19, 16, v19
	v_add_f32_e32 v3, v3, v19
.LBB98_7:                               ;   in Loop: Header=BB98_3 Depth=1
	v_mul_f32_e32 v19, 0x3fb8aa3b, v4
	v_cmp_gt_f32_e32 vcc, s40, v19
	v_cndmask_b32_e32 v20, 0, v14, vcc
	v_fmac_f32_e32 v20, 0x3fb8aa3b, v4
	v_exp_f32_e32 v20, v20
	v_cndmask_b32_e32 v19, 1.0, v13, vcc
	v_fma_f32 v19, v20, v19, 1.0
	v_cmp_gt_f32_e32 vcc, s41, v19
	v_cndmask_b32_e32 v20, 1.0, v15, vcc
	v_mul_f32_e32 v19, v19, v20
	v_log_f32_e32 v19, v19
	v_cndmask_b32_e32 v20, 0, v16, vcc
	v_cmp_lt_f32_e32 vcc, s39, v4
	v_sub_f32_e32 v19, v19, v20
	v_mul_f32_e32 v19, 0x3f317218, v19
	v_cndmask_b32_e32 v4, v19, v4, vcc
	v_mul_f32_e32 v19, 0x4f800000, v4
	v_cmp_gt_f32_e32 vcc, s42, v4
	v_cndmask_b32_e32 v4, v4, v19, vcc
	v_sqrt_f32_e32 v19, v4
	v_add_u32_e32 v20, -1, v19
	v_add_u32_e32 v21, 1, v19
	v_fma_f32 v22, -v20, v19, v4
	v_fma_f32 v23, -v21, v19, v4
	v_cmp_ge_f32_e64 s[8:9], 0, v22
	v_cndmask_b32_e64 v19, v19, v20, s[8:9]
	v_cmp_lt_f32_e64 s[8:9], 0, v23
	v_cndmask_b32_e64 v19, v19, v21, s[8:9]
	v_mul_f32_e32 v20, 0x37800000, v19
	v_cndmask_b32_e32 v19, v19, v20, vcc
	v_cmp_class_f32_e64 s[8:9], v4, v17
	s_and_b64 vcc, exec, s[2:3]
	v_cndmask_b32_e64 v4, v19, v4, s[8:9]
	;; [unrolled: 43-line block ×3, first 2 shown]
	s_cbranch_vccnz .LBB98_2
; %bb.10:                               ;   in Loop: Header=BB98_3 Depth=1
	v_mov_b32_e32 v19, s36
	v_add_co_u32_e32 v10, vcc, s35, v10
	v_addc_co_u32_e32 v11, vcc, v19, v11, vcc
	global_load_ushort v10, v[10:11], off
	s_waitcnt vmcnt(0)
	v_lshlrev_b32_e32 v10, 16, v10
	v_add_f32_e32 v5, v5, v10
	s_branch .LBB98_2
.LBB98_11:
	s_or_b64 exec, exec, s[24:25]
	v_lshl_add_u32 v2, s7, 2, v0
	v_cmp_gt_i32_e32 vcc, s20, v2
	s_and_saveexec_b64 s[10:11], vcc
	s_cbranch_execz .LBB98_16
; %bb.12:
	s_load_dword s8, s[4:5], 0x44
	s_lshl_b64 s[2:3], s[22:23], 2
	s_add_u32 s22, s12, s2
	s_addc_u32 s9, s13, s3
	s_cmp_lg_u64 s[14:15], 0
	s_cselect_b64 s[2:3], -1, 0
	s_waitcnt lgkmcnt(0)
	s_and_b32 s23, s8, 0xffff
	s_lshl_b32 s8, s7, 4
	s_add_i32 s8, s8, 0
	v_cndmask_b32_e64 v3, 0, 1, s[2:3]
	s_mov_b64 s[12:13], 0
	v_lshl_add_u32 v4, v0, 2, s8
	s_lshl_b32 s24, s23, 2
	v_mov_b32_e32 v5, s9
	s_mov_b32 s25, 0x41a00000
	s_mov_b32 s26, 0xc2fc0000
	v_mov_b32_e32 v6, 0x42800000
	v_mov_b32_e32 v7, 0x1f800000
	s_mov_b32 s27, 0x800000
	v_mov_b32_e32 v8, 0x4f800000
	v_mov_b32_e32 v9, 0x42000000
	s_mov_b32 s28, 0xf800000
	v_mov_b32_e32 v10, 0x260
	v_cmp_ne_u32_e64 s[2:3], 1, v3
	s_branch .LBB98_14
.LBB98_13:                              ;   in Loop: Header=BB98_14 Depth=1
	v_add_u32_e32 v2, s23, v2
	v_cmp_le_i32_e32 vcc, s20, v2
	s_or_b64 s[12:13], vcc, s[12:13]
	v_add_u32_e32 v4, s24, v4
	s_andn2_b64 exec, exec, s[12:13]
	s_cbranch_execz .LBB98_16
.LBB98_14:                              ; =>This Inner Loop Header: Depth=1
	v_ashrrev_i32_e32 v3, 31, v2
	v_lshlrev_b64 v[12:13], 2, v[2:3]
	v_add_co_u32_e32 v12, vcc, s22, v12
	v_addc_co_u32_e32 v13, vcc, v5, v13, vcc
	global_load_dword v11, v[12:13], off
	s_waitcnt vmcnt(0)
	v_mul_f32_e32 v12, 0x3fb8aa3b, v11
	v_cmp_gt_f32_e32 vcc, s26, v12
	v_cndmask_b32_e32 v12, 0, v6, vcc
	v_fmac_f32_e32 v12, 0x3fb8aa3b, v11
	v_exp_f32_e32 v12, v12
	v_cndmask_b32_e32 v13, 1.0, v7, vcc
	v_fma_f32 v12, v12, v13, 1.0
	v_cmp_gt_f32_e32 vcc, s27, v12
	v_cndmask_b32_e32 v13, 1.0, v8, vcc
	v_mul_f32_e32 v12, v12, v13
	v_log_f32_e32 v12, v12
	v_cndmask_b32_e32 v13, 0, v9, vcc
	v_cmp_lt_f32_e32 vcc, s25, v11
	v_sub_f32_e32 v12, v12, v13
	v_mul_f32_e32 v12, 0x3f317218, v12
	v_cndmask_b32_e32 v11, v12, v11, vcc
	v_mul_f32_e32 v12, 0x4f800000, v11
	v_cmp_gt_f32_e32 vcc, s28, v11
	v_cndmask_b32_e32 v11, v11, v12, vcc
	v_sqrt_f32_e32 v12, v11
	v_add_u32_e32 v13, -1, v12
	v_add_u32_e32 v14, 1, v12
	v_fma_f32 v15, -v13, v12, v11
	v_fma_f32 v16, -v14, v12, v11
	v_cmp_ge_f32_e64 s[8:9], 0, v15
	v_cndmask_b32_e64 v12, v12, v13, s[8:9]
	v_cmp_lt_f32_e64 s[8:9], 0, v16
	v_cndmask_b32_e64 v12, v12, v14, s[8:9]
	v_mul_f32_e32 v13, 0x37800000, v12
	v_cndmask_b32_e32 v12, v12, v13, vcc
	v_cmp_class_f32_e32 vcc, v11, v10
	v_cndmask_b32_e32 v11, v12, v11, vcc
	s_and_b64 vcc, exec, s[2:3]
	ds_write_b32 v4, v11
	s_cbranch_vccnz .LBB98_13
; %bb.15:                               ;   in Loop: Header=BB98_14 Depth=1
	v_lshlrev_b64 v[12:13], 1, v[2:3]
	v_mov_b32_e32 v3, s15
	v_add_co_u32_e32 v12, vcc, s14, v12
	v_addc_co_u32_e32 v13, vcc, v3, v13, vcc
	global_load_ushort v3, v[12:13], off
	s_waitcnt vmcnt(0)
	v_lshlrev_b32_e32 v3, 16, v3
	v_add_f32_e32 v3, v11, v3
	ds_write_b32 v4, v3
	s_branch .LBB98_13
.LBB98_16:
	s_or_b64 exec, exec, s[10:11]
	s_cmp_lt_i32 s21, 1
	s_waitcnt lgkmcnt(0)
	s_barrier
	s_cbranch_scc1 .LBB98_25
; %bb.17:
	s_add_u32 s2, s4, 56
	s_addc_u32 s3, s5, 0
	v_mbcnt_lo_u32_b32 v3, -1, 0
	s_cmp_lg_u64 s[14:15], 0
	v_mbcnt_hi_u32_b32 v3, -1, v3
	v_bfrev_b32_e32 v6, 0.5
	s_cselect_b64 s[8:9], -1, 0
	s_mov_b32 s20, 0
	v_mov_b32_e32 v2, 0
	v_lshl_add_u32 v4, v0, 4, 0
	v_mov_b32_e32 v5, 0
	v_lshl_or_b32 v6, v3, 2, v6
	v_mov_b32_e32 v7, 0xff800000
	v_mov_b32_e32 v3, 0
	s_branch .LBB98_19
.LBB98_18:                              ;   in Loop: Header=BB98_19 Depth=1
	s_lshl_b32 s11, s10, 2
	s_add_i32 s11, s11, 0
	v_mov_b32_e32 v8, s11
	ds_write_b32 v8, v7
	v_mov_b32_e32 v8, s10
	v_cmp_eq_u32_e32 vcc, s20, v0
	s_add_i32 s20, s20, 1
	v_cndmask_b32_e32 v2, v2, v8, vcc
	s_cmp_eq_u32 s20, s21
	v_cndmask_b32_e32 v3, v3, v10, vcc
	s_cbranch_scc1 .LBB98_26
.LBB98_19:                              ; =>This Loop Header: Depth=1
                                        ;     Child Loop BB98_21 Depth 2
	v_mov_b32_e32 v8, s20
	v_mov_b32_e32 v9, 0xff800000
	s_and_saveexec_b64 s[10:11], s[0:1]
	s_cbranch_execz .LBB98_23
; %bb.20:                               ;   in Loop: Header=BB98_19 Depth=1
	s_load_dword s22, s[2:3], 0xc
	s_mov_b64 s[12:13], 0
	v_mov_b32_e32 v8, s20
	v_mov_b32_e32 v9, 0xff800000
	;; [unrolled: 1-line block ×3, first 2 shown]
	s_waitcnt lgkmcnt(0)
	s_and_b32 s22, s22, 0xffff
	s_lshl_b32 s23, s22, 2
	s_lshl_b32 s24, s22, 4
	v_mov_b32_e32 v11, v1
	v_mov_b32_e32 v12, v0
.LBB98_21:                              ;   Parent Loop BB98_19 Depth=1
                                        ; =>  This Inner Loop Header: Depth=2
	ds_read_b128 v[14:17], v10
	v_add_u32_e32 v12, s22, v12
	v_cmp_le_i32_e32 vcc, s7, v12
	s_or_b64 s[12:13], vcc, s[12:13]
	v_add_u32_e32 v13, 1, v11
	s_waitcnt lgkmcnt(0)
	v_cmp_gt_f32_e32 vcc, v14, v9
	v_cndmask_b32_e32 v9, v9, v14, vcc
	v_cndmask_b32_e32 v8, v8, v11, vcc
	v_cmp_gt_f32_e32 vcc, v15, v9
	v_cndmask_b32_e32 v9, v9, v15, vcc
	v_cndmask_b32_e32 v8, v8, v13, vcc
	v_cmp_gt_f32_e32 vcc, v16, v9
	v_add_u32_e32 v18, 2, v11
	v_cndmask_b32_e32 v9, v9, v16, vcc
	v_add_u32_e32 v19, 3, v11
	v_cndmask_b32_e32 v8, v8, v18, vcc
	v_cmp_gt_f32_e32 vcc, v17, v9
	v_add_u32_e32 v10, s24, v10
	v_add_u32_e32 v11, s23, v11
	v_cndmask_b32_e32 v9, v9, v17, vcc
	v_cndmask_b32_e32 v8, v8, v19, vcc
	s_andn2_b64 exec, exec, s[12:13]
	s_cbranch_execnz .LBB98_21
; %bb.22:                               ;   in Loop: Header=BB98_19 Depth=1
	s_or_b64 exec, exec, s[12:13]
.LBB98_23:                              ;   in Loop: Header=BB98_19 Depth=1
	s_or_b64 exec, exec, s[10:11]
	;;#ASMSTART
	v_max_f32 v10, v9, v9 quad_perm:[1,0,3,2] row_mask:0xf bank_mask:0xf bound_ctrl:1
	;;#ASMEND
	;;#ASMSTART
	v_max_f32 v11, v10, v10 quad_perm:[2,3,0,1] row_mask:0xf bank_mask:0xf bound_ctrl:1
	;;#ASMEND
	;;#ASMSTART
	v_max_f32 v10, v11, v11 row_half_mirror row_mask:0xf bank_mask:0xf bound_ctrl:1
	;;#ASMEND
	;;#ASMSTART
	v_max_f32 v11, v10, v10 row_mirror row_mask:0xf bank_mask:0xf bound_ctrl:1
	;;#ASMEND
	;;#ASMSTART
	v_max_f32 v10, v11, v11 row_ror:4 row_mask:0xf bank_mask:0xf bound_ctrl:1
	;;#ASMEND
	;;#ASMSTART
	v_max_f32 v11, v10, v10 row_ror:8 row_mask:0xf bank_mask:0xf bound_ctrl:1
	;;#ASMEND
	;;#ASMSTART
	v_max_f32 v10, v11, v11 row_bcast:15 row_mask:0xf bank_mask:0xf bound_ctrl:1
	;;#ASMEND
	;;#ASMSTART
	v_max_f32 v11, v10, v10 row_bcast:31 row_mask:0xf bank_mask:0xf bound_ctrl:1
	;;#ASMEND
	ds_bpermute_b32 v10, v6, v11
	s_waitcnt lgkmcnt(0)
	v_cmp_eq_f32_e32 vcc, v9, v10
	s_ff1_i32_b64 s10, vcc
	s_cmp_lg_u64 vcc, 0
	s_cselect_b32 s10, s10, 0
	s_and_b64 vcc, exec, s[8:9]
	v_readlane_b32 s10, v8, s10
	s_cbranch_vccz .LBB98_18
; %bb.24:                               ;   in Loop: Header=BB98_19 Depth=1
	s_ashr_i32 s11, s10, 31
	s_lshl_b64 s[12:13], s[10:11], 1
	s_add_u32 s12, s14, s12
	s_addc_u32 s13, s15, s13
	global_load_ushort v8, v5, s[12:13]
	s_waitcnt vmcnt(0)
	v_lshlrev_b32_e32 v8, 16, v8
	v_sub_f32_e32 v10, v10, v8
	s_branch .LBB98_18
.LBB98_25:
	v_mov_b32_e32 v3, 0
	v_mov_b32_e32 v2, 0
.LBB98_26:
	v_cmp_gt_i32_e32 vcc, s21, v0
	s_and_saveexec_b64 s[0:1], vcc
	s_cbranch_execz .LBB98_29
; %bb.27:
	s_load_dword s2, s[4:5], 0x34
	s_load_dwordx2 s[0:1], s[4:5], 0x20
	s_ashr_i32 s3, s6, 31
	s_load_dword s4, s[4:5], 0x44
	v_mov_b32_e32 v4, s17
	s_waitcnt lgkmcnt(0)
	v_mul_f32_e32 v1, s2, v3
	s_mul_i32 s1, s6, s1
	s_mul_hi_u32 s2, s6, s0
	s_add_i32 s1, s2, s1
	s_mul_i32 s3, s3, s0
	s_add_i32 s5, s1, s3
	s_mul_i32 s2, s6, s0
	s_and_b32 s3, s4, 0xffff
	s_mov_b64 s[0:1], 0
	v_mov_b32_e32 v3, s5
	v_mov_b32_e32 v5, s19
.LBB98_28:                              ; =>This Inner Loop Header: Depth=1
	v_ashrrev_i32_e32 v7, 31, v0
	v_add_co_u32_e32 v6, vcc, s2, v0
	v_addc_co_u32_e32 v7, vcc, v3, v7, vcc
	v_add_u32_e32 v0, s3, v0
	v_cmp_le_i32_e32 vcc, s21, v0
	v_lshlrev_b64 v[6:7], 2, v[6:7]
	s_or_b64 s[0:1], vcc, s[0:1]
	v_add_co_u32_e32 v8, vcc, s16, v6
	v_addc_co_u32_e32 v9, vcc, v4, v7, vcc
	v_add_co_u32_e32 v6, vcc, s18, v6
	v_addc_co_u32_e32 v7, vcc, v5, v7, vcc
	global_store_dword v[8:9], v1, off
	global_store_dword v[6:7], v2, off
	s_andn2_b64 exec, exec, s[0:1]
	s_cbranch_execnz .LBB98_28
.LBB98_29:
	s_endpgm
	.section	.rodata,"a",@progbits
	.p2align	6, 0x0
	.amdhsa_kernel _ZN5aiter20topk_softplus_kernelIf12hip_bfloat16Dv4_fLb0ELi0EEEvPKT_PKT0_PfPimiiif
		.amdhsa_group_segment_fixed_size 0
		.amdhsa_private_segment_fixed_size 0
		.amdhsa_kernarg_size 312
		.amdhsa_user_sgpr_count 6
		.amdhsa_user_sgpr_private_segment_buffer 1
		.amdhsa_user_sgpr_dispatch_ptr 0
		.amdhsa_user_sgpr_queue_ptr 0
		.amdhsa_user_sgpr_kernarg_segment_ptr 1
		.amdhsa_user_sgpr_dispatch_id 0
		.amdhsa_user_sgpr_flat_scratch_init 0
		.amdhsa_user_sgpr_kernarg_preload_length 0
		.amdhsa_user_sgpr_kernarg_preload_offset 0
		.amdhsa_user_sgpr_private_segment_size 0
		.amdhsa_uses_dynamic_stack 0
		.amdhsa_system_sgpr_private_segment_wavefront_offset 0
		.amdhsa_system_sgpr_workgroup_id_x 1
		.amdhsa_system_sgpr_workgroup_id_y 0
		.amdhsa_system_sgpr_workgroup_id_z 0
		.amdhsa_system_sgpr_workgroup_info 0
		.amdhsa_system_vgpr_workitem_id 0
		.amdhsa_next_free_vgpr 24
		.amdhsa_next_free_sgpr 43
		.amdhsa_accum_offset 24
		.amdhsa_reserve_vcc 1
		.amdhsa_reserve_flat_scratch 0
		.amdhsa_float_round_mode_32 0
		.amdhsa_float_round_mode_16_64 0
		.amdhsa_float_denorm_mode_32 3
		.amdhsa_float_denorm_mode_16_64 3
		.amdhsa_dx10_clamp 1
		.amdhsa_ieee_mode 1
		.amdhsa_fp16_overflow 0
		.amdhsa_tg_split 0
		.amdhsa_exception_fp_ieee_invalid_op 0
		.amdhsa_exception_fp_denorm_src 0
		.amdhsa_exception_fp_ieee_div_zero 0
		.amdhsa_exception_fp_ieee_overflow 0
		.amdhsa_exception_fp_ieee_underflow 0
		.amdhsa_exception_fp_ieee_inexact 0
		.amdhsa_exception_int_div_zero 0
	.end_amdhsa_kernel
	.section	.text._ZN5aiter20topk_softplus_kernelIf12hip_bfloat16Dv4_fLb0ELi0EEEvPKT_PKT0_PfPimiiif,"axG",@progbits,_ZN5aiter20topk_softplus_kernelIf12hip_bfloat16Dv4_fLb0ELi0EEEvPKT_PKT0_PfPimiiif,comdat
.Lfunc_end98:
	.size	_ZN5aiter20topk_softplus_kernelIf12hip_bfloat16Dv4_fLb0ELi0EEEvPKT_PKT0_PfPimiiif, .Lfunc_end98-_ZN5aiter20topk_softplus_kernelIf12hip_bfloat16Dv4_fLb0ELi0EEEvPKT_PKT0_PfPimiiif
                                        ; -- End function
	.section	.AMDGPU.csdata,"",@progbits
; Kernel info:
; codeLenInByte = 2392
; NumSgprs: 47
; NumVgprs: 24
; NumAgprs: 0
; TotalNumVgprs: 24
; ScratchSize: 0
; MemoryBound: 0
; FloatMode: 240
; IeeeMode: 1
; LDSByteSize: 0 bytes/workgroup (compile time only)
; SGPRBlocks: 5
; VGPRBlocks: 2
; NumSGPRsForWavesPerEU: 47
; NumVGPRsForWavesPerEU: 24
; AccumOffset: 24
; Occupancy: 8
; WaveLimiterHint : 0
; COMPUTE_PGM_RSRC2:SCRATCH_EN: 0
; COMPUTE_PGM_RSRC2:USER_SGPR: 6
; COMPUTE_PGM_RSRC2:TRAP_HANDLER: 0
; COMPUTE_PGM_RSRC2:TGID_X_EN: 1
; COMPUTE_PGM_RSRC2:TGID_Y_EN: 0
; COMPUTE_PGM_RSRC2:TGID_Z_EN: 0
; COMPUTE_PGM_RSRC2:TIDIG_COMP_CNT: 0
; COMPUTE_PGM_RSRC3_GFX90A:ACCUM_OFFSET: 5
; COMPUTE_PGM_RSRC3_GFX90A:TG_SPLIT: 0
	.section	.text._ZN5aiter20topk_softplus_kernelIf12hip_bfloat16Dv2_fLb1ELi0EEEvPKT_PKT0_PfPimiiif,"axG",@progbits,_ZN5aiter20topk_softplus_kernelIf12hip_bfloat16Dv2_fLb1ELi0EEEvPKT_PKT0_PfPimiiif,comdat
	.protected	_ZN5aiter20topk_softplus_kernelIf12hip_bfloat16Dv2_fLb1ELi0EEEvPKT_PKT0_PfPimiiif ; -- Begin function _ZN5aiter20topk_softplus_kernelIf12hip_bfloat16Dv2_fLb1ELi0EEEvPKT_PKT0_PfPimiiif
	.globl	_ZN5aiter20topk_softplus_kernelIf12hip_bfloat16Dv2_fLb1ELi0EEEvPKT_PKT0_PfPimiiif
	.p2align	8
	.type	_ZN5aiter20topk_softplus_kernelIf12hip_bfloat16Dv2_fLb1ELi0EEEvPKT_PKT0_PfPimiiif,@function
_ZN5aiter20topk_softplus_kernelIf12hip_bfloat16Dv2_fLb1ELi0EEEvPKT_PKT0_PfPimiiif: ; @_ZN5aiter20topk_softplus_kernelIf12hip_bfloat16Dv2_fLb1ELi0EEEvPKT_PKT0_PfPimiiif
; %bb.0:
	s_load_dwordx2 s[20:21], s[4:5], 0x28
	s_load_dwordx8 s[12:19], s[4:5], 0x0
	s_waitcnt lgkmcnt(0)
	s_lshr_b32 s0, s20, 31
	s_add_i32 s0, s20, s0
	s_mul_i32 s22, s6, s20
	s_ashr_i32 s7, s0, 1
	s_ashr_i32 s23, s22, 31
	v_cmp_gt_i32_e64 s[0:1], s7, v0
	s_and_saveexec_b64 s[24:25], s[0:1]
	s_cbranch_execz .LBB99_7
; %bb.1:
	s_load_dword s8, s[4:5], 0x44
	s_cmp_lg_u64 s[14:15], 0
	s_cselect_b64 s[2:3], -1, 0
	v_lshlrev_b32_e32 v1, 3, v0
	v_lshlrev_b32_e32 v4, 2, v0
	s_waitcnt lgkmcnt(0)
	s_and_b32 s28, s8, 0xffff
	s_lshl_b64 s[8:9], s[22:23], 2
	s_add_u32 s8, s12, s8
	s_addc_u32 s9, s13, s9
	v_mov_b32_e32 v3, s9
	v_add_co_u32_e32 v2, vcc, s8, v1
	v_addc_co_u32_e32 v3, vcc, 0, v3, vcc
	v_mov_b32_e32 v5, s15
	v_add_co_u32_e32 v4, vcc, s14, v4
	v_addc_co_u32_e32 v5, vcc, 0, v5, vcc
	s_mov_b32 s10, 0
	v_add_co_u32_e32 v4, vcc, 2, v4
	v_cndmask_b32_e64 v6, 0, 1, s[2:3]
	s_mov_b64 s[26:27], 0
	s_lshl_b32 s29, s28, 3
	v_addc_co_u32_e32 v5, vcc, 0, v5, vcc
	s_lshl_b32 s30, s28, 2
	v_add_u32_e32 v1, 0, v1
	s_mov_b32 s31, 0x41a00000
	s_mov_b32 s33, 0xc2fc0000
	v_mov_b32_e32 v8, 0x1f800000
	v_mov_b32_e32 v9, 0x42800000
	s_mov_b32 s34, 0x800000
	v_mov_b32_e32 v10, 0x4f800000
	v_mov_b32_e32 v11, 0x42000000
	s_mov_b32 s35, 0xf800000
	v_mov_b32_e32 v12, 0x260
	v_cmp_ne_u32_e64 s[2:3], 1, v6
	v_mov_b32_e32 v13, s10
	v_mov_b32_e32 v14, s10
	v_mov_b32_e32 v15, v0
	s_branch .LBB99_3
.LBB99_2:                               ;   in Loop: Header=BB99_3 Depth=1
	v_add_co_u32_e32 v2, vcc, s29, v2
	v_addc_co_u32_e32 v3, vcc, v3, v13, vcc
	v_add_co_u32_e32 v4, vcc, s30, v4
	v_add_u32_e32 v15, s28, v15
	v_addc_co_u32_e32 v5, vcc, v5, v14, vcc
	v_cmp_le_i32_e32 vcc, s7, v15
	ds_write_b64 v1, v[6:7]
	s_or_b64 s[26:27], vcc, s[26:27]
	v_add_u32_e32 v1, s29, v1
	s_andn2_b64 exec, exec, s[26:27]
	s_cbranch_execz .LBB99_7
.LBB99_3:                               ; =>This Inner Loop Header: Depth=1
	global_load_dwordx2 v[6:7], v[2:3], off
	s_waitcnt vmcnt(0)
	v_mul_f32_e32 v16, 0x3fb8aa3b, v6
	v_cmp_gt_f32_e32 vcc, s33, v16
	v_cndmask_b32_e32 v17, 0, v9, vcc
	v_fmac_f32_e32 v17, 0x3fb8aa3b, v6
	v_exp_f32_e32 v17, v17
	v_cndmask_b32_e32 v16, 1.0, v8, vcc
	v_fma_f32 v16, v17, v16, 1.0
	v_cmp_gt_f32_e32 vcc, s34, v16
	v_cndmask_b32_e32 v17, 1.0, v10, vcc
	v_mul_f32_e32 v16, v16, v17
	v_log_f32_e32 v16, v16
	v_cndmask_b32_e32 v17, 0, v11, vcc
	v_cmp_lt_f32_e32 vcc, s31, v6
	v_sub_f32_e32 v16, v16, v17
	v_mul_f32_e32 v16, 0x3f317218, v16
	v_cndmask_b32_e32 v6, v16, v6, vcc
	v_mul_f32_e32 v16, 0x4f800000, v6
	v_cmp_gt_f32_e64 s[8:9], s35, v6
	v_cndmask_b32_e64 v6, v6, v16, s[8:9]
	v_sqrt_f32_e32 v16, v6
	s_and_b64 vcc, exec, s[2:3]
	v_add_u32_e32 v17, -1, v16
	v_add_u32_e32 v18, 1, v16
	v_fma_f32 v19, -v17, v16, v6
	v_fma_f32 v20, -v18, v16, v6
	v_cmp_ge_f32_e64 s[10:11], 0, v19
	v_cndmask_b32_e64 v16, v16, v17, s[10:11]
	v_cmp_lt_f32_e64 s[10:11], 0, v20
	v_cndmask_b32_e64 v16, v16, v18, s[10:11]
	v_mul_f32_e32 v17, 0x37800000, v16
	v_cndmask_b32_e64 v16, v16, v17, s[8:9]
	v_cmp_class_f32_e64 s[8:9], v6, v12
	v_cndmask_b32_e64 v6, v16, v6, s[8:9]
	s_cbranch_vccnz .LBB99_5
; %bb.4:                                ;   in Loop: Header=BB99_3 Depth=1
	global_load_ushort v16, v[4:5], off offset:-2
	s_waitcnt vmcnt(0)
	v_lshlrev_b32_e32 v16, 16, v16
	v_add_f32_e32 v6, v6, v16
.LBB99_5:                               ;   in Loop: Header=BB99_3 Depth=1
	v_mul_f32_e32 v16, 0x3fb8aa3b, v7
	v_cmp_gt_f32_e32 vcc, s33, v16
	v_cndmask_b32_e32 v17, 0, v9, vcc
	v_fmac_f32_e32 v17, 0x3fb8aa3b, v7
	v_exp_f32_e32 v17, v17
	v_cndmask_b32_e32 v16, 1.0, v8, vcc
	v_fma_f32 v16, v17, v16, 1.0
	v_cmp_gt_f32_e32 vcc, s34, v16
	v_cndmask_b32_e32 v17, 1.0, v10, vcc
	v_mul_f32_e32 v16, v16, v17
	v_log_f32_e32 v16, v16
	v_cndmask_b32_e32 v17, 0, v11, vcc
	v_cmp_lt_f32_e32 vcc, s31, v7
	v_sub_f32_e32 v16, v16, v17
	v_mul_f32_e32 v16, 0x3f317218, v16
	v_cndmask_b32_e32 v7, v16, v7, vcc
	v_mul_f32_e32 v16, 0x4f800000, v7
	v_cmp_gt_f32_e32 vcc, s35, v7
	v_cndmask_b32_e32 v7, v7, v16, vcc
	v_sqrt_f32_e32 v16, v7
	v_add_u32_e32 v17, -1, v16
	v_add_u32_e32 v18, 1, v16
	v_fma_f32 v19, -v17, v16, v7
	v_fma_f32 v20, -v18, v16, v7
	v_cmp_ge_f32_e64 s[8:9], 0, v19
	v_cndmask_b32_e64 v16, v16, v17, s[8:9]
	v_cmp_lt_f32_e64 s[8:9], 0, v20
	v_cndmask_b32_e64 v16, v16, v18, s[8:9]
	v_mul_f32_e32 v17, 0x37800000, v16
	v_cndmask_b32_e32 v16, v16, v17, vcc
	v_cmp_class_f32_e64 s[8:9], v7, v12
	s_and_b64 vcc, exec, s[2:3]
	v_cndmask_b32_e64 v7, v16, v7, s[8:9]
	s_cbranch_vccnz .LBB99_2
; %bb.6:                                ;   in Loop: Header=BB99_3 Depth=1
	global_load_ushort v16, v[4:5], off
	s_waitcnt vmcnt(0)
	v_lshlrev_b32_e32 v16, 16, v16
	v_add_f32_e32 v7, v7, v16
	s_branch .LBB99_2
.LBB99_7:
	s_or_b64 exec, exec, s[24:25]
	v_lshl_add_u32 v2, s7, 1, v0
	v_cmp_gt_i32_e32 vcc, s20, v2
	s_and_saveexec_b64 s[10:11], vcc
	s_cbranch_execz .LBB99_12
; %bb.8:
	s_load_dword s8, s[4:5], 0x44
	s_lshl_b64 s[2:3], s[22:23], 2
	s_add_u32 s22, s12, s2
	s_addc_u32 s9, s13, s3
	s_cmp_lg_u64 s[14:15], 0
	s_cselect_b64 s[2:3], -1, 0
	s_waitcnt lgkmcnt(0)
	s_and_b32 s23, s8, 0xffff
	s_lshl_b32 s8, s7, 3
	s_add_i32 s8, s8, 0
	v_cndmask_b32_e64 v3, 0, 1, s[2:3]
	s_mov_b64 s[12:13], 0
	v_lshl_add_u32 v1, v0, 2, s8
	s_lshl_b32 s24, s23, 2
	v_mov_b32_e32 v4, s9
	s_mov_b32 s25, 0x41a00000
	s_mov_b32 s26, 0xc2fc0000
	v_mov_b32_e32 v5, 0x42800000
	v_mov_b32_e32 v6, 0x1f800000
	s_mov_b32 s27, 0x800000
	v_mov_b32_e32 v7, 0x4f800000
	v_mov_b32_e32 v8, 0x42000000
	s_mov_b32 s28, 0xf800000
	v_mov_b32_e32 v9, 0x260
	v_cmp_ne_u32_e64 s[2:3], 1, v3
	s_branch .LBB99_10
.LBB99_9:                               ;   in Loop: Header=BB99_10 Depth=1
	v_add_u32_e32 v2, s23, v2
	v_cmp_le_i32_e32 vcc, s20, v2
	s_or_b64 s[12:13], vcc, s[12:13]
	v_add_u32_e32 v1, s24, v1
	s_andn2_b64 exec, exec, s[12:13]
	s_cbranch_execz .LBB99_12
.LBB99_10:                              ; =>This Inner Loop Header: Depth=1
	v_ashrrev_i32_e32 v3, 31, v2
	v_lshlrev_b64 v[10:11], 2, v[2:3]
	v_add_co_u32_e32 v10, vcc, s22, v10
	v_addc_co_u32_e32 v11, vcc, v4, v11, vcc
	global_load_dword v10, v[10:11], off
	s_waitcnt vmcnt(0)
	v_mul_f32_e32 v11, 0x3fb8aa3b, v10
	v_cmp_gt_f32_e32 vcc, s26, v11
	v_cndmask_b32_e32 v11, 0, v5, vcc
	v_fmac_f32_e32 v11, 0x3fb8aa3b, v10
	v_exp_f32_e32 v11, v11
	v_cndmask_b32_e32 v12, 1.0, v6, vcc
	v_fma_f32 v11, v11, v12, 1.0
	v_cmp_gt_f32_e32 vcc, s27, v11
	v_cndmask_b32_e32 v12, 1.0, v7, vcc
	v_mul_f32_e32 v11, v11, v12
	v_log_f32_e32 v11, v11
	v_cndmask_b32_e32 v12, 0, v8, vcc
	v_cmp_lt_f32_e32 vcc, s25, v10
	v_sub_f32_e32 v11, v11, v12
	v_mul_f32_e32 v11, 0x3f317218, v11
	v_cndmask_b32_e32 v10, v11, v10, vcc
	v_mul_f32_e32 v11, 0x4f800000, v10
	v_cmp_gt_f32_e32 vcc, s28, v10
	v_cndmask_b32_e32 v10, v10, v11, vcc
	v_sqrt_f32_e32 v11, v10
	v_add_u32_e32 v12, -1, v11
	v_add_u32_e32 v13, 1, v11
	v_fma_f32 v14, -v12, v11, v10
	v_fma_f32 v15, -v13, v11, v10
	v_cmp_ge_f32_e64 s[8:9], 0, v14
	v_cndmask_b32_e64 v11, v11, v12, s[8:9]
	v_cmp_lt_f32_e64 s[8:9], 0, v15
	v_cndmask_b32_e64 v11, v11, v13, s[8:9]
	v_mul_f32_e32 v12, 0x37800000, v11
	v_cndmask_b32_e32 v11, v11, v12, vcc
	v_cmp_class_f32_e32 vcc, v10, v9
	v_cndmask_b32_e32 v10, v11, v10, vcc
	s_and_b64 vcc, exec, s[2:3]
	ds_write_b32 v1, v10
	s_cbranch_vccnz .LBB99_9
; %bb.11:                               ;   in Loop: Header=BB99_10 Depth=1
	v_lshlrev_b64 v[12:13], 1, v[2:3]
	v_mov_b32_e32 v3, s15
	v_add_co_u32_e32 v12, vcc, s14, v12
	v_addc_co_u32_e32 v13, vcc, v3, v13, vcc
	global_load_ushort v3, v[12:13], off
	s_waitcnt vmcnt(0)
	v_lshlrev_b32_e32 v3, 16, v3
	v_add_f32_e32 v3, v10, v3
	ds_write_b32 v1, v3
	s_branch .LBB99_9
.LBB99_12:
	s_or_b64 exec, exec, s[10:11]
	s_cmp_lt_i32 s21, 1
	v_mov_b32_e32 v2, 0
	s_waitcnt lgkmcnt(0)
	s_barrier
	s_cbranch_scc1 .LBB99_21
; %bb.13:
	s_add_u32 s2, s4, 56
	s_addc_u32 s3, s5, 0
	v_mbcnt_lo_u32_b32 v1, -1, 0
	s_cmp_lg_u64 s[14:15], 0
	v_mbcnt_hi_u32_b32 v1, -1, v1
	v_bfrev_b32_e32 v3, 0.5
	s_cselect_b64 s[8:9], -1, 0
	v_lshlrev_b32_e32 v4, 1, v0
	v_lshl_add_u32 v5, v0, 3, 0
	s_mov_b32 s20, 0
	v_mov_b32_e32 v2, 0
	v_lshl_or_b32 v6, v1, 2, v3
	v_mov_b32_e32 v7, 0
	v_mov_b32_e32 v8, 0xff800000
	v_mov_b32_e32 v1, 0
	v_mov_b32_e32 v3, 0
	s_branch .LBB99_15
.LBB99_14:                              ;   in Loop: Header=BB99_15 Depth=1
	s_lshl_b32 s11, s10, 2
	s_add_i32 s11, s11, 0
	v_mov_b32_e32 v9, s11
	ds_write_b32 v9, v8
	v_mov_b32_e32 v9, s10
	v_cmp_eq_u32_e32 vcc, s20, v0
	s_add_i32 s20, s20, 1
	v_cndmask_b32_e32 v1, v1, v9, vcc
	v_cndmask_b32_e32 v2, v2, v11, vcc
	s_cmp_eq_u32 s20, s21
	v_add_f32_e32 v3, v3, v11
	s_cbranch_scc1 .LBB99_22
.LBB99_15:                              ; =>This Loop Header: Depth=1
                                        ;     Child Loop BB99_17 Depth 2
	v_mov_b32_e32 v9, s20
	v_mov_b32_e32 v10, 0xff800000
	s_and_saveexec_b64 s[10:11], s[0:1]
	s_cbranch_execz .LBB99_19
; %bb.16:                               ;   in Loop: Header=BB99_15 Depth=1
	s_load_dword s22, s[2:3], 0xc
	s_mov_b64 s[12:13], 0
	v_mov_b32_e32 v9, s20
	v_mov_b32_e32 v10, 0xff800000
	;; [unrolled: 1-line block ×3, first 2 shown]
	s_waitcnt lgkmcnt(0)
	s_and_b32 s22, s22, 0xffff
	s_lshl_b32 s23, s22, 1
	s_lshl_b32 s24, s22, 3
	v_mov_b32_e32 v12, v4
	v_mov_b32_e32 v13, v0
.LBB99_17:                              ;   Parent Loop BB99_15 Depth=1
                                        ; =>  This Inner Loop Header: Depth=2
	ds_read_b64 v[14:15], v11
	v_add_u32_e32 v13, s22, v13
	v_cmp_le_i32_e32 vcc, s7, v13
	s_or_b64 s[12:13], vcc, s[12:13]
	v_add_u32_e32 v16, 1, v12
	s_waitcnt lgkmcnt(0)
	v_cmp_gt_f32_e32 vcc, v14, v10
	v_cndmask_b32_e32 v10, v10, v14, vcc
	v_cndmask_b32_e32 v9, v9, v12, vcc
	v_cmp_gt_f32_e32 vcc, v15, v10
	v_add_u32_e32 v11, s24, v11
	v_cndmask_b32_e32 v10, v10, v15, vcc
	v_add_u32_e32 v12, s23, v12
	v_cndmask_b32_e32 v9, v9, v16, vcc
	s_andn2_b64 exec, exec, s[12:13]
	s_cbranch_execnz .LBB99_17
; %bb.18:                               ;   in Loop: Header=BB99_15 Depth=1
	s_or_b64 exec, exec, s[12:13]
.LBB99_19:                              ;   in Loop: Header=BB99_15 Depth=1
	s_or_b64 exec, exec, s[10:11]
	;;#ASMSTART
	v_max_f32 v11, v10, v10 quad_perm:[1,0,3,2] row_mask:0xf bank_mask:0xf bound_ctrl:1
	;;#ASMEND
	;;#ASMSTART
	v_max_f32 v12, v11, v11 quad_perm:[2,3,0,1] row_mask:0xf bank_mask:0xf bound_ctrl:1
	;;#ASMEND
	;;#ASMSTART
	v_max_f32 v11, v12, v12 row_half_mirror row_mask:0xf bank_mask:0xf bound_ctrl:1
	;;#ASMEND
	;;#ASMSTART
	v_max_f32 v12, v11, v11 row_mirror row_mask:0xf bank_mask:0xf bound_ctrl:1
	;;#ASMEND
	;;#ASMSTART
	v_max_f32 v11, v12, v12 row_ror:4 row_mask:0xf bank_mask:0xf bound_ctrl:1
	;;#ASMEND
	;;#ASMSTART
	v_max_f32 v12, v11, v11 row_ror:8 row_mask:0xf bank_mask:0xf bound_ctrl:1
	;;#ASMEND
	;;#ASMSTART
	v_max_f32 v11, v12, v12 row_bcast:15 row_mask:0xf bank_mask:0xf bound_ctrl:1
	;;#ASMEND
	;;#ASMSTART
	v_max_f32 v12, v11, v11 row_bcast:31 row_mask:0xf bank_mask:0xf bound_ctrl:1
	;;#ASMEND
	ds_bpermute_b32 v11, v6, v12
	s_waitcnt lgkmcnt(0)
	v_cmp_eq_f32_e32 vcc, v10, v11
	s_ff1_i32_b64 s10, vcc
	s_cmp_lg_u64 vcc, 0
	s_cselect_b32 s10, s10, 0
	s_and_b64 vcc, exec, s[8:9]
	v_readlane_b32 s10, v9, s10
	s_cbranch_vccz .LBB99_14
; %bb.20:                               ;   in Loop: Header=BB99_15 Depth=1
	s_ashr_i32 s11, s10, 31
	s_lshl_b64 s[12:13], s[10:11], 1
	s_add_u32 s12, s14, s12
	s_addc_u32 s13, s15, s13
	global_load_ushort v9, v7, s[12:13]
	s_waitcnt vmcnt(0)
	v_lshlrev_b32_e32 v9, 16, v9
	v_sub_f32_e32 v11, v11, v9
	s_branch .LBB99_14
.LBB99_21:
	v_mov_b32_e32 v1, 0
	v_mov_b32_e32 v3, 0
.LBB99_22:
	v_cmp_gt_i32_e32 vcc, s21, v0
	s_and_saveexec_b64 s[0:1], vcc
	s_cbranch_execz .LBB99_25
; %bb.23:
	s_load_dword s2, s[4:5], 0x34
	v_max_f32_e32 v3, v3, v3
	v_max_f32_e32 v3, 0x1e3ce508, v3
	s_load_dword s3, s[4:5], 0x44
	s_waitcnt lgkmcnt(0)
	v_div_scale_f32 v4, s[0:1], v3, v3, s2
	s_load_dwordx2 s[0:1], s[4:5], 0x20
	v_rcp_f32_e32 v5, v4
	v_div_scale_f32 v6, vcc, s2, v3, s2
	s_and_b32 s3, s3, 0xffff
	v_fma_f32 v7, -v4, v5, 1.0
	v_fmac_f32_e32 v5, v7, v5
	v_mul_f32_e32 v7, v6, v5
	v_fma_f32 v8, -v4, v7, v6
	v_fmac_f32_e32 v7, v8, v5
	v_fma_f32 v4, -v4, v7, v6
	v_div_fmas_f32 v4, v4, v5, v7
	v_div_fixup_f32 v3, v4, v3, s2
	s_ashr_i32 s2, s6, 31
	s_waitcnt lgkmcnt(0)
	s_mul_i32 s1, s6, s1
	s_mul_hi_u32 s4, s6, s0
	s_add_i32 s1, s4, s1
	s_mul_i32 s2, s2, s0
	s_add_i32 s4, s1, s2
	v_mul_f32_e32 v2, v2, v3
	s_mul_i32 s2, s6, s0
	s_mov_b64 s[0:1], 0
	v_mov_b32_e32 v3, s4
	v_mov_b32_e32 v4, s17
	;; [unrolled: 1-line block ×3, first 2 shown]
.LBB99_24:                              ; =>This Inner Loop Header: Depth=1
	v_ashrrev_i32_e32 v7, 31, v0
	v_add_co_u32_e32 v6, vcc, s2, v0
	v_addc_co_u32_e32 v7, vcc, v3, v7, vcc
	v_add_u32_e32 v0, s3, v0
	v_cmp_le_i32_e32 vcc, s21, v0
	v_lshlrev_b64 v[6:7], 2, v[6:7]
	s_or_b64 s[0:1], vcc, s[0:1]
	v_add_co_u32_e32 v8, vcc, s16, v6
	v_addc_co_u32_e32 v9, vcc, v4, v7, vcc
	v_add_co_u32_e32 v6, vcc, s18, v6
	v_addc_co_u32_e32 v7, vcc, v5, v7, vcc
	global_store_dword v[8:9], v2, off
	global_store_dword v[6:7], v1, off
	s_andn2_b64 exec, exec, s[0:1]
	s_cbranch_execnz .LBB99_24
.LBB99_25:
	s_endpgm
	.section	.rodata,"a",@progbits
	.p2align	6, 0x0
	.amdhsa_kernel _ZN5aiter20topk_softplus_kernelIf12hip_bfloat16Dv2_fLb1ELi0EEEvPKT_PKT0_PfPimiiif
		.amdhsa_group_segment_fixed_size 0
		.amdhsa_private_segment_fixed_size 0
		.amdhsa_kernarg_size 312
		.amdhsa_user_sgpr_count 6
		.amdhsa_user_sgpr_private_segment_buffer 1
		.amdhsa_user_sgpr_dispatch_ptr 0
		.amdhsa_user_sgpr_queue_ptr 0
		.amdhsa_user_sgpr_kernarg_segment_ptr 1
		.amdhsa_user_sgpr_dispatch_id 0
		.amdhsa_user_sgpr_flat_scratch_init 0
		.amdhsa_user_sgpr_kernarg_preload_length 0
		.amdhsa_user_sgpr_kernarg_preload_offset 0
		.amdhsa_user_sgpr_private_segment_size 0
		.amdhsa_uses_dynamic_stack 0
		.amdhsa_system_sgpr_private_segment_wavefront_offset 0
		.amdhsa_system_sgpr_workgroup_id_x 1
		.amdhsa_system_sgpr_workgroup_id_y 0
		.amdhsa_system_sgpr_workgroup_id_z 0
		.amdhsa_system_sgpr_workgroup_info 0
		.amdhsa_system_vgpr_workitem_id 0
		.amdhsa_next_free_vgpr 21
		.amdhsa_next_free_sgpr 36
		.amdhsa_accum_offset 24
		.amdhsa_reserve_vcc 1
		.amdhsa_reserve_flat_scratch 0
		.amdhsa_float_round_mode_32 0
		.amdhsa_float_round_mode_16_64 0
		.amdhsa_float_denorm_mode_32 3
		.amdhsa_float_denorm_mode_16_64 3
		.amdhsa_dx10_clamp 1
		.amdhsa_ieee_mode 1
		.amdhsa_fp16_overflow 0
		.amdhsa_tg_split 0
		.amdhsa_exception_fp_ieee_invalid_op 0
		.amdhsa_exception_fp_denorm_src 0
		.amdhsa_exception_fp_ieee_div_zero 0
		.amdhsa_exception_fp_ieee_overflow 0
		.amdhsa_exception_fp_ieee_underflow 0
		.amdhsa_exception_fp_ieee_inexact 0
		.amdhsa_exception_int_div_zero 0
	.end_amdhsa_kernel
	.section	.text._ZN5aiter20topk_softplus_kernelIf12hip_bfloat16Dv2_fLb1ELi0EEEvPKT_PKT0_PfPimiiif,"axG",@progbits,_ZN5aiter20topk_softplus_kernelIf12hip_bfloat16Dv2_fLb1ELi0EEEvPKT_PKT0_PfPimiiif,comdat
.Lfunc_end99:
	.size	_ZN5aiter20topk_softplus_kernelIf12hip_bfloat16Dv2_fLb1ELi0EEEvPKT_PKT0_PfPimiiif, .Lfunc_end99-_ZN5aiter20topk_softplus_kernelIf12hip_bfloat16Dv2_fLb1ELi0EEEvPKT_PKT0_PfPimiiif
                                        ; -- End function
	.section	.AMDGPU.csdata,"",@progbits
; Kernel info:
; codeLenInByte = 1976
; NumSgprs: 40
; NumVgprs: 21
; NumAgprs: 0
; TotalNumVgprs: 21
; ScratchSize: 0
; MemoryBound: 0
; FloatMode: 240
; IeeeMode: 1
; LDSByteSize: 0 bytes/workgroup (compile time only)
; SGPRBlocks: 4
; VGPRBlocks: 2
; NumSGPRsForWavesPerEU: 40
; NumVGPRsForWavesPerEU: 21
; AccumOffset: 24
; Occupancy: 8
; WaveLimiterHint : 0
; COMPUTE_PGM_RSRC2:SCRATCH_EN: 0
; COMPUTE_PGM_RSRC2:USER_SGPR: 6
; COMPUTE_PGM_RSRC2:TRAP_HANDLER: 0
; COMPUTE_PGM_RSRC2:TGID_X_EN: 1
; COMPUTE_PGM_RSRC2:TGID_Y_EN: 0
; COMPUTE_PGM_RSRC2:TGID_Z_EN: 0
; COMPUTE_PGM_RSRC2:TIDIG_COMP_CNT: 0
; COMPUTE_PGM_RSRC3_GFX90A:ACCUM_OFFSET: 5
; COMPUTE_PGM_RSRC3_GFX90A:TG_SPLIT: 0
	.section	.text._ZN5aiter20topk_softplus_kernelIf12hip_bfloat16Dv2_fLb0ELi0EEEvPKT_PKT0_PfPimiiif,"axG",@progbits,_ZN5aiter20topk_softplus_kernelIf12hip_bfloat16Dv2_fLb0ELi0EEEvPKT_PKT0_PfPimiiif,comdat
	.protected	_ZN5aiter20topk_softplus_kernelIf12hip_bfloat16Dv2_fLb0ELi0EEEvPKT_PKT0_PfPimiiif ; -- Begin function _ZN5aiter20topk_softplus_kernelIf12hip_bfloat16Dv2_fLb0ELi0EEEvPKT_PKT0_PfPimiiif
	.globl	_ZN5aiter20topk_softplus_kernelIf12hip_bfloat16Dv2_fLb0ELi0EEEvPKT_PKT0_PfPimiiif
	.p2align	8
	.type	_ZN5aiter20topk_softplus_kernelIf12hip_bfloat16Dv2_fLb0ELi0EEEvPKT_PKT0_PfPimiiif,@function
_ZN5aiter20topk_softplus_kernelIf12hip_bfloat16Dv2_fLb0ELi0EEEvPKT_PKT0_PfPimiiif: ; @_ZN5aiter20topk_softplus_kernelIf12hip_bfloat16Dv2_fLb0ELi0EEEvPKT_PKT0_PfPimiiif
; %bb.0:
	s_load_dwordx2 s[20:21], s[4:5], 0x28
	s_load_dwordx8 s[12:19], s[4:5], 0x0
	s_waitcnt lgkmcnt(0)
	s_lshr_b32 s0, s20, 31
	s_add_i32 s0, s20, s0
	s_mul_i32 s22, s6, s20
	s_ashr_i32 s7, s0, 1
	s_ashr_i32 s23, s22, 31
	v_cmp_gt_i32_e64 s[0:1], s7, v0
	s_and_saveexec_b64 s[24:25], s[0:1]
	s_cbranch_execz .LBB100_7
; %bb.1:
	s_load_dword s8, s[4:5], 0x44
	s_cmp_lg_u64 s[14:15], 0
	s_cselect_b64 s[2:3], -1, 0
	v_lshlrev_b32_e32 v1, 3, v0
	v_lshlrev_b32_e32 v4, 2, v0
	s_waitcnt lgkmcnt(0)
	s_and_b32 s28, s8, 0xffff
	s_lshl_b64 s[8:9], s[22:23], 2
	s_add_u32 s8, s12, s8
	s_addc_u32 s9, s13, s9
	v_mov_b32_e32 v3, s9
	v_add_co_u32_e32 v2, vcc, s8, v1
	v_addc_co_u32_e32 v3, vcc, 0, v3, vcc
	v_mov_b32_e32 v5, s15
	v_add_co_u32_e32 v4, vcc, s14, v4
	v_addc_co_u32_e32 v5, vcc, 0, v5, vcc
	s_mov_b32 s10, 0
	v_add_co_u32_e32 v4, vcc, 2, v4
	v_cndmask_b32_e64 v6, 0, 1, s[2:3]
	s_mov_b64 s[26:27], 0
	s_lshl_b32 s29, s28, 3
	v_addc_co_u32_e32 v5, vcc, 0, v5, vcc
	s_lshl_b32 s30, s28, 2
	v_add_u32_e32 v1, 0, v1
	s_mov_b32 s31, 0x41a00000
	s_mov_b32 s33, 0xc2fc0000
	v_mov_b32_e32 v8, 0x1f800000
	v_mov_b32_e32 v9, 0x42800000
	s_mov_b32 s34, 0x800000
	v_mov_b32_e32 v10, 0x4f800000
	v_mov_b32_e32 v11, 0x42000000
	s_mov_b32 s35, 0xf800000
	v_mov_b32_e32 v12, 0x260
	v_cmp_ne_u32_e64 s[2:3], 1, v6
	v_mov_b32_e32 v13, s10
	v_mov_b32_e32 v14, s10
	;; [unrolled: 1-line block ×3, first 2 shown]
	s_branch .LBB100_3
.LBB100_2:                              ;   in Loop: Header=BB100_3 Depth=1
	v_add_co_u32_e32 v2, vcc, s29, v2
	v_addc_co_u32_e32 v3, vcc, v3, v13, vcc
	v_add_co_u32_e32 v4, vcc, s30, v4
	v_add_u32_e32 v15, s28, v15
	v_addc_co_u32_e32 v5, vcc, v5, v14, vcc
	v_cmp_le_i32_e32 vcc, s7, v15
	ds_write_b64 v1, v[6:7]
	s_or_b64 s[26:27], vcc, s[26:27]
	v_add_u32_e32 v1, s29, v1
	s_andn2_b64 exec, exec, s[26:27]
	s_cbranch_execz .LBB100_7
.LBB100_3:                              ; =>This Inner Loop Header: Depth=1
	global_load_dwordx2 v[6:7], v[2:3], off
	s_waitcnt vmcnt(0)
	v_mul_f32_e32 v16, 0x3fb8aa3b, v6
	v_cmp_gt_f32_e32 vcc, s33, v16
	v_cndmask_b32_e32 v17, 0, v9, vcc
	v_fmac_f32_e32 v17, 0x3fb8aa3b, v6
	v_exp_f32_e32 v17, v17
	v_cndmask_b32_e32 v16, 1.0, v8, vcc
	v_fma_f32 v16, v17, v16, 1.0
	v_cmp_gt_f32_e32 vcc, s34, v16
	v_cndmask_b32_e32 v17, 1.0, v10, vcc
	v_mul_f32_e32 v16, v16, v17
	v_log_f32_e32 v16, v16
	v_cndmask_b32_e32 v17, 0, v11, vcc
	v_cmp_lt_f32_e32 vcc, s31, v6
	v_sub_f32_e32 v16, v16, v17
	v_mul_f32_e32 v16, 0x3f317218, v16
	v_cndmask_b32_e32 v6, v16, v6, vcc
	v_mul_f32_e32 v16, 0x4f800000, v6
	v_cmp_gt_f32_e64 s[8:9], s35, v6
	v_cndmask_b32_e64 v6, v6, v16, s[8:9]
	v_sqrt_f32_e32 v16, v6
	s_and_b64 vcc, exec, s[2:3]
	v_add_u32_e32 v17, -1, v16
	v_add_u32_e32 v18, 1, v16
	v_fma_f32 v19, -v17, v16, v6
	v_fma_f32 v20, -v18, v16, v6
	v_cmp_ge_f32_e64 s[10:11], 0, v19
	v_cndmask_b32_e64 v16, v16, v17, s[10:11]
	v_cmp_lt_f32_e64 s[10:11], 0, v20
	v_cndmask_b32_e64 v16, v16, v18, s[10:11]
	v_mul_f32_e32 v17, 0x37800000, v16
	v_cndmask_b32_e64 v16, v16, v17, s[8:9]
	v_cmp_class_f32_e64 s[8:9], v6, v12
	v_cndmask_b32_e64 v6, v16, v6, s[8:9]
	s_cbranch_vccnz .LBB100_5
; %bb.4:                                ;   in Loop: Header=BB100_3 Depth=1
	global_load_ushort v16, v[4:5], off offset:-2
	s_waitcnt vmcnt(0)
	v_lshlrev_b32_e32 v16, 16, v16
	v_add_f32_e32 v6, v6, v16
.LBB100_5:                              ;   in Loop: Header=BB100_3 Depth=1
	v_mul_f32_e32 v16, 0x3fb8aa3b, v7
	v_cmp_gt_f32_e32 vcc, s33, v16
	v_cndmask_b32_e32 v17, 0, v9, vcc
	v_fmac_f32_e32 v17, 0x3fb8aa3b, v7
	v_exp_f32_e32 v17, v17
	v_cndmask_b32_e32 v16, 1.0, v8, vcc
	v_fma_f32 v16, v17, v16, 1.0
	v_cmp_gt_f32_e32 vcc, s34, v16
	v_cndmask_b32_e32 v17, 1.0, v10, vcc
	v_mul_f32_e32 v16, v16, v17
	v_log_f32_e32 v16, v16
	v_cndmask_b32_e32 v17, 0, v11, vcc
	v_cmp_lt_f32_e32 vcc, s31, v7
	v_sub_f32_e32 v16, v16, v17
	v_mul_f32_e32 v16, 0x3f317218, v16
	v_cndmask_b32_e32 v7, v16, v7, vcc
	v_mul_f32_e32 v16, 0x4f800000, v7
	v_cmp_gt_f32_e32 vcc, s35, v7
	v_cndmask_b32_e32 v7, v7, v16, vcc
	v_sqrt_f32_e32 v16, v7
	v_add_u32_e32 v17, -1, v16
	v_add_u32_e32 v18, 1, v16
	v_fma_f32 v19, -v17, v16, v7
	v_fma_f32 v20, -v18, v16, v7
	v_cmp_ge_f32_e64 s[8:9], 0, v19
	v_cndmask_b32_e64 v16, v16, v17, s[8:9]
	v_cmp_lt_f32_e64 s[8:9], 0, v20
	v_cndmask_b32_e64 v16, v16, v18, s[8:9]
	v_mul_f32_e32 v17, 0x37800000, v16
	v_cndmask_b32_e32 v16, v16, v17, vcc
	v_cmp_class_f32_e64 s[8:9], v7, v12
	s_and_b64 vcc, exec, s[2:3]
	v_cndmask_b32_e64 v7, v16, v7, s[8:9]
	s_cbranch_vccnz .LBB100_2
; %bb.6:                                ;   in Loop: Header=BB100_3 Depth=1
	global_load_ushort v16, v[4:5], off
	s_waitcnt vmcnt(0)
	v_lshlrev_b32_e32 v16, 16, v16
	v_add_f32_e32 v7, v7, v16
	s_branch .LBB100_2
.LBB100_7:
	s_or_b64 exec, exec, s[24:25]
	v_lshl_add_u32 v2, s7, 1, v0
	v_cmp_gt_i32_e32 vcc, s20, v2
	s_and_saveexec_b64 s[10:11], vcc
	s_cbranch_execz .LBB100_12
; %bb.8:
	s_load_dword s8, s[4:5], 0x44
	s_lshl_b64 s[2:3], s[22:23], 2
	s_add_u32 s22, s12, s2
	s_addc_u32 s9, s13, s3
	s_cmp_lg_u64 s[14:15], 0
	s_cselect_b64 s[2:3], -1, 0
	s_waitcnt lgkmcnt(0)
	s_and_b32 s23, s8, 0xffff
	s_lshl_b32 s8, s7, 3
	s_add_i32 s8, s8, 0
	v_cndmask_b32_e64 v3, 0, 1, s[2:3]
	s_mov_b64 s[12:13], 0
	v_lshl_add_u32 v1, v0, 2, s8
	s_lshl_b32 s24, s23, 2
	v_mov_b32_e32 v4, s9
	s_mov_b32 s25, 0x41a00000
	s_mov_b32 s26, 0xc2fc0000
	v_mov_b32_e32 v5, 0x42800000
	v_mov_b32_e32 v6, 0x1f800000
	s_mov_b32 s27, 0x800000
	v_mov_b32_e32 v7, 0x4f800000
	v_mov_b32_e32 v8, 0x42000000
	s_mov_b32 s28, 0xf800000
	v_mov_b32_e32 v9, 0x260
	v_cmp_ne_u32_e64 s[2:3], 1, v3
	s_branch .LBB100_10
.LBB100_9:                              ;   in Loop: Header=BB100_10 Depth=1
	v_add_u32_e32 v2, s23, v2
	v_cmp_le_i32_e32 vcc, s20, v2
	s_or_b64 s[12:13], vcc, s[12:13]
	v_add_u32_e32 v1, s24, v1
	s_andn2_b64 exec, exec, s[12:13]
	s_cbranch_execz .LBB100_12
.LBB100_10:                             ; =>This Inner Loop Header: Depth=1
	v_ashrrev_i32_e32 v3, 31, v2
	v_lshlrev_b64 v[10:11], 2, v[2:3]
	v_add_co_u32_e32 v10, vcc, s22, v10
	v_addc_co_u32_e32 v11, vcc, v4, v11, vcc
	global_load_dword v10, v[10:11], off
	s_waitcnt vmcnt(0)
	v_mul_f32_e32 v11, 0x3fb8aa3b, v10
	v_cmp_gt_f32_e32 vcc, s26, v11
	v_cndmask_b32_e32 v11, 0, v5, vcc
	v_fmac_f32_e32 v11, 0x3fb8aa3b, v10
	v_exp_f32_e32 v11, v11
	v_cndmask_b32_e32 v12, 1.0, v6, vcc
	v_fma_f32 v11, v11, v12, 1.0
	v_cmp_gt_f32_e32 vcc, s27, v11
	v_cndmask_b32_e32 v12, 1.0, v7, vcc
	v_mul_f32_e32 v11, v11, v12
	v_log_f32_e32 v11, v11
	v_cndmask_b32_e32 v12, 0, v8, vcc
	v_cmp_lt_f32_e32 vcc, s25, v10
	v_sub_f32_e32 v11, v11, v12
	v_mul_f32_e32 v11, 0x3f317218, v11
	v_cndmask_b32_e32 v10, v11, v10, vcc
	v_mul_f32_e32 v11, 0x4f800000, v10
	v_cmp_gt_f32_e32 vcc, s28, v10
	v_cndmask_b32_e32 v10, v10, v11, vcc
	v_sqrt_f32_e32 v11, v10
	v_add_u32_e32 v12, -1, v11
	v_add_u32_e32 v13, 1, v11
	v_fma_f32 v14, -v12, v11, v10
	v_fma_f32 v15, -v13, v11, v10
	v_cmp_ge_f32_e64 s[8:9], 0, v14
	v_cndmask_b32_e64 v11, v11, v12, s[8:9]
	v_cmp_lt_f32_e64 s[8:9], 0, v15
	v_cndmask_b32_e64 v11, v11, v13, s[8:9]
	v_mul_f32_e32 v12, 0x37800000, v11
	v_cndmask_b32_e32 v11, v11, v12, vcc
	v_cmp_class_f32_e32 vcc, v10, v9
	v_cndmask_b32_e32 v10, v11, v10, vcc
	s_and_b64 vcc, exec, s[2:3]
	ds_write_b32 v1, v10
	s_cbranch_vccnz .LBB100_9
; %bb.11:                               ;   in Loop: Header=BB100_10 Depth=1
	v_lshlrev_b64 v[12:13], 1, v[2:3]
	v_mov_b32_e32 v3, s15
	v_add_co_u32_e32 v12, vcc, s14, v12
	v_addc_co_u32_e32 v13, vcc, v3, v13, vcc
	global_load_ushort v3, v[12:13], off
	s_waitcnt vmcnt(0)
	v_lshlrev_b32_e32 v3, 16, v3
	v_add_f32_e32 v3, v10, v3
	ds_write_b32 v1, v3
	s_branch .LBB100_9
.LBB100_12:
	s_or_b64 exec, exec, s[10:11]
	s_cmp_lt_i32 s21, 1
	s_waitcnt lgkmcnt(0)
	s_barrier
	s_cbranch_scc1 .LBB100_21
; %bb.13:
	s_add_u32 s2, s4, 56
	s_addc_u32 s3, s5, 0
	v_mbcnt_lo_u32_b32 v2, -1, 0
	s_cmp_lg_u64 s[14:15], 0
	v_mbcnt_hi_u32_b32 v2, -1, v2
	v_bfrev_b32_e32 v6, 0.5
	s_cselect_b64 s[8:9], -1, 0
	v_lshlrev_b32_e32 v3, 1, v0
	s_mov_b32 s20, 0
	v_mov_b32_e32 v1, 0
	v_lshl_add_u32 v4, v0, 3, 0
	v_mov_b32_e32 v5, 0
	v_lshl_or_b32 v6, v2, 2, v6
	v_mov_b32_e32 v7, 0xff800000
	v_mov_b32_e32 v2, 0
	s_branch .LBB100_15
.LBB100_14:                             ;   in Loop: Header=BB100_15 Depth=1
	s_lshl_b32 s11, s10, 2
	s_add_i32 s11, s11, 0
	v_mov_b32_e32 v8, s11
	ds_write_b32 v8, v7
	v_mov_b32_e32 v8, s10
	v_cmp_eq_u32_e32 vcc, s20, v0
	s_add_i32 s20, s20, 1
	v_cndmask_b32_e32 v1, v1, v8, vcc
	s_cmp_eq_u32 s20, s21
	v_cndmask_b32_e32 v2, v2, v10, vcc
	s_cbranch_scc1 .LBB100_22
.LBB100_15:                             ; =>This Loop Header: Depth=1
                                        ;     Child Loop BB100_17 Depth 2
	v_mov_b32_e32 v8, s20
	v_mov_b32_e32 v9, 0xff800000
	s_and_saveexec_b64 s[10:11], s[0:1]
	s_cbranch_execz .LBB100_19
; %bb.16:                               ;   in Loop: Header=BB100_15 Depth=1
	s_load_dword s22, s[2:3], 0xc
	s_mov_b64 s[12:13], 0
	v_mov_b32_e32 v8, s20
	v_mov_b32_e32 v9, 0xff800000
	;; [unrolled: 1-line block ×3, first 2 shown]
	s_waitcnt lgkmcnt(0)
	s_and_b32 s22, s22, 0xffff
	s_lshl_b32 s23, s22, 1
	s_lshl_b32 s24, s22, 3
	v_mov_b32_e32 v11, v3
	v_mov_b32_e32 v12, v0
.LBB100_17:                             ;   Parent Loop BB100_15 Depth=1
                                        ; =>  This Inner Loop Header: Depth=2
	ds_read_b64 v[14:15], v10
	v_add_u32_e32 v12, s22, v12
	v_cmp_le_i32_e32 vcc, s7, v12
	s_or_b64 s[12:13], vcc, s[12:13]
	v_add_u32_e32 v13, 1, v11
	s_waitcnt lgkmcnt(0)
	v_cmp_gt_f32_e32 vcc, v14, v9
	v_cndmask_b32_e32 v9, v9, v14, vcc
	v_cndmask_b32_e32 v8, v8, v11, vcc
	v_cmp_gt_f32_e32 vcc, v15, v9
	v_add_u32_e32 v10, s24, v10
	v_cndmask_b32_e32 v9, v9, v15, vcc
	v_add_u32_e32 v11, s23, v11
	v_cndmask_b32_e32 v8, v8, v13, vcc
	s_andn2_b64 exec, exec, s[12:13]
	s_cbranch_execnz .LBB100_17
; %bb.18:                               ;   in Loop: Header=BB100_15 Depth=1
	s_or_b64 exec, exec, s[12:13]
.LBB100_19:                             ;   in Loop: Header=BB100_15 Depth=1
	s_or_b64 exec, exec, s[10:11]
	;;#ASMSTART
	v_max_f32 v10, v9, v9 quad_perm:[1,0,3,2] row_mask:0xf bank_mask:0xf bound_ctrl:1
	;;#ASMEND
	;;#ASMSTART
	v_max_f32 v11, v10, v10 quad_perm:[2,3,0,1] row_mask:0xf bank_mask:0xf bound_ctrl:1
	;;#ASMEND
	;;#ASMSTART
	v_max_f32 v10, v11, v11 row_half_mirror row_mask:0xf bank_mask:0xf bound_ctrl:1
	;;#ASMEND
	;;#ASMSTART
	v_max_f32 v11, v10, v10 row_mirror row_mask:0xf bank_mask:0xf bound_ctrl:1
	;;#ASMEND
	;;#ASMSTART
	v_max_f32 v10, v11, v11 row_ror:4 row_mask:0xf bank_mask:0xf bound_ctrl:1
	;;#ASMEND
	;;#ASMSTART
	v_max_f32 v11, v10, v10 row_ror:8 row_mask:0xf bank_mask:0xf bound_ctrl:1
	;;#ASMEND
	;;#ASMSTART
	v_max_f32 v10, v11, v11 row_bcast:15 row_mask:0xf bank_mask:0xf bound_ctrl:1
	;;#ASMEND
	;;#ASMSTART
	v_max_f32 v11, v10, v10 row_bcast:31 row_mask:0xf bank_mask:0xf bound_ctrl:1
	;;#ASMEND
	ds_bpermute_b32 v10, v6, v11
	s_waitcnt lgkmcnt(0)
	v_cmp_eq_f32_e32 vcc, v9, v10
	s_ff1_i32_b64 s10, vcc
	s_cmp_lg_u64 vcc, 0
	s_cselect_b32 s10, s10, 0
	s_and_b64 vcc, exec, s[8:9]
	v_readlane_b32 s10, v8, s10
	s_cbranch_vccz .LBB100_14
; %bb.20:                               ;   in Loop: Header=BB100_15 Depth=1
	s_ashr_i32 s11, s10, 31
	s_lshl_b64 s[12:13], s[10:11], 1
	s_add_u32 s12, s14, s12
	s_addc_u32 s13, s15, s13
	global_load_ushort v8, v5, s[12:13]
	s_waitcnt vmcnt(0)
	v_lshlrev_b32_e32 v8, 16, v8
	v_sub_f32_e32 v10, v10, v8
	s_branch .LBB100_14
.LBB100_21:
	v_mov_b32_e32 v2, 0
	v_mov_b32_e32 v1, 0
.LBB100_22:
	v_cmp_gt_i32_e32 vcc, s21, v0
	s_and_saveexec_b64 s[0:1], vcc
	s_cbranch_execz .LBB100_25
; %bb.23:
	s_load_dword s2, s[4:5], 0x34
	s_load_dwordx2 s[0:1], s[4:5], 0x20
	s_ashr_i32 s3, s6, 31
	s_load_dword s4, s[4:5], 0x44
	v_mov_b32_e32 v4, s17
	s_waitcnt lgkmcnt(0)
	v_mul_f32_e32 v2, s2, v2
	s_mul_i32 s1, s6, s1
	s_mul_hi_u32 s2, s6, s0
	s_add_i32 s1, s2, s1
	s_mul_i32 s3, s3, s0
	s_add_i32 s5, s1, s3
	s_mul_i32 s2, s6, s0
	s_and_b32 s3, s4, 0xffff
	s_mov_b64 s[0:1], 0
	v_mov_b32_e32 v3, s5
	v_mov_b32_e32 v5, s19
.LBB100_24:                             ; =>This Inner Loop Header: Depth=1
	v_ashrrev_i32_e32 v7, 31, v0
	v_add_co_u32_e32 v6, vcc, s2, v0
	v_addc_co_u32_e32 v7, vcc, v3, v7, vcc
	v_add_u32_e32 v0, s3, v0
	v_cmp_le_i32_e32 vcc, s21, v0
	v_lshlrev_b64 v[6:7], 2, v[6:7]
	s_or_b64 s[0:1], vcc, s[0:1]
	v_add_co_u32_e32 v8, vcc, s16, v6
	v_addc_co_u32_e32 v9, vcc, v4, v7, vcc
	v_add_co_u32_e32 v6, vcc, s18, v6
	v_addc_co_u32_e32 v7, vcc, v5, v7, vcc
	global_store_dword v[8:9], v2, off
	global_store_dword v[6:7], v1, off
	s_andn2_b64 exec, exec, s[0:1]
	s_cbranch_execnz .LBB100_24
.LBB100_25:
	s_endpgm
	.section	.rodata,"a",@progbits
	.p2align	6, 0x0
	.amdhsa_kernel _ZN5aiter20topk_softplus_kernelIf12hip_bfloat16Dv2_fLb0ELi0EEEvPKT_PKT0_PfPimiiif
		.amdhsa_group_segment_fixed_size 0
		.amdhsa_private_segment_fixed_size 0
		.amdhsa_kernarg_size 312
		.amdhsa_user_sgpr_count 6
		.amdhsa_user_sgpr_private_segment_buffer 1
		.amdhsa_user_sgpr_dispatch_ptr 0
		.amdhsa_user_sgpr_queue_ptr 0
		.amdhsa_user_sgpr_kernarg_segment_ptr 1
		.amdhsa_user_sgpr_dispatch_id 0
		.amdhsa_user_sgpr_flat_scratch_init 0
		.amdhsa_user_sgpr_kernarg_preload_length 0
		.amdhsa_user_sgpr_kernarg_preload_offset 0
		.amdhsa_user_sgpr_private_segment_size 0
		.amdhsa_uses_dynamic_stack 0
		.amdhsa_system_sgpr_private_segment_wavefront_offset 0
		.amdhsa_system_sgpr_workgroup_id_x 1
		.amdhsa_system_sgpr_workgroup_id_y 0
		.amdhsa_system_sgpr_workgroup_id_z 0
		.amdhsa_system_sgpr_workgroup_info 0
		.amdhsa_system_vgpr_workitem_id 0
		.amdhsa_next_free_vgpr 21
		.amdhsa_next_free_sgpr 36
		.amdhsa_accum_offset 24
		.amdhsa_reserve_vcc 1
		.amdhsa_reserve_flat_scratch 0
		.amdhsa_float_round_mode_32 0
		.amdhsa_float_round_mode_16_64 0
		.amdhsa_float_denorm_mode_32 3
		.amdhsa_float_denorm_mode_16_64 3
		.amdhsa_dx10_clamp 1
		.amdhsa_ieee_mode 1
		.amdhsa_fp16_overflow 0
		.amdhsa_tg_split 0
		.amdhsa_exception_fp_ieee_invalid_op 0
		.amdhsa_exception_fp_denorm_src 0
		.amdhsa_exception_fp_ieee_div_zero 0
		.amdhsa_exception_fp_ieee_overflow 0
		.amdhsa_exception_fp_ieee_underflow 0
		.amdhsa_exception_fp_ieee_inexact 0
		.amdhsa_exception_int_div_zero 0
	.end_amdhsa_kernel
	.section	.text._ZN5aiter20topk_softplus_kernelIf12hip_bfloat16Dv2_fLb0ELi0EEEvPKT_PKT0_PfPimiiif,"axG",@progbits,_ZN5aiter20topk_softplus_kernelIf12hip_bfloat16Dv2_fLb0ELi0EEEvPKT_PKT0_PfPimiiif,comdat
.Lfunc_end100:
	.size	_ZN5aiter20topk_softplus_kernelIf12hip_bfloat16Dv2_fLb0ELi0EEEvPKT_PKT0_PfPimiiif, .Lfunc_end100-_ZN5aiter20topk_softplus_kernelIf12hip_bfloat16Dv2_fLb0ELi0EEEvPKT_PKT0_PfPimiiif
                                        ; -- End function
	.section	.AMDGPU.csdata,"",@progbits
; Kernel info:
; codeLenInByte = 1876
; NumSgprs: 40
; NumVgprs: 21
; NumAgprs: 0
; TotalNumVgprs: 21
; ScratchSize: 0
; MemoryBound: 0
; FloatMode: 240
; IeeeMode: 1
; LDSByteSize: 0 bytes/workgroup (compile time only)
; SGPRBlocks: 4
; VGPRBlocks: 2
; NumSGPRsForWavesPerEU: 40
; NumVGPRsForWavesPerEU: 21
; AccumOffset: 24
; Occupancy: 8
; WaveLimiterHint : 0
; COMPUTE_PGM_RSRC2:SCRATCH_EN: 0
; COMPUTE_PGM_RSRC2:USER_SGPR: 6
; COMPUTE_PGM_RSRC2:TRAP_HANDLER: 0
; COMPUTE_PGM_RSRC2:TGID_X_EN: 1
; COMPUTE_PGM_RSRC2:TGID_Y_EN: 0
; COMPUTE_PGM_RSRC2:TGID_Z_EN: 0
; COMPUTE_PGM_RSRC2:TIDIG_COMP_CNT: 0
; COMPUTE_PGM_RSRC3_GFX90A:ACCUM_OFFSET: 5
; COMPUTE_PGM_RSRC3_GFX90A:TG_SPLIT: 0
	.section	.text._ZN5aiter20topk_softplus_kernelIf12hip_bfloat16Dv1_fLb1ELi0EEEvPKT_PKT0_PfPimiiif,"axG",@progbits,_ZN5aiter20topk_softplus_kernelIf12hip_bfloat16Dv1_fLb1ELi0EEEvPKT_PKT0_PfPimiiif,comdat
	.protected	_ZN5aiter20topk_softplus_kernelIf12hip_bfloat16Dv1_fLb1ELi0EEEvPKT_PKT0_PfPimiiif ; -- Begin function _ZN5aiter20topk_softplus_kernelIf12hip_bfloat16Dv1_fLb1ELi0EEEvPKT_PKT0_PfPimiiif
	.globl	_ZN5aiter20topk_softplus_kernelIf12hip_bfloat16Dv1_fLb1ELi0EEEvPKT_PKT0_PfPimiiif
	.p2align	8
	.type	_ZN5aiter20topk_softplus_kernelIf12hip_bfloat16Dv1_fLb1ELi0EEEvPKT_PKT0_PfPimiiif,@function
_ZN5aiter20topk_softplus_kernelIf12hip_bfloat16Dv1_fLb1ELi0EEEvPKT_PKT0_PfPimiiif: ; @_ZN5aiter20topk_softplus_kernelIf12hip_bfloat16Dv1_fLb1ELi0EEEvPKT_PKT0_PfPimiiif
; %bb.0:
	s_load_dwordx2 s[20:21], s[4:5], 0x28
	s_load_dwordx8 s[12:19], s[4:5], 0x0
	v_lshl_add_u32 v1, v0, 2, 0
	s_waitcnt lgkmcnt(0)
	s_mul_i32 s2, s6, s20
	s_ashr_i32 s3, s2, 31
	s_lshl_b64 s[2:3], s[2:3], 2
	s_add_u32 s7, s12, s2
	v_cmp_gt_i32_e64 s[0:1], s20, v0
	s_addc_u32 s24, s13, s3
	s_and_saveexec_b64 s[12:13], s[0:1]
	s_cbranch_execz .LBB101_5
; %bb.1:
	s_load_dword s8, s[4:5], 0x44
	s_cmp_lg_u64 s[14:15], 0
	s_cselect_b64 s[2:3], -1, 0
	v_cndmask_b32_e64 v2, 0, 1, s[2:3]
	s_mov_b64 s[22:23], 0
	s_waitcnt lgkmcnt(0)
	s_and_b32 s25, s8, 0xffff
	v_lshl_add_u32 v4, v0, 2, 0
	s_lshl_b32 s26, s25, 2
	v_mov_b32_e32 v5, s24
	s_mov_b32 s27, 0x41a00000
	s_mov_b32 s28, 0xc2fc0000
	v_mov_b32_e32 v6, 0x42800000
	v_mov_b32_e32 v7, 0x1f800000
	s_mov_b32 s29, 0x800000
	v_mov_b32_e32 v8, 0x4f800000
	v_mov_b32_e32 v9, 0x42000000
	s_mov_b32 s30, 0xf800000
	v_mov_b32_e32 v10, 0x260
	v_cmp_ne_u32_e64 s[2:3], 1, v2
	v_mov_b32_e32 v2, v0
	s_branch .LBB101_3
.LBB101_2:                              ;   in Loop: Header=BB101_3 Depth=1
	v_add_u32_e32 v2, s25, v2
	v_cmp_le_i32_e32 vcc, s20, v2
	ds_write_b32 v4, v11
	s_or_b64 s[22:23], vcc, s[22:23]
	v_add_u32_e32 v4, s26, v4
	s_andn2_b64 exec, exec, s[22:23]
	s_cbranch_execz .LBB101_5
.LBB101_3:                              ; =>This Inner Loop Header: Depth=1
	v_ashrrev_i32_e32 v3, 31, v2
	v_lshlrev_b64 v[12:13], 2, v[2:3]
	v_add_co_u32_e32 v12, vcc, s7, v12
	v_addc_co_u32_e32 v13, vcc, v5, v13, vcc
	global_load_dword v11, v[12:13], off
	s_waitcnt vmcnt(0)
	v_mul_f32_e32 v12, 0x3fb8aa3b, v11
	v_cmp_gt_f32_e32 vcc, s28, v12
	v_cndmask_b32_e32 v12, 0, v6, vcc
	v_fmac_f32_e32 v12, 0x3fb8aa3b, v11
	v_exp_f32_e32 v12, v12
	v_cndmask_b32_e32 v13, 1.0, v7, vcc
	v_fma_f32 v12, v12, v13, 1.0
	v_cmp_gt_f32_e32 vcc, s29, v12
	v_cndmask_b32_e32 v13, 1.0, v8, vcc
	v_mul_f32_e32 v12, v12, v13
	v_log_f32_e32 v12, v12
	v_cndmask_b32_e32 v13, 0, v9, vcc
	v_cmp_lt_f32_e32 vcc, s27, v11
	v_sub_f32_e32 v12, v12, v13
	v_mul_f32_e32 v12, 0x3f317218, v12
	v_cndmask_b32_e32 v11, v12, v11, vcc
	v_mul_f32_e32 v12, 0x4f800000, v11
	v_cmp_gt_f32_e64 s[8:9], s30, v11
	v_cndmask_b32_e64 v11, v11, v12, s[8:9]
	v_sqrt_f32_e32 v12, v11
	s_and_b64 vcc, exec, s[2:3]
	v_add_u32_e32 v13, -1, v12
	v_add_u32_e32 v14, 1, v12
	v_fma_f32 v15, -v13, v12, v11
	v_fma_f32 v16, -v14, v12, v11
	v_cmp_ge_f32_e64 s[10:11], 0, v15
	v_cndmask_b32_e64 v12, v12, v13, s[10:11]
	v_cmp_lt_f32_e64 s[10:11], 0, v16
	v_cndmask_b32_e64 v12, v12, v14, s[10:11]
	v_mul_f32_e32 v13, 0x37800000, v12
	v_cndmask_b32_e64 v12, v12, v13, s[8:9]
	v_cmp_class_f32_e64 s[8:9], v11, v10
	v_cndmask_b32_e64 v11, v12, v11, s[8:9]
	s_cbranch_vccnz .LBB101_2
; %bb.4:                                ;   in Loop: Header=BB101_3 Depth=1
	v_lshlrev_b64 v[12:13], 1, v[2:3]
	v_mov_b32_e32 v3, s15
	v_add_co_u32_e32 v12, vcc, s14, v12
	v_addc_co_u32_e32 v13, vcc, v3, v13, vcc
	global_load_ushort v3, v[12:13], off
	s_waitcnt vmcnt(0)
	v_lshlrev_b32_e32 v3, 16, v3
	v_add_f32_e32 v11, v11, v3
	s_branch .LBB101_2
.LBB101_5:
	s_or_b64 exec, exec, s[12:13]
	v_add_u32_e32 v2, s20, v0
	v_cmp_gt_i32_e32 vcc, s20, v2
	s_and_saveexec_b64 s[10:11], vcc
	s_cbranch_execz .LBB101_10
; %bb.6:
	s_load_dword s8, s[4:5], 0x44
	s_cmp_lg_u64 s[14:15], 0
	s_cselect_b64 s[2:3], -1, 0
	v_cndmask_b32_e64 v3, 0, 1, s[2:3]
	s_mov_b64 s[12:13], 0
	s_waitcnt lgkmcnt(0)
	s_and_b32 s22, s8, 0xffff
	v_lshl_add_u32 v4, v2, 2, 0
	s_lshl_b32 s23, s22, 2
	v_mov_b32_e32 v5, s24
	s_mov_b32 s24, 0x41a00000
	s_mov_b32 s25, 0xc2fc0000
	v_mov_b32_e32 v6, 0x42800000
	v_mov_b32_e32 v7, 0x1f800000
	s_mov_b32 s26, 0x800000
	v_mov_b32_e32 v8, 0x4f800000
	v_mov_b32_e32 v9, 0x42000000
	s_mov_b32 s27, 0xf800000
	v_mov_b32_e32 v10, 0x260
	v_cmp_ne_u32_e64 s[2:3], 1, v3
	s_branch .LBB101_8
.LBB101_7:                              ;   in Loop: Header=BB101_8 Depth=1
	v_add_u32_e32 v2, s22, v2
	v_cmp_le_i32_e32 vcc, s20, v2
	s_or_b64 s[12:13], vcc, s[12:13]
	v_add_u32_e32 v4, s23, v4
	s_andn2_b64 exec, exec, s[12:13]
	s_cbranch_execz .LBB101_10
.LBB101_8:                              ; =>This Inner Loop Header: Depth=1
	v_ashrrev_i32_e32 v3, 31, v2
	v_lshlrev_b64 v[12:13], 2, v[2:3]
	v_add_co_u32_e32 v12, vcc, s7, v12
	v_addc_co_u32_e32 v13, vcc, v5, v13, vcc
	global_load_dword v11, v[12:13], off
	s_waitcnt vmcnt(0)
	v_mul_f32_e32 v12, 0x3fb8aa3b, v11
	v_cmp_gt_f32_e32 vcc, s25, v12
	v_cndmask_b32_e32 v12, 0, v6, vcc
	v_fmac_f32_e32 v12, 0x3fb8aa3b, v11
	v_exp_f32_e32 v12, v12
	v_cndmask_b32_e32 v13, 1.0, v7, vcc
	v_fma_f32 v12, v12, v13, 1.0
	v_cmp_gt_f32_e32 vcc, s26, v12
	v_cndmask_b32_e32 v13, 1.0, v8, vcc
	v_mul_f32_e32 v12, v12, v13
	v_log_f32_e32 v12, v12
	v_cndmask_b32_e32 v13, 0, v9, vcc
	v_cmp_lt_f32_e32 vcc, s24, v11
	v_sub_f32_e32 v12, v12, v13
	v_mul_f32_e32 v12, 0x3f317218, v12
	v_cndmask_b32_e32 v11, v12, v11, vcc
	v_mul_f32_e32 v12, 0x4f800000, v11
	v_cmp_gt_f32_e32 vcc, s27, v11
	v_cndmask_b32_e32 v11, v11, v12, vcc
	v_sqrt_f32_e32 v12, v11
	v_add_u32_e32 v13, -1, v12
	v_add_u32_e32 v14, 1, v12
	v_fma_f32 v15, -v13, v12, v11
	v_fma_f32 v16, -v14, v12, v11
	v_cmp_ge_f32_e64 s[8:9], 0, v15
	v_cndmask_b32_e64 v12, v12, v13, s[8:9]
	v_cmp_lt_f32_e64 s[8:9], 0, v16
	v_cndmask_b32_e64 v12, v12, v14, s[8:9]
	v_mul_f32_e32 v13, 0x37800000, v12
	v_cndmask_b32_e32 v12, v12, v13, vcc
	v_cmp_class_f32_e32 vcc, v11, v10
	v_cndmask_b32_e32 v11, v12, v11, vcc
	s_and_b64 vcc, exec, s[2:3]
	ds_write_b32 v4, v11
	s_cbranch_vccnz .LBB101_7
; %bb.9:                                ;   in Loop: Header=BB101_8 Depth=1
	v_lshlrev_b64 v[12:13], 1, v[2:3]
	v_mov_b32_e32 v3, s15
	v_add_co_u32_e32 v12, vcc, s14, v12
	v_addc_co_u32_e32 v13, vcc, v3, v13, vcc
	global_load_ushort v3, v[12:13], off
	s_waitcnt vmcnt(0)
	v_lshlrev_b32_e32 v3, 16, v3
	v_add_f32_e32 v3, v11, v3
	ds_write_b32 v4, v3
	s_branch .LBB101_7
.LBB101_10:
	s_or_b64 exec, exec, s[10:11]
	s_cmp_lt_i32 s21, 1
	v_mov_b32_e32 v3, 0
	s_waitcnt lgkmcnt(0)
	s_barrier
	s_cbranch_scc1 .LBB101_19
; %bb.11:
	s_add_u32 s2, s4, 56
	s_addc_u32 s3, s5, 0
	v_mbcnt_lo_u32_b32 v2, -1, 0
	s_cmp_lg_u64 s[14:15], 0
	v_mbcnt_hi_u32_b32 v2, -1, v2
	v_bfrev_b32_e32 v4, 0.5
	s_cselect_b64 s[8:9], -1, 0
	s_mov_b32 s7, 0
	v_mov_b32_e32 v3, 0
	v_lshl_or_b32 v5, v2, 2, v4
	v_mov_b32_e32 v6, 0
	v_mov_b32_e32 v7, 0xff800000
	;; [unrolled: 1-line block ×4, first 2 shown]
	s_branch .LBB101_13
.LBB101_12:                             ;   in Loop: Header=BB101_13 Depth=1
	s_lshl_b32 s11, s10, 2
	s_add_i32 s11, s11, 0
	v_mov_b32_e32 v8, s11
	ds_write_b32 v8, v7
	v_mov_b32_e32 v8, s10
	v_cmp_eq_u32_e32 vcc, s7, v0
	s_add_i32 s7, s7, 1
	v_cndmask_b32_e32 v2, v2, v8, vcc
	v_cndmask_b32_e32 v3, v3, v10, vcc
	s_cmp_eq_u32 s7, s21
	v_add_f32_e32 v4, v4, v10
	s_cbranch_scc1 .LBB101_20
.LBB101_13:                             ; =>This Loop Header: Depth=1
                                        ;     Child Loop BB101_15 Depth 2
	v_mov_b32_e32 v8, s7
	v_mov_b32_e32 v9, 0xff800000
	s_and_saveexec_b64 s[10:11], s[0:1]
	s_cbranch_execz .LBB101_17
; %bb.14:                               ;   in Loop: Header=BB101_13 Depth=1
	s_load_dword s22, s[2:3], 0xc
	s_mov_b64 s[12:13], 0
	v_mov_b32_e32 v8, s7
	v_mov_b32_e32 v9, 0xff800000
	;; [unrolled: 1-line block ×3, first 2 shown]
	s_waitcnt lgkmcnt(0)
	s_and_b32 s22, s22, 0xffff
	s_lshl_b32 s23, s22, 2
	v_mov_b32_e32 v11, v0
.LBB101_15:                             ;   Parent Loop BB101_13 Depth=1
                                        ; =>  This Inner Loop Header: Depth=2
	ds_read_b32 v12, v10
	v_add_u32_e32 v10, s23, v10
	s_waitcnt lgkmcnt(0)
	v_cmp_gt_f32_e32 vcc, v12, v9
	v_cndmask_b32_e32 v8, v8, v11, vcc
	v_add_u32_e32 v11, s22, v11
	v_cndmask_b32_e32 v9, v9, v12, vcc
	v_cmp_le_i32_e32 vcc, s20, v11
	s_or_b64 s[12:13], vcc, s[12:13]
	s_andn2_b64 exec, exec, s[12:13]
	s_cbranch_execnz .LBB101_15
; %bb.16:                               ;   in Loop: Header=BB101_13 Depth=1
	s_or_b64 exec, exec, s[12:13]
.LBB101_17:                             ;   in Loop: Header=BB101_13 Depth=1
	s_or_b64 exec, exec, s[10:11]
	;;#ASMSTART
	v_max_f32 v10, v9, v9 quad_perm:[1,0,3,2] row_mask:0xf bank_mask:0xf bound_ctrl:1
	;;#ASMEND
	;;#ASMSTART
	v_max_f32 v11, v10, v10 quad_perm:[2,3,0,1] row_mask:0xf bank_mask:0xf bound_ctrl:1
	;;#ASMEND
	;;#ASMSTART
	v_max_f32 v10, v11, v11 row_half_mirror row_mask:0xf bank_mask:0xf bound_ctrl:1
	;;#ASMEND
	;;#ASMSTART
	v_max_f32 v11, v10, v10 row_mirror row_mask:0xf bank_mask:0xf bound_ctrl:1
	;;#ASMEND
	;;#ASMSTART
	v_max_f32 v10, v11, v11 row_ror:4 row_mask:0xf bank_mask:0xf bound_ctrl:1
	;;#ASMEND
	;;#ASMSTART
	v_max_f32 v11, v10, v10 row_ror:8 row_mask:0xf bank_mask:0xf bound_ctrl:1
	;;#ASMEND
	;;#ASMSTART
	v_max_f32 v10, v11, v11 row_bcast:15 row_mask:0xf bank_mask:0xf bound_ctrl:1
	;;#ASMEND
	;;#ASMSTART
	v_max_f32 v11, v10, v10 row_bcast:31 row_mask:0xf bank_mask:0xf bound_ctrl:1
	;;#ASMEND
	ds_bpermute_b32 v10, v5, v11
	s_waitcnt lgkmcnt(0)
	v_cmp_eq_f32_e32 vcc, v9, v10
	s_ff1_i32_b64 s10, vcc
	s_cmp_lg_u64 vcc, 0
	s_cselect_b32 s10, s10, 0
	s_and_b64 vcc, exec, s[8:9]
	v_readlane_b32 s10, v8, s10
	s_cbranch_vccz .LBB101_12
; %bb.18:                               ;   in Loop: Header=BB101_13 Depth=1
	s_ashr_i32 s11, s10, 31
	s_lshl_b64 s[12:13], s[10:11], 1
	s_add_u32 s12, s14, s12
	s_addc_u32 s13, s15, s13
	global_load_ushort v8, v6, s[12:13]
	s_waitcnt vmcnt(0)
	v_lshlrev_b32_e32 v8, 16, v8
	v_sub_f32_e32 v10, v10, v8
	s_branch .LBB101_12
.LBB101_19:
	v_mov_b32_e32 v2, 0
	v_mov_b32_e32 v4, 0
.LBB101_20:
	v_cmp_gt_i32_e32 vcc, s21, v0
	s_and_saveexec_b64 s[0:1], vcc
	s_cbranch_execz .LBB101_23
; %bb.21:
	s_load_dword s2, s[4:5], 0x34
	v_max_f32_e32 v1, v4, v4
	v_max_f32_e32 v1, 0x1e3ce508, v1
	s_load_dword s3, s[4:5], 0x44
	s_waitcnt lgkmcnt(0)
	v_div_scale_f32 v4, s[0:1], v1, v1, s2
	s_load_dwordx2 s[0:1], s[4:5], 0x20
	v_rcp_f32_e32 v5, v4
	v_div_scale_f32 v6, vcc, s2, v1, s2
	s_and_b32 s3, s3, 0xffff
	v_fma_f32 v7, -v4, v5, 1.0
	v_fmac_f32_e32 v5, v7, v5
	v_mul_f32_e32 v7, v6, v5
	v_fma_f32 v8, -v4, v7, v6
	v_fmac_f32_e32 v7, v8, v5
	v_fma_f32 v4, -v4, v7, v6
	v_div_fmas_f32 v4, v4, v5, v7
	v_div_fixup_f32 v1, v4, v1, s2
	s_ashr_i32 s2, s6, 31
	s_waitcnt lgkmcnt(0)
	s_mul_i32 s1, s6, s1
	s_mul_hi_u32 s4, s6, s0
	s_add_i32 s1, s4, s1
	s_mul_i32 s2, s2, s0
	s_add_i32 s4, s1, s2
	v_mul_f32_e32 v1, v3, v1
	s_mul_i32 s2, s6, s0
	s_mov_b64 s[0:1], 0
	v_mov_b32_e32 v3, s4
	v_mov_b32_e32 v4, s17
	;; [unrolled: 1-line block ×3, first 2 shown]
.LBB101_22:                             ; =>This Inner Loop Header: Depth=1
	v_ashrrev_i32_e32 v7, 31, v0
	v_add_co_u32_e32 v6, vcc, s2, v0
	v_addc_co_u32_e32 v7, vcc, v3, v7, vcc
	v_add_u32_e32 v0, s3, v0
	v_cmp_le_i32_e32 vcc, s21, v0
	v_lshlrev_b64 v[6:7], 2, v[6:7]
	s_or_b64 s[0:1], vcc, s[0:1]
	v_add_co_u32_e32 v8, vcc, s16, v6
	v_addc_co_u32_e32 v9, vcc, v4, v7, vcc
	v_add_co_u32_e32 v6, vcc, s18, v6
	v_addc_co_u32_e32 v7, vcc, v5, v7, vcc
	global_store_dword v[8:9], v1, off
	global_store_dword v[6:7], v2, off
	s_andn2_b64 exec, exec, s[0:1]
	s_cbranch_execnz .LBB101_22
.LBB101_23:
	s_endpgm
	.section	.rodata,"a",@progbits
	.p2align	6, 0x0
	.amdhsa_kernel _ZN5aiter20topk_softplus_kernelIf12hip_bfloat16Dv1_fLb1ELi0EEEvPKT_PKT0_PfPimiiif
		.amdhsa_group_segment_fixed_size 0
		.amdhsa_private_segment_fixed_size 0
		.amdhsa_kernarg_size 312
		.amdhsa_user_sgpr_count 6
		.amdhsa_user_sgpr_private_segment_buffer 1
		.amdhsa_user_sgpr_dispatch_ptr 0
		.amdhsa_user_sgpr_queue_ptr 0
		.amdhsa_user_sgpr_kernarg_segment_ptr 1
		.amdhsa_user_sgpr_dispatch_id 0
		.amdhsa_user_sgpr_flat_scratch_init 0
		.amdhsa_user_sgpr_kernarg_preload_length 0
		.amdhsa_user_sgpr_kernarg_preload_offset 0
		.amdhsa_user_sgpr_private_segment_size 0
		.amdhsa_uses_dynamic_stack 0
		.amdhsa_system_sgpr_private_segment_wavefront_offset 0
		.amdhsa_system_sgpr_workgroup_id_x 1
		.amdhsa_system_sgpr_workgroup_id_y 0
		.amdhsa_system_sgpr_workgroup_id_z 0
		.amdhsa_system_sgpr_workgroup_info 0
		.amdhsa_system_vgpr_workitem_id 0
		.amdhsa_next_free_vgpr 17
		.amdhsa_next_free_sgpr 31
		.amdhsa_accum_offset 20
		.amdhsa_reserve_vcc 1
		.amdhsa_reserve_flat_scratch 0
		.amdhsa_float_round_mode_32 0
		.amdhsa_float_round_mode_16_64 0
		.amdhsa_float_denorm_mode_32 3
		.amdhsa_float_denorm_mode_16_64 3
		.amdhsa_dx10_clamp 1
		.amdhsa_ieee_mode 1
		.amdhsa_fp16_overflow 0
		.amdhsa_tg_split 0
		.amdhsa_exception_fp_ieee_invalid_op 0
		.amdhsa_exception_fp_denorm_src 0
		.amdhsa_exception_fp_ieee_div_zero 0
		.amdhsa_exception_fp_ieee_overflow 0
		.amdhsa_exception_fp_ieee_underflow 0
		.amdhsa_exception_fp_ieee_inexact 0
		.amdhsa_exception_int_div_zero 0
	.end_amdhsa_kernel
	.section	.text._ZN5aiter20topk_softplus_kernelIf12hip_bfloat16Dv1_fLb1ELi0EEEvPKT_PKT0_PfPimiiif,"axG",@progbits,_ZN5aiter20topk_softplus_kernelIf12hip_bfloat16Dv1_fLb1ELi0EEEvPKT_PKT0_PfPimiiif,comdat
.Lfunc_end101:
	.size	_ZN5aiter20topk_softplus_kernelIf12hip_bfloat16Dv1_fLb1ELi0EEEvPKT_PKT0_PfPimiiif, .Lfunc_end101-_ZN5aiter20topk_softplus_kernelIf12hip_bfloat16Dv1_fLb1ELi0EEEvPKT_PKT0_PfPimiiif
                                        ; -- End function
	.section	.AMDGPU.csdata,"",@progbits
; Kernel info:
; codeLenInByte = 1672
; NumSgprs: 35
; NumVgprs: 17
; NumAgprs: 0
; TotalNumVgprs: 17
; ScratchSize: 0
; MemoryBound: 0
; FloatMode: 240
; IeeeMode: 1
; LDSByteSize: 0 bytes/workgroup (compile time only)
; SGPRBlocks: 4
; VGPRBlocks: 2
; NumSGPRsForWavesPerEU: 35
; NumVGPRsForWavesPerEU: 17
; AccumOffset: 20
; Occupancy: 8
; WaveLimiterHint : 0
; COMPUTE_PGM_RSRC2:SCRATCH_EN: 0
; COMPUTE_PGM_RSRC2:USER_SGPR: 6
; COMPUTE_PGM_RSRC2:TRAP_HANDLER: 0
; COMPUTE_PGM_RSRC2:TGID_X_EN: 1
; COMPUTE_PGM_RSRC2:TGID_Y_EN: 0
; COMPUTE_PGM_RSRC2:TGID_Z_EN: 0
; COMPUTE_PGM_RSRC2:TIDIG_COMP_CNT: 0
; COMPUTE_PGM_RSRC3_GFX90A:ACCUM_OFFSET: 4
; COMPUTE_PGM_RSRC3_GFX90A:TG_SPLIT: 0
	.section	.text._ZN5aiter20topk_softplus_kernelIf12hip_bfloat16Dv1_fLb0ELi0EEEvPKT_PKT0_PfPimiiif,"axG",@progbits,_ZN5aiter20topk_softplus_kernelIf12hip_bfloat16Dv1_fLb0ELi0EEEvPKT_PKT0_PfPimiiif,comdat
	.protected	_ZN5aiter20topk_softplus_kernelIf12hip_bfloat16Dv1_fLb0ELi0EEEvPKT_PKT0_PfPimiiif ; -- Begin function _ZN5aiter20topk_softplus_kernelIf12hip_bfloat16Dv1_fLb0ELi0EEEvPKT_PKT0_PfPimiiif
	.globl	_ZN5aiter20topk_softplus_kernelIf12hip_bfloat16Dv1_fLb0ELi0EEEvPKT_PKT0_PfPimiiif
	.p2align	8
	.type	_ZN5aiter20topk_softplus_kernelIf12hip_bfloat16Dv1_fLb0ELi0EEEvPKT_PKT0_PfPimiiif,@function
_ZN5aiter20topk_softplus_kernelIf12hip_bfloat16Dv1_fLb0ELi0EEEvPKT_PKT0_PfPimiiif: ; @_ZN5aiter20topk_softplus_kernelIf12hip_bfloat16Dv1_fLb0ELi0EEEvPKT_PKT0_PfPimiiif
; %bb.0:
	s_load_dwordx2 s[20:21], s[4:5], 0x28
	s_load_dwordx8 s[12:19], s[4:5], 0x0
	v_lshl_add_u32 v1, v0, 2, 0
	s_waitcnt lgkmcnt(0)
	s_mul_i32 s2, s6, s20
	s_ashr_i32 s3, s2, 31
	s_lshl_b64 s[2:3], s[2:3], 2
	s_add_u32 s7, s12, s2
	v_cmp_gt_i32_e64 s[0:1], s20, v0
	s_addc_u32 s24, s13, s3
	s_and_saveexec_b64 s[12:13], s[0:1]
	s_cbranch_execz .LBB102_5
; %bb.1:
	s_load_dword s8, s[4:5], 0x44
	s_cmp_lg_u64 s[14:15], 0
	s_cselect_b64 s[2:3], -1, 0
	v_cndmask_b32_e64 v2, 0, 1, s[2:3]
	s_mov_b64 s[22:23], 0
	s_waitcnt lgkmcnt(0)
	s_and_b32 s25, s8, 0xffff
	v_lshl_add_u32 v4, v0, 2, 0
	s_lshl_b32 s26, s25, 2
	v_mov_b32_e32 v5, s24
	s_mov_b32 s27, 0x41a00000
	s_mov_b32 s28, 0xc2fc0000
	v_mov_b32_e32 v6, 0x42800000
	v_mov_b32_e32 v7, 0x1f800000
	s_mov_b32 s29, 0x800000
	v_mov_b32_e32 v8, 0x4f800000
	v_mov_b32_e32 v9, 0x42000000
	s_mov_b32 s30, 0xf800000
	v_mov_b32_e32 v10, 0x260
	v_cmp_ne_u32_e64 s[2:3], 1, v2
	v_mov_b32_e32 v2, v0
	s_branch .LBB102_3
.LBB102_2:                              ;   in Loop: Header=BB102_3 Depth=1
	v_add_u32_e32 v2, s25, v2
	v_cmp_le_i32_e32 vcc, s20, v2
	ds_write_b32 v4, v11
	s_or_b64 s[22:23], vcc, s[22:23]
	v_add_u32_e32 v4, s26, v4
	s_andn2_b64 exec, exec, s[22:23]
	s_cbranch_execz .LBB102_5
.LBB102_3:                              ; =>This Inner Loop Header: Depth=1
	v_ashrrev_i32_e32 v3, 31, v2
	v_lshlrev_b64 v[12:13], 2, v[2:3]
	v_add_co_u32_e32 v12, vcc, s7, v12
	v_addc_co_u32_e32 v13, vcc, v5, v13, vcc
	global_load_dword v11, v[12:13], off
	s_waitcnt vmcnt(0)
	v_mul_f32_e32 v12, 0x3fb8aa3b, v11
	v_cmp_gt_f32_e32 vcc, s28, v12
	v_cndmask_b32_e32 v12, 0, v6, vcc
	v_fmac_f32_e32 v12, 0x3fb8aa3b, v11
	v_exp_f32_e32 v12, v12
	v_cndmask_b32_e32 v13, 1.0, v7, vcc
	v_fma_f32 v12, v12, v13, 1.0
	v_cmp_gt_f32_e32 vcc, s29, v12
	v_cndmask_b32_e32 v13, 1.0, v8, vcc
	v_mul_f32_e32 v12, v12, v13
	v_log_f32_e32 v12, v12
	v_cndmask_b32_e32 v13, 0, v9, vcc
	v_cmp_lt_f32_e32 vcc, s27, v11
	v_sub_f32_e32 v12, v12, v13
	v_mul_f32_e32 v12, 0x3f317218, v12
	v_cndmask_b32_e32 v11, v12, v11, vcc
	v_mul_f32_e32 v12, 0x4f800000, v11
	v_cmp_gt_f32_e64 s[8:9], s30, v11
	v_cndmask_b32_e64 v11, v11, v12, s[8:9]
	v_sqrt_f32_e32 v12, v11
	s_and_b64 vcc, exec, s[2:3]
	v_add_u32_e32 v13, -1, v12
	v_add_u32_e32 v14, 1, v12
	v_fma_f32 v15, -v13, v12, v11
	v_fma_f32 v16, -v14, v12, v11
	v_cmp_ge_f32_e64 s[10:11], 0, v15
	v_cndmask_b32_e64 v12, v12, v13, s[10:11]
	v_cmp_lt_f32_e64 s[10:11], 0, v16
	v_cndmask_b32_e64 v12, v12, v14, s[10:11]
	v_mul_f32_e32 v13, 0x37800000, v12
	v_cndmask_b32_e64 v12, v12, v13, s[8:9]
	v_cmp_class_f32_e64 s[8:9], v11, v10
	v_cndmask_b32_e64 v11, v12, v11, s[8:9]
	s_cbranch_vccnz .LBB102_2
; %bb.4:                                ;   in Loop: Header=BB102_3 Depth=1
	v_lshlrev_b64 v[12:13], 1, v[2:3]
	v_mov_b32_e32 v3, s15
	v_add_co_u32_e32 v12, vcc, s14, v12
	v_addc_co_u32_e32 v13, vcc, v3, v13, vcc
	global_load_ushort v3, v[12:13], off
	s_waitcnt vmcnt(0)
	v_lshlrev_b32_e32 v3, 16, v3
	v_add_f32_e32 v11, v11, v3
	s_branch .LBB102_2
.LBB102_5:
	s_or_b64 exec, exec, s[12:13]
	v_add_u32_e32 v2, s20, v0
	v_cmp_gt_i32_e32 vcc, s20, v2
	s_and_saveexec_b64 s[10:11], vcc
	s_cbranch_execz .LBB102_10
; %bb.6:
	s_load_dword s8, s[4:5], 0x44
	s_cmp_lg_u64 s[14:15], 0
	s_cselect_b64 s[2:3], -1, 0
	v_cndmask_b32_e64 v3, 0, 1, s[2:3]
	s_mov_b64 s[12:13], 0
	s_waitcnt lgkmcnt(0)
	s_and_b32 s22, s8, 0xffff
	v_lshl_add_u32 v4, v2, 2, 0
	s_lshl_b32 s23, s22, 2
	v_mov_b32_e32 v5, s24
	s_mov_b32 s24, 0x41a00000
	s_mov_b32 s25, 0xc2fc0000
	v_mov_b32_e32 v6, 0x42800000
	v_mov_b32_e32 v7, 0x1f800000
	s_mov_b32 s26, 0x800000
	v_mov_b32_e32 v8, 0x4f800000
	v_mov_b32_e32 v9, 0x42000000
	s_mov_b32 s27, 0xf800000
	v_mov_b32_e32 v10, 0x260
	v_cmp_ne_u32_e64 s[2:3], 1, v3
	s_branch .LBB102_8
.LBB102_7:                              ;   in Loop: Header=BB102_8 Depth=1
	v_add_u32_e32 v2, s22, v2
	v_cmp_le_i32_e32 vcc, s20, v2
	s_or_b64 s[12:13], vcc, s[12:13]
	v_add_u32_e32 v4, s23, v4
	s_andn2_b64 exec, exec, s[12:13]
	s_cbranch_execz .LBB102_10
.LBB102_8:                              ; =>This Inner Loop Header: Depth=1
	v_ashrrev_i32_e32 v3, 31, v2
	v_lshlrev_b64 v[12:13], 2, v[2:3]
	v_add_co_u32_e32 v12, vcc, s7, v12
	v_addc_co_u32_e32 v13, vcc, v5, v13, vcc
	global_load_dword v11, v[12:13], off
	s_waitcnt vmcnt(0)
	v_mul_f32_e32 v12, 0x3fb8aa3b, v11
	v_cmp_gt_f32_e32 vcc, s25, v12
	v_cndmask_b32_e32 v12, 0, v6, vcc
	v_fmac_f32_e32 v12, 0x3fb8aa3b, v11
	v_exp_f32_e32 v12, v12
	v_cndmask_b32_e32 v13, 1.0, v7, vcc
	v_fma_f32 v12, v12, v13, 1.0
	v_cmp_gt_f32_e32 vcc, s26, v12
	v_cndmask_b32_e32 v13, 1.0, v8, vcc
	v_mul_f32_e32 v12, v12, v13
	v_log_f32_e32 v12, v12
	v_cndmask_b32_e32 v13, 0, v9, vcc
	v_cmp_lt_f32_e32 vcc, s24, v11
	v_sub_f32_e32 v12, v12, v13
	v_mul_f32_e32 v12, 0x3f317218, v12
	v_cndmask_b32_e32 v11, v12, v11, vcc
	v_mul_f32_e32 v12, 0x4f800000, v11
	v_cmp_gt_f32_e32 vcc, s27, v11
	v_cndmask_b32_e32 v11, v11, v12, vcc
	v_sqrt_f32_e32 v12, v11
	v_add_u32_e32 v13, -1, v12
	v_add_u32_e32 v14, 1, v12
	v_fma_f32 v15, -v13, v12, v11
	v_fma_f32 v16, -v14, v12, v11
	v_cmp_ge_f32_e64 s[8:9], 0, v15
	v_cndmask_b32_e64 v12, v12, v13, s[8:9]
	v_cmp_lt_f32_e64 s[8:9], 0, v16
	v_cndmask_b32_e64 v12, v12, v14, s[8:9]
	v_mul_f32_e32 v13, 0x37800000, v12
	v_cndmask_b32_e32 v12, v12, v13, vcc
	v_cmp_class_f32_e32 vcc, v11, v10
	v_cndmask_b32_e32 v11, v12, v11, vcc
	s_and_b64 vcc, exec, s[2:3]
	ds_write_b32 v4, v11
	s_cbranch_vccnz .LBB102_7
; %bb.9:                                ;   in Loop: Header=BB102_8 Depth=1
	v_lshlrev_b64 v[12:13], 1, v[2:3]
	v_mov_b32_e32 v3, s15
	v_add_co_u32_e32 v12, vcc, s14, v12
	v_addc_co_u32_e32 v13, vcc, v3, v13, vcc
	global_load_ushort v3, v[12:13], off
	s_waitcnt vmcnt(0)
	v_lshlrev_b32_e32 v3, 16, v3
	v_add_f32_e32 v3, v11, v3
	ds_write_b32 v4, v3
	s_branch .LBB102_7
.LBB102_10:
	s_or_b64 exec, exec, s[10:11]
	s_cmp_lt_i32 s21, 1
	s_waitcnt lgkmcnt(0)
	s_barrier
	s_cbranch_scc1 .LBB102_19
; %bb.11:
	s_add_u32 s2, s4, 56
	s_addc_u32 s3, s5, 0
	v_mbcnt_lo_u32_b32 v3, -1, 0
	s_cmp_lg_u64 s[14:15], 0
	v_mbcnt_hi_u32_b32 v3, -1, v3
	v_bfrev_b32_e32 v5, 0.5
	s_cselect_b64 s[8:9], -1, 0
	s_mov_b32 s7, 0
	v_mov_b32_e32 v2, 0
	v_mov_b32_e32 v4, 0
	v_lshl_or_b32 v5, v3, 2, v5
	v_mov_b32_e32 v6, 0xff800000
	v_mov_b32_e32 v3, 0
	s_branch .LBB102_13
.LBB102_12:                             ;   in Loop: Header=BB102_13 Depth=1
	s_lshl_b32 s11, s10, 2
	s_add_i32 s11, s11, 0
	v_mov_b32_e32 v7, s11
	ds_write_b32 v7, v6
	v_mov_b32_e32 v7, s10
	v_cmp_eq_u32_e32 vcc, s7, v0
	s_add_i32 s7, s7, 1
	v_cndmask_b32_e32 v2, v2, v7, vcc
	s_cmp_eq_u32 s7, s21
	v_cndmask_b32_e32 v3, v3, v9, vcc
	s_cbranch_scc1 .LBB102_20
.LBB102_13:                             ; =>This Loop Header: Depth=1
                                        ;     Child Loop BB102_15 Depth 2
	v_mov_b32_e32 v7, s7
	v_mov_b32_e32 v8, 0xff800000
	s_and_saveexec_b64 s[10:11], s[0:1]
	s_cbranch_execz .LBB102_17
; %bb.14:                               ;   in Loop: Header=BB102_13 Depth=1
	s_load_dword s22, s[2:3], 0xc
	s_mov_b64 s[12:13], 0
	v_mov_b32_e32 v7, s7
	v_mov_b32_e32 v8, 0xff800000
	v_mov_b32_e32 v9, v1
	s_waitcnt lgkmcnt(0)
	s_and_b32 s22, s22, 0xffff
	s_lshl_b32 s23, s22, 2
	v_mov_b32_e32 v10, v0
.LBB102_15:                             ;   Parent Loop BB102_13 Depth=1
                                        ; =>  This Inner Loop Header: Depth=2
	ds_read_b32 v11, v9
	v_add_u32_e32 v9, s23, v9
	s_waitcnt lgkmcnt(0)
	v_cmp_gt_f32_e32 vcc, v11, v8
	v_cndmask_b32_e32 v7, v7, v10, vcc
	v_add_u32_e32 v10, s22, v10
	v_cndmask_b32_e32 v8, v8, v11, vcc
	v_cmp_le_i32_e32 vcc, s20, v10
	s_or_b64 s[12:13], vcc, s[12:13]
	s_andn2_b64 exec, exec, s[12:13]
	s_cbranch_execnz .LBB102_15
; %bb.16:                               ;   in Loop: Header=BB102_13 Depth=1
	s_or_b64 exec, exec, s[12:13]
.LBB102_17:                             ;   in Loop: Header=BB102_13 Depth=1
	s_or_b64 exec, exec, s[10:11]
	;;#ASMSTART
	v_max_f32 v9, v8, v8 quad_perm:[1,0,3,2] row_mask:0xf bank_mask:0xf bound_ctrl:1
	;;#ASMEND
	;;#ASMSTART
	v_max_f32 v10, v9, v9 quad_perm:[2,3,0,1] row_mask:0xf bank_mask:0xf bound_ctrl:1
	;;#ASMEND
	;;#ASMSTART
	v_max_f32 v9, v10, v10 row_half_mirror row_mask:0xf bank_mask:0xf bound_ctrl:1
	;;#ASMEND
	;;#ASMSTART
	v_max_f32 v10, v9, v9 row_mirror row_mask:0xf bank_mask:0xf bound_ctrl:1
	;;#ASMEND
	;;#ASMSTART
	v_max_f32 v9, v10, v10 row_ror:4 row_mask:0xf bank_mask:0xf bound_ctrl:1
	;;#ASMEND
	;;#ASMSTART
	v_max_f32 v10, v9, v9 row_ror:8 row_mask:0xf bank_mask:0xf bound_ctrl:1
	;;#ASMEND
	;;#ASMSTART
	v_max_f32 v9, v10, v10 row_bcast:15 row_mask:0xf bank_mask:0xf bound_ctrl:1
	;;#ASMEND
	;;#ASMSTART
	v_max_f32 v10, v9, v9 row_bcast:31 row_mask:0xf bank_mask:0xf bound_ctrl:1
	;;#ASMEND
	ds_bpermute_b32 v9, v5, v10
	s_waitcnt lgkmcnt(0)
	v_cmp_eq_f32_e32 vcc, v8, v9
	s_ff1_i32_b64 s10, vcc
	s_cmp_lg_u64 vcc, 0
	s_cselect_b32 s10, s10, 0
	s_and_b64 vcc, exec, s[8:9]
	v_readlane_b32 s10, v7, s10
	s_cbranch_vccz .LBB102_12
; %bb.18:                               ;   in Loop: Header=BB102_13 Depth=1
	s_ashr_i32 s11, s10, 31
	s_lshl_b64 s[12:13], s[10:11], 1
	s_add_u32 s12, s14, s12
	s_addc_u32 s13, s15, s13
	global_load_ushort v7, v4, s[12:13]
	s_waitcnt vmcnt(0)
	v_lshlrev_b32_e32 v7, 16, v7
	v_sub_f32_e32 v9, v9, v7
	s_branch .LBB102_12
.LBB102_19:
	v_mov_b32_e32 v3, 0
	v_mov_b32_e32 v2, 0
.LBB102_20:
	v_cmp_gt_i32_e32 vcc, s21, v0
	s_and_saveexec_b64 s[0:1], vcc
	s_cbranch_execz .LBB102_23
; %bb.21:
	s_load_dword s2, s[4:5], 0x34
	s_load_dwordx2 s[0:1], s[4:5], 0x20
	s_ashr_i32 s3, s6, 31
	s_load_dword s4, s[4:5], 0x44
	v_mov_b32_e32 v4, s17
	s_waitcnt lgkmcnt(0)
	v_mul_f32_e32 v1, s2, v3
	s_mul_i32 s1, s6, s1
	s_mul_hi_u32 s2, s6, s0
	s_add_i32 s1, s2, s1
	s_mul_i32 s3, s3, s0
	s_add_i32 s5, s1, s3
	s_mul_i32 s2, s6, s0
	s_and_b32 s3, s4, 0xffff
	s_mov_b64 s[0:1], 0
	v_mov_b32_e32 v3, s5
	v_mov_b32_e32 v5, s19
.LBB102_22:                             ; =>This Inner Loop Header: Depth=1
	v_ashrrev_i32_e32 v7, 31, v0
	v_add_co_u32_e32 v6, vcc, s2, v0
	v_addc_co_u32_e32 v7, vcc, v3, v7, vcc
	v_add_u32_e32 v0, s3, v0
	v_cmp_le_i32_e32 vcc, s21, v0
	v_lshlrev_b64 v[6:7], 2, v[6:7]
	s_or_b64 s[0:1], vcc, s[0:1]
	v_add_co_u32_e32 v8, vcc, s16, v6
	v_addc_co_u32_e32 v9, vcc, v4, v7, vcc
	v_add_co_u32_e32 v6, vcc, s18, v6
	v_addc_co_u32_e32 v7, vcc, v5, v7, vcc
	global_store_dword v[8:9], v1, off
	global_store_dword v[6:7], v2, off
	s_andn2_b64 exec, exec, s[0:1]
	s_cbranch_execnz .LBB102_22
.LBB102_23:
	s_endpgm
	.section	.rodata,"a",@progbits
	.p2align	6, 0x0
	.amdhsa_kernel _ZN5aiter20topk_softplus_kernelIf12hip_bfloat16Dv1_fLb0ELi0EEEvPKT_PKT0_PfPimiiif
		.amdhsa_group_segment_fixed_size 0
		.amdhsa_private_segment_fixed_size 0
		.amdhsa_kernarg_size 312
		.amdhsa_user_sgpr_count 6
		.amdhsa_user_sgpr_private_segment_buffer 1
		.amdhsa_user_sgpr_dispatch_ptr 0
		.amdhsa_user_sgpr_queue_ptr 0
		.amdhsa_user_sgpr_kernarg_segment_ptr 1
		.amdhsa_user_sgpr_dispatch_id 0
		.amdhsa_user_sgpr_flat_scratch_init 0
		.amdhsa_user_sgpr_kernarg_preload_length 0
		.amdhsa_user_sgpr_kernarg_preload_offset 0
		.amdhsa_user_sgpr_private_segment_size 0
		.amdhsa_uses_dynamic_stack 0
		.amdhsa_system_sgpr_private_segment_wavefront_offset 0
		.amdhsa_system_sgpr_workgroup_id_x 1
		.amdhsa_system_sgpr_workgroup_id_y 0
		.amdhsa_system_sgpr_workgroup_id_z 0
		.amdhsa_system_sgpr_workgroup_info 0
		.amdhsa_system_vgpr_workitem_id 0
		.amdhsa_next_free_vgpr 17
		.amdhsa_next_free_sgpr 31
		.amdhsa_accum_offset 20
		.amdhsa_reserve_vcc 1
		.amdhsa_reserve_flat_scratch 0
		.amdhsa_float_round_mode_32 0
		.amdhsa_float_round_mode_16_64 0
		.amdhsa_float_denorm_mode_32 3
		.amdhsa_float_denorm_mode_16_64 3
		.amdhsa_dx10_clamp 1
		.amdhsa_ieee_mode 1
		.amdhsa_fp16_overflow 0
		.amdhsa_tg_split 0
		.amdhsa_exception_fp_ieee_invalid_op 0
		.amdhsa_exception_fp_denorm_src 0
		.amdhsa_exception_fp_ieee_div_zero 0
		.amdhsa_exception_fp_ieee_overflow 0
		.amdhsa_exception_fp_ieee_underflow 0
		.amdhsa_exception_fp_ieee_inexact 0
		.amdhsa_exception_int_div_zero 0
	.end_amdhsa_kernel
	.section	.text._ZN5aiter20topk_softplus_kernelIf12hip_bfloat16Dv1_fLb0ELi0EEEvPKT_PKT0_PfPimiiif,"axG",@progbits,_ZN5aiter20topk_softplus_kernelIf12hip_bfloat16Dv1_fLb0ELi0EEEvPKT_PKT0_PfPimiiif,comdat
.Lfunc_end102:
	.size	_ZN5aiter20topk_softplus_kernelIf12hip_bfloat16Dv1_fLb0ELi0EEEvPKT_PKT0_PfPimiiif, .Lfunc_end102-_ZN5aiter20topk_softplus_kernelIf12hip_bfloat16Dv1_fLb0ELi0EEEvPKT_PKT0_PfPimiiif
                                        ; -- End function
	.section	.AMDGPU.csdata,"",@progbits
; Kernel info:
; codeLenInByte = 1572
; NumSgprs: 35
; NumVgprs: 17
; NumAgprs: 0
; TotalNumVgprs: 17
; ScratchSize: 0
; MemoryBound: 0
; FloatMode: 240
; IeeeMode: 1
; LDSByteSize: 0 bytes/workgroup (compile time only)
; SGPRBlocks: 4
; VGPRBlocks: 2
; NumSGPRsForWavesPerEU: 35
; NumVGPRsForWavesPerEU: 17
; AccumOffset: 20
; Occupancy: 8
; WaveLimiterHint : 0
; COMPUTE_PGM_RSRC2:SCRATCH_EN: 0
; COMPUTE_PGM_RSRC2:USER_SGPR: 6
; COMPUTE_PGM_RSRC2:TRAP_HANDLER: 0
; COMPUTE_PGM_RSRC2:TGID_X_EN: 1
; COMPUTE_PGM_RSRC2:TGID_Y_EN: 0
; COMPUTE_PGM_RSRC2:TGID_Z_EN: 0
; COMPUTE_PGM_RSRC2:TIDIG_COMP_CNT: 0
; COMPUTE_PGM_RSRC3_GFX90A:ACCUM_OFFSET: 4
; COMPUTE_PGM_RSRC3_GFX90A:TG_SPLIT: 0
	.section	.text._ZN5aiter24topk_softplus_kernel_optI6__halffLi64ELb1ELi1EEEvPKT_PKT0_PfPimiif,"axG",@progbits,_ZN5aiter24topk_softplus_kernel_optI6__halffLi64ELb1ELi1EEEvPKT_PKT0_PfPimiif,comdat
	.protected	_ZN5aiter24topk_softplus_kernel_optI6__halffLi64ELb1ELi1EEEvPKT_PKT0_PfPimiif ; -- Begin function _ZN5aiter24topk_softplus_kernel_optI6__halffLi64ELb1ELi1EEEvPKT_PKT0_PfPimiif
	.globl	_ZN5aiter24topk_softplus_kernel_optI6__halffLi64ELb1ELi1EEEvPKT_PKT0_PfPimiif
	.p2align	8
	.type	_ZN5aiter24topk_softplus_kernel_optI6__halffLi64ELb1ELi1EEEvPKT_PKT0_PfPimiif,@function
_ZN5aiter24topk_softplus_kernel_optI6__halffLi64ELb1ELi1EEEvPKT_PKT0_PfPimiif: ; @_ZN5aiter24topk_softplus_kernel_optI6__halffLi64ELb1ELi1EEEvPKT_PKT0_PfPimiif
; %bb.0:
	s_load_dwordx4 s[0:3], s[4:5], 0x0
	s_lshl_b32 s8, s6, 6
	s_ashr_i32 s9, s8, 31
	s_lshl_b64 s[8:9], s[8:9], 1
	v_lshlrev_b32_e32 v1, 1, v0
	s_waitcnt lgkmcnt(0)
	s_add_u32 s0, s0, s8
	s_addc_u32 s1, s1, s9
	global_load_ushort v1, v1, s[0:1]
	s_mov_b32 s1, 0xc2fc0000
	v_mov_b32_e32 v3, 0x42800000
	s_mov_b32 s0, 0xbfb8aa3b
	s_cmp_eq_u64 s[2:3], 0
	s_waitcnt vmcnt(0)
	v_cvt_f32_f16_e32 v2, v1
	v_mul_f32_e32 v2, 0xbfb8aa3b, v2
	v_cmp_gt_f32_e32 vcc, s1, v2
	v_cndmask_b32_e32 v2, 0, v3, vcc
	v_fma_mix_f32 v1, v1, s0, v2 op_sel_hi:[1,0,0]
	v_exp_f32_e32 v1, v1
	v_mov_b32_e32 v2, 0x1f800000
	v_cndmask_b32_e32 v2, 1.0, v2, vcc
	v_fma_f32 v1, v1, v2, 1.0
	v_rcp_f32_e32 v4, v1
	v_mov_b32_e32 v2, 0
	v_lshlrev_b32_e32 v1, 2, v0
	v_mov_b32_e32 v5, v4
	s_cbranch_scc1 .LBB103_2
; %bb.1:
	global_load_dword v3, v1, s[2:3]
	s_waitcnt vmcnt(0)
	v_add_f32_e32 v5, v4, v3
.LBB103_2:
	s_load_dword s2, s[4:5], 0x28
	s_load_dwordx4 s[8:11], s[4:5], 0x10
	s_mov_b32 s3, 0
	v_mov_b32_e32 v6, 0
	v_mov_b32_e32 v3, 0
	s_waitcnt lgkmcnt(0)
	s_cmp_lt_i32 s2, 1
	s_cbranch_scc1 .LBB103_5
; %bb.3:
	v_mbcnt_lo_u32_b32 v2, -1, 0
	v_mbcnt_hi_u32_b32 v2, -1, v2
	v_bfrev_b32_e32 v3, 0.5
	v_mov_b32_e32 v7, 0
	v_mov_b32_e32 v8, 0xff800000
	v_lshl_or_b32 v9, v2, 2, v3
	v_mov_b32_e32 v6, 0
	v_mov_b32_e32 v2, 0
	;; [unrolled: 1-line block ×3, first 2 shown]
.LBB103_4:                              ; =>This Inner Loop Header: Depth=1
	v_cmp_eq_u32_e32 vcc, 0, v7
	v_cndmask_b32_e32 v10, v8, v5, vcc
	;;#ASMSTART
	v_max_f32 v12, v10, v10 quad_perm:[1,0,3,2] row_mask:0xf bank_mask:0xf bound_ctrl:1
	;;#ASMEND
	;;#ASMSTART
	v_max_f32 v13, v12, v12 quad_perm:[2,3,0,1] row_mask:0xf bank_mask:0xf bound_ctrl:1
	;;#ASMEND
	;;#ASMSTART
	v_max_f32 v12, v13, v13 row_half_mirror row_mask:0xf bank_mask:0xf bound_ctrl:1
	;;#ASMEND
	;;#ASMSTART
	v_max_f32 v13, v12, v12 row_mirror row_mask:0xf bank_mask:0xf bound_ctrl:1
	;;#ASMEND
	;;#ASMSTART
	v_max_f32 v12, v13, v13 row_ror:4 row_mask:0xf bank_mask:0xf bound_ctrl:1
	;;#ASMEND
	;;#ASMSTART
	v_max_f32 v13, v12, v12 row_ror:8 row_mask:0xf bank_mask:0xf bound_ctrl:1
	;;#ASMEND
	;;#ASMSTART
	v_max_f32 v12, v13, v13 row_bcast:15 row_mask:0xf bank_mask:0xf bound_ctrl:1
	;;#ASMEND
	;;#ASMSTART
	v_max_f32 v13, v12, v12 row_bcast:31 row_mask:0xf bank_mask:0xf bound_ctrl:1
	;;#ASMEND
	ds_bpermute_b32 v12, v9, v13
	v_cndmask_b32_e32 v11, 0, v0, vcc
	s_waitcnt lgkmcnt(0)
	v_cmp_eq_f32_e64 s[0:1], v10, v12
	s_ff1_i32_b64 s7, s[0:1]
	s_cmp_lg_u64 s[0:1], 0
	s_cselect_b32 s0, s7, 0
	s_nop 0
	v_readlane_b32 s7, v11, s0
	v_cmp_eq_u32_e64 s[0:1], s7, v0
	s_and_b64 vcc, vcc, s[0:1]
	s_and_b32 s12, s7, 63
	v_cndmask_b32_e32 v11, 0, v4, vcc
	v_addc_co_u32_e32 v7, vcc, 0, v7, vcc
	v_readlane_b32 s0, v11, s12
	v_mov_b32_e32 v10, s7
	v_mov_b32_e32 v11, s0
	v_cmp_eq_u32_e32 vcc, s3, v0
	s_add_i32 s3, s3, 1
	v_add_f32_e32 v6, s0, v6
	v_cndmask_b32_e32 v3, v3, v11, vcc
	s_cmp_eq_u32 s2, s3
	v_cndmask_b32_e32 v2, v2, v10, vcc
	s_cbranch_scc0 .LBB103_4
.LBB103_5:
	v_cmp_gt_i32_e32 vcc, s2, v0
	s_and_saveexec_b64 s[0:1], vcc
	s_cbranch_execz .LBB103_7
; %bb.6:
	s_load_dword s2, s[4:5], 0x30
	v_max_f32_e32 v0, v6, v6
	v_max_f32_e32 v0, 0x1e3ce508, v0
	s_waitcnt lgkmcnt(0)
	v_div_scale_f32 v4, s[0:1], v0, v0, s2
	v_rcp_f32_e32 v5, v4
	v_div_scale_f32 v6, vcc, s2, v0, s2
	s_load_dwordx2 s[0:1], s[4:5], 0x20
	v_fma_f32 v7, -v4, v5, 1.0
	v_fmac_f32_e32 v5, v7, v5
	v_mul_f32_e32 v7, v6, v5
	v_fma_f32 v8, -v4, v7, v6
	v_fmac_f32_e32 v7, v8, v5
	v_fma_f32 v4, -v4, v7, v6
	v_div_fmas_f32 v4, v4, v5, v7
	v_div_fixup_f32 v0, v4, v0, s2
	s_ashr_i32 s2, s6, 31
	s_waitcnt lgkmcnt(0)
	s_mul_i32 s1, s6, s1
	s_mul_hi_u32 s3, s6, s0
	s_add_i32 s1, s3, s1
	s_mul_i32 s2, s2, s0
	s_add_i32 s1, s1, s2
	s_mul_i32 s0, s6, s0
	s_lshl_b64 s[0:1], s[0:1], 2
	s_add_u32 s2, s8, s0
	s_addc_u32 s3, s9, s1
	s_add_u32 s0, s10, s0
	v_mul_f32_e32 v0, v3, v0
	s_addc_u32 s1, s11, s1
	global_store_dword v1, v0, s[2:3]
	global_store_dword v1, v2, s[0:1]
.LBB103_7:
	s_endpgm
	.section	.rodata,"a",@progbits
	.p2align	6, 0x0
	.amdhsa_kernel _ZN5aiter24topk_softplus_kernel_optI6__halffLi64ELb1ELi1EEEvPKT_PKT0_PfPimiif
		.amdhsa_group_segment_fixed_size 0
		.amdhsa_private_segment_fixed_size 0
		.amdhsa_kernarg_size 52
		.amdhsa_user_sgpr_count 6
		.amdhsa_user_sgpr_private_segment_buffer 1
		.amdhsa_user_sgpr_dispatch_ptr 0
		.amdhsa_user_sgpr_queue_ptr 0
		.amdhsa_user_sgpr_kernarg_segment_ptr 1
		.amdhsa_user_sgpr_dispatch_id 0
		.amdhsa_user_sgpr_flat_scratch_init 0
		.amdhsa_user_sgpr_kernarg_preload_length 0
		.amdhsa_user_sgpr_kernarg_preload_offset 0
		.amdhsa_user_sgpr_private_segment_size 0
		.amdhsa_uses_dynamic_stack 0
		.amdhsa_system_sgpr_private_segment_wavefront_offset 0
		.amdhsa_system_sgpr_workgroup_id_x 1
		.amdhsa_system_sgpr_workgroup_id_y 0
		.amdhsa_system_sgpr_workgroup_id_z 0
		.amdhsa_system_sgpr_workgroup_info 0
		.amdhsa_system_vgpr_workitem_id 0
		.amdhsa_next_free_vgpr 14
		.amdhsa_next_free_sgpr 13
		.amdhsa_accum_offset 16
		.amdhsa_reserve_vcc 1
		.amdhsa_reserve_flat_scratch 0
		.amdhsa_float_round_mode_32 0
		.amdhsa_float_round_mode_16_64 0
		.amdhsa_float_denorm_mode_32 3
		.amdhsa_float_denorm_mode_16_64 3
		.amdhsa_dx10_clamp 1
		.amdhsa_ieee_mode 1
		.amdhsa_fp16_overflow 0
		.amdhsa_tg_split 0
		.amdhsa_exception_fp_ieee_invalid_op 0
		.amdhsa_exception_fp_denorm_src 0
		.amdhsa_exception_fp_ieee_div_zero 0
		.amdhsa_exception_fp_ieee_overflow 0
		.amdhsa_exception_fp_ieee_underflow 0
		.amdhsa_exception_fp_ieee_inexact 0
		.amdhsa_exception_int_div_zero 0
	.end_amdhsa_kernel
	.section	.text._ZN5aiter24topk_softplus_kernel_optI6__halffLi64ELb1ELi1EEEvPKT_PKT0_PfPimiif,"axG",@progbits,_ZN5aiter24topk_softplus_kernel_optI6__halffLi64ELb1ELi1EEEvPKT_PKT0_PfPimiif,comdat
.Lfunc_end103:
	.size	_ZN5aiter24topk_softplus_kernel_optI6__halffLi64ELb1ELi1EEEvPKT_PKT0_PfPimiif, .Lfunc_end103-_ZN5aiter24topk_softplus_kernel_optI6__halffLi64ELb1ELi1EEEvPKT_PKT0_PfPimiif
                                        ; -- End function
	.section	.AMDGPU.csdata,"",@progbits
; Kernel info:
; codeLenInByte = 636
; NumSgprs: 17
; NumVgprs: 14
; NumAgprs: 0
; TotalNumVgprs: 14
; ScratchSize: 0
; MemoryBound: 0
; FloatMode: 240
; IeeeMode: 1
; LDSByteSize: 0 bytes/workgroup (compile time only)
; SGPRBlocks: 2
; VGPRBlocks: 1
; NumSGPRsForWavesPerEU: 17
; NumVGPRsForWavesPerEU: 14
; AccumOffset: 16
; Occupancy: 8
; WaveLimiterHint : 0
; COMPUTE_PGM_RSRC2:SCRATCH_EN: 0
; COMPUTE_PGM_RSRC2:USER_SGPR: 6
; COMPUTE_PGM_RSRC2:TRAP_HANDLER: 0
; COMPUTE_PGM_RSRC2:TGID_X_EN: 1
; COMPUTE_PGM_RSRC2:TGID_Y_EN: 0
; COMPUTE_PGM_RSRC2:TGID_Z_EN: 0
; COMPUTE_PGM_RSRC2:TIDIG_COMP_CNT: 0
; COMPUTE_PGM_RSRC3_GFX90A:ACCUM_OFFSET: 3
; COMPUTE_PGM_RSRC3_GFX90A:TG_SPLIT: 0
	.section	.text._ZN5aiter24topk_softplus_kernel_optI6__halffLi64ELb0ELi1EEEvPKT_PKT0_PfPimiif,"axG",@progbits,_ZN5aiter24topk_softplus_kernel_optI6__halffLi64ELb0ELi1EEEvPKT_PKT0_PfPimiif,comdat
	.protected	_ZN5aiter24topk_softplus_kernel_optI6__halffLi64ELb0ELi1EEEvPKT_PKT0_PfPimiif ; -- Begin function _ZN5aiter24topk_softplus_kernel_optI6__halffLi64ELb0ELi1EEEvPKT_PKT0_PfPimiif
	.globl	_ZN5aiter24topk_softplus_kernel_optI6__halffLi64ELb0ELi1EEEvPKT_PKT0_PfPimiif
	.p2align	8
	.type	_ZN5aiter24topk_softplus_kernel_optI6__halffLi64ELb0ELi1EEEvPKT_PKT0_PfPimiif,@function
_ZN5aiter24topk_softplus_kernel_optI6__halffLi64ELb0ELi1EEEvPKT_PKT0_PfPimiif: ; @_ZN5aiter24topk_softplus_kernel_optI6__halffLi64ELb0ELi1EEEvPKT_PKT0_PfPimiif
; %bb.0:
	s_load_dwordx4 s[0:3], s[4:5], 0x0
	s_lshl_b32 s8, s6, 6
	s_ashr_i32 s9, s8, 31
	s_lshl_b64 s[8:9], s[8:9], 1
	v_lshlrev_b32_e32 v1, 1, v0
	s_waitcnt lgkmcnt(0)
	s_add_u32 s0, s0, s8
	s_addc_u32 s1, s1, s9
	global_load_ushort v1, v1, s[0:1]
	s_mov_b32 s1, 0xc2fc0000
	v_mov_b32_e32 v3, 0x42800000
	s_mov_b32 s0, 0xbfb8aa3b
	s_cmp_eq_u64 s[2:3], 0
	s_waitcnt vmcnt(0)
	v_cvt_f32_f16_e32 v2, v1
	v_mul_f32_e32 v2, 0xbfb8aa3b, v2
	v_cmp_gt_f32_e32 vcc, s1, v2
	v_cndmask_b32_e32 v2, 0, v3, vcc
	v_fma_mix_f32 v1, v1, s0, v2 op_sel_hi:[1,0,0]
	v_exp_f32_e32 v1, v1
	v_mov_b32_e32 v2, 0x1f800000
	v_cndmask_b32_e32 v2, 1.0, v2, vcc
	v_fma_f32 v1, v1, v2, 1.0
	v_rcp_f32_e32 v4, v1
	v_mov_b32_e32 v2, 0
	v_lshlrev_b32_e32 v1, 2, v0
	v_mov_b32_e32 v5, v4
	s_cbranch_scc1 .LBB104_2
; %bb.1:
	global_load_dword v3, v1, s[2:3]
	s_waitcnt vmcnt(0)
	v_add_f32_e32 v5, v4, v3
.LBB104_2:
	s_load_dword s2, s[4:5], 0x28
	s_load_dwordx4 s[8:11], s[4:5], 0x10
	s_waitcnt lgkmcnt(0)
	s_cmp_lt_i32 s2, 1
	s_cbranch_scc1 .LBB104_8
; %bb.3:
	v_mbcnt_lo_u32_b32 v2, -1, 0
	v_mbcnt_hi_u32_b32 v2, -1, v2
	v_bfrev_b32_e32 v8, 0.5
	s_mov_b32 s3, 0
	v_mov_b32_e32 v6, 0
	v_mov_b32_e32 v3, 0
	;; [unrolled: 1-line block ×3, first 2 shown]
	v_lshl_or_b32 v8, v2, 2, v8
	v_mov_b32_e32 v2, 0
.LBB104_4:                              ; =>This Inner Loop Header: Depth=1
	v_cmp_eq_u32_e32 vcc, 0, v6
	v_cndmask_b32_e32 v9, v7, v5, vcc
	;;#ASMSTART
	v_max_f32 v11, v9, v9 quad_perm:[1,0,3,2] row_mask:0xf bank_mask:0xf bound_ctrl:1
	;;#ASMEND
	;;#ASMSTART
	v_max_f32 v12, v11, v11 quad_perm:[2,3,0,1] row_mask:0xf bank_mask:0xf bound_ctrl:1
	;;#ASMEND
	;;#ASMSTART
	v_max_f32 v11, v12, v12 row_half_mirror row_mask:0xf bank_mask:0xf bound_ctrl:1
	;;#ASMEND
	;;#ASMSTART
	v_max_f32 v12, v11, v11 row_mirror row_mask:0xf bank_mask:0xf bound_ctrl:1
	;;#ASMEND
	;;#ASMSTART
	v_max_f32 v11, v12, v12 row_ror:4 row_mask:0xf bank_mask:0xf bound_ctrl:1
	;;#ASMEND
	;;#ASMSTART
	v_max_f32 v12, v11, v11 row_ror:8 row_mask:0xf bank_mask:0xf bound_ctrl:1
	;;#ASMEND
	;;#ASMSTART
	v_max_f32 v11, v12, v12 row_bcast:15 row_mask:0xf bank_mask:0xf bound_ctrl:1
	;;#ASMEND
	;;#ASMSTART
	v_max_f32 v12, v11, v11 row_bcast:31 row_mask:0xf bank_mask:0xf bound_ctrl:1
	;;#ASMEND
	ds_bpermute_b32 v11, v8, v12
	v_cndmask_b32_e32 v10, 0, v0, vcc
	s_waitcnt lgkmcnt(0)
	v_cmp_eq_f32_e64 s[0:1], v9, v11
	s_ff1_i32_b64 s7, s[0:1]
	s_cmp_lg_u64 s[0:1], 0
	s_cselect_b32 s0, s7, 0
	s_nop 0
	v_readlane_b32 s7, v10, s0
	v_cmp_eq_u32_e64 s[0:1], s7, v0
	s_and_b64 vcc, vcc, s[0:1]
	s_and_b32 s12, s7, 63
	v_cndmask_b32_e32 v10, 0, v4, vcc
	v_addc_co_u32_e32 v6, vcc, 0, v6, vcc
	v_readlane_b32 s0, v10, s12
	v_mov_b32_e32 v9, s7
	v_mov_b32_e32 v10, s0
	v_cmp_eq_u32_e32 vcc, s3, v0
	s_add_i32 s3, s3, 1
	v_cndmask_b32_e32 v3, v3, v10, vcc
	s_cmp_eq_u32 s2, s3
	v_cndmask_b32_e32 v2, v2, v9, vcc
	s_cbranch_scc0 .LBB104_4
; %bb.5:
	v_cmp_gt_i32_e32 vcc, s2, v0
	s_and_saveexec_b64 s[0:1], vcc
	s_cbranch_execz .LBB104_7
.LBB104_6:
	s_load_dword s2, s[4:5], 0x30
	s_load_dwordx2 s[0:1], s[4:5], 0x20
	s_ashr_i32 s3, s6, 31
	s_waitcnt lgkmcnt(0)
	v_mul_f32_e32 v0, s2, v3
	s_mul_i32 s1, s6, s1
	s_mul_hi_u32 s2, s6, s0
	s_add_i32 s1, s2, s1
	s_mul_i32 s3, s3, s0
	s_add_i32 s1, s1, s3
	s_mul_i32 s0, s6, s0
	s_lshl_b64 s[0:1], s[0:1], 2
	s_add_u32 s2, s8, s0
	s_addc_u32 s3, s9, s1
	s_add_u32 s0, s10, s0
	s_addc_u32 s1, s11, s1
	global_store_dword v1, v0, s[2:3]
	global_store_dword v1, v2, s[0:1]
.LBB104_7:
	s_endpgm
.LBB104_8:
	v_mov_b32_e32 v3, 0
	v_cmp_gt_i32_e32 vcc, s2, v0
	s_and_saveexec_b64 s[0:1], vcc
	s_cbranch_execnz .LBB104_6
	s_branch .LBB104_7
	.section	.rodata,"a",@progbits
	.p2align	6, 0x0
	.amdhsa_kernel _ZN5aiter24topk_softplus_kernel_optI6__halffLi64ELb0ELi1EEEvPKT_PKT0_PfPimiif
		.amdhsa_group_segment_fixed_size 0
		.amdhsa_private_segment_fixed_size 0
		.amdhsa_kernarg_size 52
		.amdhsa_user_sgpr_count 6
		.amdhsa_user_sgpr_private_segment_buffer 1
		.amdhsa_user_sgpr_dispatch_ptr 0
		.amdhsa_user_sgpr_queue_ptr 0
		.amdhsa_user_sgpr_kernarg_segment_ptr 1
		.amdhsa_user_sgpr_dispatch_id 0
		.amdhsa_user_sgpr_flat_scratch_init 0
		.amdhsa_user_sgpr_kernarg_preload_length 0
		.amdhsa_user_sgpr_kernarg_preload_offset 0
		.amdhsa_user_sgpr_private_segment_size 0
		.amdhsa_uses_dynamic_stack 0
		.amdhsa_system_sgpr_private_segment_wavefront_offset 0
		.amdhsa_system_sgpr_workgroup_id_x 1
		.amdhsa_system_sgpr_workgroup_id_y 0
		.amdhsa_system_sgpr_workgroup_id_z 0
		.amdhsa_system_sgpr_workgroup_info 0
		.amdhsa_system_vgpr_workitem_id 0
		.amdhsa_next_free_vgpr 13
		.amdhsa_next_free_sgpr 13
		.amdhsa_accum_offset 16
		.amdhsa_reserve_vcc 1
		.amdhsa_reserve_flat_scratch 0
		.amdhsa_float_round_mode_32 0
		.amdhsa_float_round_mode_16_64 0
		.amdhsa_float_denorm_mode_32 3
		.amdhsa_float_denorm_mode_16_64 3
		.amdhsa_dx10_clamp 1
		.amdhsa_ieee_mode 1
		.amdhsa_fp16_overflow 0
		.amdhsa_tg_split 0
		.amdhsa_exception_fp_ieee_invalid_op 0
		.amdhsa_exception_fp_denorm_src 0
		.amdhsa_exception_fp_ieee_div_zero 0
		.amdhsa_exception_fp_ieee_overflow 0
		.amdhsa_exception_fp_ieee_underflow 0
		.amdhsa_exception_fp_ieee_inexact 0
		.amdhsa_exception_int_div_zero 0
	.end_amdhsa_kernel
	.section	.text._ZN5aiter24topk_softplus_kernel_optI6__halffLi64ELb0ELi1EEEvPKT_PKT0_PfPimiif,"axG",@progbits,_ZN5aiter24topk_softplus_kernel_optI6__halffLi64ELb0ELi1EEEvPKT_PKT0_PfPimiif,comdat
.Lfunc_end104:
	.size	_ZN5aiter24topk_softplus_kernel_optI6__halffLi64ELb0ELi1EEEvPKT_PKT0_PfPimiif, .Lfunc_end104-_ZN5aiter24topk_softplus_kernel_optI6__halffLi64ELb0ELi1EEEvPKT_PKT0_PfPimiif
                                        ; -- End function
	.section	.AMDGPU.csdata,"",@progbits
; Kernel info:
; codeLenInByte = 552
; NumSgprs: 17
; NumVgprs: 13
; NumAgprs: 0
; TotalNumVgprs: 13
; ScratchSize: 0
; MemoryBound: 0
; FloatMode: 240
; IeeeMode: 1
; LDSByteSize: 0 bytes/workgroup (compile time only)
; SGPRBlocks: 2
; VGPRBlocks: 1
; NumSGPRsForWavesPerEU: 17
; NumVGPRsForWavesPerEU: 13
; AccumOffset: 16
; Occupancy: 8
; WaveLimiterHint : 0
; COMPUTE_PGM_RSRC2:SCRATCH_EN: 0
; COMPUTE_PGM_RSRC2:USER_SGPR: 6
; COMPUTE_PGM_RSRC2:TRAP_HANDLER: 0
; COMPUTE_PGM_RSRC2:TGID_X_EN: 1
; COMPUTE_PGM_RSRC2:TGID_Y_EN: 0
; COMPUTE_PGM_RSRC2:TGID_Z_EN: 0
; COMPUTE_PGM_RSRC2:TIDIG_COMP_CNT: 0
; COMPUTE_PGM_RSRC3_GFX90A:ACCUM_OFFSET: 3
; COMPUTE_PGM_RSRC3_GFX90A:TG_SPLIT: 0
	.section	.text._ZN5aiter24topk_softplus_kernel_optI6__halffLi128ELb1ELi1EEEvPKT_PKT0_PfPimiif,"axG",@progbits,_ZN5aiter24topk_softplus_kernel_optI6__halffLi128ELb1ELi1EEEvPKT_PKT0_PfPimiif,comdat
	.protected	_ZN5aiter24topk_softplus_kernel_optI6__halffLi128ELb1ELi1EEEvPKT_PKT0_PfPimiif ; -- Begin function _ZN5aiter24topk_softplus_kernel_optI6__halffLi128ELb1ELi1EEEvPKT_PKT0_PfPimiif
	.globl	_ZN5aiter24topk_softplus_kernel_optI6__halffLi128ELb1ELi1EEEvPKT_PKT0_PfPimiif
	.p2align	8
	.type	_ZN5aiter24topk_softplus_kernel_optI6__halffLi128ELb1ELi1EEEvPKT_PKT0_PfPimiif,@function
_ZN5aiter24topk_softplus_kernel_optI6__halffLi128ELb1ELi1EEEvPKT_PKT0_PfPimiif: ; @_ZN5aiter24topk_softplus_kernel_optI6__halffLi128ELb1ELi1EEEvPKT_PKT0_PfPimiif
; %bb.0:
	s_load_dwordx4 s[0:3], s[4:5], 0x0
	s_lshl_b32 s8, s6, 7
	s_ashr_i32 s9, s8, 31
	s_lshl_b64 s[8:9], s[8:9], 1
	v_lshlrev_b32_e32 v2, 1, v0
	s_waitcnt lgkmcnt(0)
	s_add_u32 s10, s0, s8
	s_addc_u32 s11, s1, s9
	global_load_ushort v3, v2, s[10:11]
	s_mov_b32 s8, 0xc2fc0000
	v_mov_b32_e32 v1, 0x42800000
	s_mov_b32 s7, 0xbfb8aa3b
	v_mov_b32_e32 v5, 0x1f800000
	s_cmp_lg_u64 s[2:3], 0
	s_cselect_b64 s[0:1], -1, 0
	v_lshlrev_b32_e32 v7, 2, v0
	s_waitcnt vmcnt(0)
	v_cvt_f32_f16_e32 v4, v3
	v_mul_f32_e32 v4, 0xbfb8aa3b, v4
	v_cmp_gt_f32_e32 vcc, s8, v4
	v_cndmask_b32_e32 v4, 0, v1, vcc
	v_fma_mix_f32 v3, v3, s7, v4 op_sel_hi:[1,0,0]
	v_exp_f32_e32 v3, v3
	v_cndmask_b32_e32 v6, 1.0, v5, vcc
	v_mov_b32_e32 v4, s11
	v_add_co_u32_e32 v2, vcc, s10, v2
	v_fma_f32 v3, v3, v6, 1.0
	v_rcp_f32_e32 v6, v3
	v_addc_co_u32_e32 v3, vcc, 0, v4, vcc
	s_and_b64 vcc, exec, s[0:1]
	v_mov_b32_e32 v4, v6
	s_cbranch_vccz .LBB105_2
; %bb.1:
	global_load_dword v4, v7, s[2:3]
	s_waitcnt vmcnt(0)
	v_add_f32_e32 v4, v6, v4
.LBB105_2:
	global_load_ushort v2, v[2:3], off offset:128
	s_waitcnt vmcnt(0)
	v_cvt_f32_f16_e32 v3, v2
	v_mul_f32_e32 v3, 0xbfb8aa3b, v3
	v_cmp_gt_f32_e32 vcc, s8, v3
	v_cndmask_b32_e32 v1, 0, v1, vcc
	v_fma_mix_f32 v1, v2, s7, v1 op_sel_hi:[1,0,0]
	v_exp_f32_e32 v1, v1
	v_cndmask_b32_e32 v3, 1.0, v5, vcc
	s_andn2_b64 vcc, exec, s[0:1]
	v_fma_f32 v1, v1, v3, 1.0
	v_rcp_f32_e32 v11, v1
	v_mov_b32_e32 v5, v11
	s_cbranch_vccnz .LBB105_4
; %bb.3:
	global_load_dword v1, v7, s[2:3] offset:256
	s_waitcnt vmcnt(0)
	v_add_f32_e32 v5, v11, v1
.LBB105_4:
	s_load_dword s2, s[4:5], 0x28
	s_load_dwordx4 s[8:11], s[4:5], 0x10
	v_mov_b32_e32 v10, 0
	v_mov_b32_e32 v8, 0
	;; [unrolled: 1-line block ×3, first 2 shown]
	s_waitcnt lgkmcnt(0)
	s_cmp_gt_i32 s2, 0
	s_cbranch_scc0 .LBB105_7
; %bb.5:
	v_mbcnt_lo_u32_b32 v8, -1, 0
	v_add_u32_e32 v2, 64, v0
	v_cmp_lt_f32_e32 vcc, v4, v5
	v_mbcnt_hi_u32_b32 v8, -1, v8
	v_bfrev_b32_e32 v9, 0.5
	v_cndmask_b32_e32 v1, v2, v0, vcc
	v_cndmask_b32_e32 v2, v0, v2, vcc
	;; [unrolled: 1-line block ×6, first 2 shown]
	v_mov_b32_e32 v10, 0
	v_mov_b32_e32 v11, 0
	;; [unrolled: 1-line block ×3, first 2 shown]
	v_lshl_or_b32 v13, v8, 2, v9
	v_mov_b32_e32 v14, v0
	s_mov_b32 s3, s2
	v_mov_b32_e32 v8, 0
	v_mov_b32_e32 v9, 0
.LBB105_6:                              ; =>This Inner Loop Header: Depth=1
	v_cmp_eq_u32_e32 vcc, 1, v11
	v_cndmask_b32_e32 v15, v4, v3, vcc
	v_cmp_gt_u32_e64 s[0:1], 2, v11
	v_cndmask_b32_e64 v15, v12, v15, s[0:1]
	;;#ASMSTART
	v_max_f32 v19, v15, v15 quad_perm:[1,0,3,2] row_mask:0xf bank_mask:0xf bound_ctrl:1
	;;#ASMEND
	;;#ASMSTART
	v_max_f32 v20, v19, v19 quad_perm:[2,3,0,1] row_mask:0xf bank_mask:0xf bound_ctrl:1
	;;#ASMEND
	;;#ASMSTART
	v_max_f32 v19, v20, v20 row_half_mirror row_mask:0xf bank_mask:0xf bound_ctrl:1
	;;#ASMEND
	;;#ASMSTART
	v_max_f32 v20, v19, v19 row_mirror row_mask:0xf bank_mask:0xf bound_ctrl:1
	;;#ASMEND
	;;#ASMSTART
	v_max_f32 v19, v20, v20 row_ror:4 row_mask:0xf bank_mask:0xf bound_ctrl:1
	;;#ASMEND
	;;#ASMSTART
	v_max_f32 v20, v19, v19 row_ror:8 row_mask:0xf bank_mask:0xf bound_ctrl:1
	;;#ASMEND
	;;#ASMSTART
	v_max_f32 v19, v20, v20 row_bcast:15 row_mask:0xf bank_mask:0xf bound_ctrl:1
	;;#ASMEND
	;;#ASMSTART
	v_max_f32 v20, v19, v19 row_bcast:31 row_mask:0xf bank_mask:0xf bound_ctrl:1
	;;#ASMEND
	ds_bpermute_b32 v19, v13, v20
	v_cndmask_b32_e32 v16, v2, v1, vcc
	v_cndmask_b32_e32 v17, v6, v5, vcc
	v_cndmask_b32_e64 v18, 0, v16, s[0:1]
	s_waitcnt lgkmcnt(0)
	v_cmp_eq_f32_e32 vcc, v15, v19
	s_ff1_i32_b64 s7, vcc
	s_cmp_lg_u64 vcc, 0
	s_cselect_b32 s7, s7, 0
	v_readlane_b32 s7, v18, s7
	v_cmp_eq_u32_e32 vcc, s7, v16
	s_and_b64 vcc, s[0:1], vcc
	s_and_b32 s12, s7, 63
	v_cndmask_b32_e32 v16, 0, v17, vcc
	v_addc_co_u32_e32 v11, vcc, 0, v11, vcc
	v_readlane_b32 s0, v16, s12
	s_add_i32 s3, s3, -1
	v_mov_b32_e32 v15, s7
	v_mov_b32_e32 v16, s0
	v_cmp_eq_u32_e32 vcc, 0, v14
	s_cmp_eq_u32 s3, 0
	v_add_f32_e32 v10, s0, v10
	v_add_u32_e32 v14, -1, v14
	v_cndmask_b32_e32 v9, v9, v16, vcc
	v_cndmask_b32_e32 v8, v8, v15, vcc
	s_cbranch_scc0 .LBB105_6
.LBB105_7:
	v_cmp_gt_i32_e32 vcc, s2, v0
	s_and_saveexec_b64 s[0:1], vcc
	s_cbranch_execz .LBB105_9
; %bb.8:
	s_load_dword s2, s[4:5], 0x30
	v_max_f32_e32 v0, v10, v10
	v_max_f32_e32 v0, 0x1e3ce508, v0
	s_waitcnt lgkmcnt(0)
	v_div_scale_f32 v1, s[0:1], v0, v0, s2
	v_rcp_f32_e32 v2, v1
	v_div_scale_f32 v3, vcc, s2, v0, s2
	s_load_dwordx2 s[0:1], s[4:5], 0x20
	v_fma_f32 v4, -v1, v2, 1.0
	v_fmac_f32_e32 v2, v4, v2
	v_mul_f32_e32 v4, v3, v2
	v_fma_f32 v5, -v1, v4, v3
	v_fmac_f32_e32 v4, v5, v2
	v_fma_f32 v1, -v1, v4, v3
	v_div_fmas_f32 v1, v1, v2, v4
	v_div_fixup_f32 v0, v1, v0, s2
	s_ashr_i32 s2, s6, 31
	s_waitcnt lgkmcnt(0)
	s_mul_i32 s1, s6, s1
	s_mul_hi_u32 s3, s6, s0
	s_add_i32 s1, s3, s1
	s_mul_i32 s2, s2, s0
	s_add_i32 s1, s1, s2
	s_mul_i32 s0, s6, s0
	s_lshl_b64 s[0:1], s[0:1], 2
	s_add_u32 s2, s8, s0
	s_addc_u32 s3, s9, s1
	s_add_u32 s0, s10, s0
	v_mul_f32_e32 v0, v9, v0
	s_addc_u32 s1, s11, s1
	global_store_dword v7, v0, s[2:3]
	global_store_dword v7, v8, s[0:1]
.LBB105_9:
	s_endpgm
	.section	.rodata,"a",@progbits
	.p2align	6, 0x0
	.amdhsa_kernel _ZN5aiter24topk_softplus_kernel_optI6__halffLi128ELb1ELi1EEEvPKT_PKT0_PfPimiif
		.amdhsa_group_segment_fixed_size 0
		.amdhsa_private_segment_fixed_size 0
		.amdhsa_kernarg_size 52
		.amdhsa_user_sgpr_count 6
		.amdhsa_user_sgpr_private_segment_buffer 1
		.amdhsa_user_sgpr_dispatch_ptr 0
		.amdhsa_user_sgpr_queue_ptr 0
		.amdhsa_user_sgpr_kernarg_segment_ptr 1
		.amdhsa_user_sgpr_dispatch_id 0
		.amdhsa_user_sgpr_flat_scratch_init 0
		.amdhsa_user_sgpr_kernarg_preload_length 0
		.amdhsa_user_sgpr_kernarg_preload_offset 0
		.amdhsa_user_sgpr_private_segment_size 0
		.amdhsa_uses_dynamic_stack 0
		.amdhsa_system_sgpr_private_segment_wavefront_offset 0
		.amdhsa_system_sgpr_workgroup_id_x 1
		.amdhsa_system_sgpr_workgroup_id_y 0
		.amdhsa_system_sgpr_workgroup_id_z 0
		.amdhsa_system_sgpr_workgroup_info 0
		.amdhsa_system_vgpr_workitem_id 0
		.amdhsa_next_free_vgpr 21
		.amdhsa_next_free_sgpr 13
		.amdhsa_accum_offset 24
		.amdhsa_reserve_vcc 1
		.amdhsa_reserve_flat_scratch 0
		.amdhsa_float_round_mode_32 0
		.amdhsa_float_round_mode_16_64 0
		.amdhsa_float_denorm_mode_32 3
		.amdhsa_float_denorm_mode_16_64 3
		.amdhsa_dx10_clamp 1
		.amdhsa_ieee_mode 1
		.amdhsa_fp16_overflow 0
		.amdhsa_tg_split 0
		.amdhsa_exception_fp_ieee_invalid_op 0
		.amdhsa_exception_fp_denorm_src 0
		.amdhsa_exception_fp_ieee_div_zero 0
		.amdhsa_exception_fp_ieee_overflow 0
		.amdhsa_exception_fp_ieee_underflow 0
		.amdhsa_exception_fp_ieee_inexact 0
		.amdhsa_exception_int_div_zero 0
	.end_amdhsa_kernel
	.section	.text._ZN5aiter24topk_softplus_kernel_optI6__halffLi128ELb1ELi1EEEvPKT_PKT0_PfPimiif,"axG",@progbits,_ZN5aiter24topk_softplus_kernel_optI6__halffLi128ELb1ELi1EEEvPKT_PKT0_PfPimiif,comdat
.Lfunc_end105:
	.size	_ZN5aiter24topk_softplus_kernel_optI6__halffLi128ELb1ELi1EEEvPKT_PKT0_PfPimiif, .Lfunc_end105-_ZN5aiter24topk_softplus_kernel_optI6__halffLi128ELb1ELi1EEEvPKT_PKT0_PfPimiif
                                        ; -- End function
	.section	.AMDGPU.csdata,"",@progbits
; Kernel info:
; codeLenInByte = 800
; NumSgprs: 17
; NumVgprs: 21
; NumAgprs: 0
; TotalNumVgprs: 21
; ScratchSize: 0
; MemoryBound: 0
; FloatMode: 240
; IeeeMode: 1
; LDSByteSize: 0 bytes/workgroup (compile time only)
; SGPRBlocks: 2
; VGPRBlocks: 2
; NumSGPRsForWavesPerEU: 17
; NumVGPRsForWavesPerEU: 21
; AccumOffset: 24
; Occupancy: 8
; WaveLimiterHint : 0
; COMPUTE_PGM_RSRC2:SCRATCH_EN: 0
; COMPUTE_PGM_RSRC2:USER_SGPR: 6
; COMPUTE_PGM_RSRC2:TRAP_HANDLER: 0
; COMPUTE_PGM_RSRC2:TGID_X_EN: 1
; COMPUTE_PGM_RSRC2:TGID_Y_EN: 0
; COMPUTE_PGM_RSRC2:TGID_Z_EN: 0
; COMPUTE_PGM_RSRC2:TIDIG_COMP_CNT: 0
; COMPUTE_PGM_RSRC3_GFX90A:ACCUM_OFFSET: 5
; COMPUTE_PGM_RSRC3_GFX90A:TG_SPLIT: 0
	.section	.text._ZN5aiter24topk_softplus_kernel_optI6__halffLi128ELb0ELi1EEEvPKT_PKT0_PfPimiif,"axG",@progbits,_ZN5aiter24topk_softplus_kernel_optI6__halffLi128ELb0ELi1EEEvPKT_PKT0_PfPimiif,comdat
	.protected	_ZN5aiter24topk_softplus_kernel_optI6__halffLi128ELb0ELi1EEEvPKT_PKT0_PfPimiif ; -- Begin function _ZN5aiter24topk_softplus_kernel_optI6__halffLi128ELb0ELi1EEEvPKT_PKT0_PfPimiif
	.globl	_ZN5aiter24topk_softplus_kernel_optI6__halffLi128ELb0ELi1EEEvPKT_PKT0_PfPimiif
	.p2align	8
	.type	_ZN5aiter24topk_softplus_kernel_optI6__halffLi128ELb0ELi1EEEvPKT_PKT0_PfPimiif,@function
_ZN5aiter24topk_softplus_kernel_optI6__halffLi128ELb0ELi1EEEvPKT_PKT0_PfPimiif: ; @_ZN5aiter24topk_softplus_kernel_optI6__halffLi128ELb0ELi1EEEvPKT_PKT0_PfPimiif
; %bb.0:
	s_load_dwordx4 s[0:3], s[4:5], 0x0
	s_lshl_b32 s8, s6, 7
	s_ashr_i32 s9, s8, 31
	s_lshl_b64 s[8:9], s[8:9], 1
	v_lshlrev_b32_e32 v2, 1, v0
	s_waitcnt lgkmcnt(0)
	s_add_u32 s10, s0, s8
	s_addc_u32 s11, s1, s9
	global_load_ushort v3, v2, s[10:11]
	s_mov_b32 s8, 0xc2fc0000
	v_mov_b32_e32 v1, 0x42800000
	s_mov_b32 s7, 0xbfb8aa3b
	v_mov_b32_e32 v5, 0x1f800000
	s_cmp_lg_u64 s[2:3], 0
	s_cselect_b64 s[0:1], -1, 0
	v_lshlrev_b32_e32 v7, 2, v0
	s_waitcnt vmcnt(0)
	v_cvt_f32_f16_e32 v4, v3
	v_mul_f32_e32 v4, 0xbfb8aa3b, v4
	v_cmp_gt_f32_e32 vcc, s8, v4
	v_cndmask_b32_e32 v4, 0, v1, vcc
	v_fma_mix_f32 v3, v3, s7, v4 op_sel_hi:[1,0,0]
	v_exp_f32_e32 v3, v3
	v_cndmask_b32_e32 v6, 1.0, v5, vcc
	v_mov_b32_e32 v4, s11
	v_add_co_u32_e32 v2, vcc, s10, v2
	v_fma_f32 v3, v3, v6, 1.0
	v_rcp_f32_e32 v6, v3
	v_addc_co_u32_e32 v3, vcc, 0, v4, vcc
	s_and_b64 vcc, exec, s[0:1]
	v_mov_b32_e32 v4, v6
	s_cbranch_vccz .LBB106_2
; %bb.1:
	global_load_dword v4, v7, s[2:3]
	s_waitcnt vmcnt(0)
	v_add_f32_e32 v4, v6, v4
.LBB106_2:
	global_load_ushort v2, v[2:3], off offset:128
	s_waitcnt vmcnt(0)
	v_cvt_f32_f16_e32 v3, v2
	v_mul_f32_e32 v3, 0xbfb8aa3b, v3
	v_cmp_gt_f32_e32 vcc, s8, v3
	v_cndmask_b32_e32 v1, 0, v1, vcc
	v_fma_mix_f32 v1, v2, s7, v1 op_sel_hi:[1,0,0]
	v_exp_f32_e32 v1, v1
	v_cndmask_b32_e32 v3, 1.0, v5, vcc
	s_andn2_b64 vcc, exec, s[0:1]
	v_fma_f32 v1, v1, v3, 1.0
	v_rcp_f32_e32 v9, v1
	v_mov_b32_e32 v5, v9
	s_cbranch_vccnz .LBB106_4
; %bb.3:
	global_load_dword v1, v7, s[2:3] offset:256
	s_waitcnt vmcnt(0)
	v_add_f32_e32 v5, v9, v1
.LBB106_4:
	s_load_dword s2, s[4:5], 0x28
	s_load_dwordx4 s[8:11], s[4:5], 0x10
	v_mov_b32_e32 v8, 0
	s_waitcnt lgkmcnt(0)
	s_cmp_gt_i32 s2, 0
	s_cbranch_scc0 .LBB106_10
; %bb.5:
	v_mbcnt_lo_u32_b32 v8, -1, 0
	v_add_u32_e32 v2, 64, v0
	v_cmp_lt_f32_e32 vcc, v4, v5
	v_mbcnt_hi_u32_b32 v8, -1, v8
	v_bfrev_b32_e32 v12, 0.5
	v_cndmask_b32_e32 v1, v2, v0, vcc
	v_cndmask_b32_e32 v2, v0, v2, vcc
	;; [unrolled: 1-line block ×6, first 2 shown]
	v_mov_b32_e32 v10, 0
	v_mov_b32_e32 v9, 0
	;; [unrolled: 1-line block ×3, first 2 shown]
	v_lshl_or_b32 v12, v8, 2, v12
	v_mov_b32_e32 v13, v0
	s_mov_b32 s3, s2
	v_mov_b32_e32 v8, 0
.LBB106_6:                              ; =>This Inner Loop Header: Depth=1
	v_cmp_eq_u32_e32 vcc, 1, v10
	v_cndmask_b32_e32 v14, v4, v3, vcc
	v_cmp_gt_u32_e64 s[0:1], 2, v10
	v_cndmask_b32_e64 v14, v11, v14, s[0:1]
	;;#ASMSTART
	v_max_f32 v18, v14, v14 quad_perm:[1,0,3,2] row_mask:0xf bank_mask:0xf bound_ctrl:1
	;;#ASMEND
	;;#ASMSTART
	v_max_f32 v19, v18, v18 quad_perm:[2,3,0,1] row_mask:0xf bank_mask:0xf bound_ctrl:1
	;;#ASMEND
	;;#ASMSTART
	v_max_f32 v18, v19, v19 row_half_mirror row_mask:0xf bank_mask:0xf bound_ctrl:1
	;;#ASMEND
	;;#ASMSTART
	v_max_f32 v19, v18, v18 row_mirror row_mask:0xf bank_mask:0xf bound_ctrl:1
	;;#ASMEND
	;;#ASMSTART
	v_max_f32 v18, v19, v19 row_ror:4 row_mask:0xf bank_mask:0xf bound_ctrl:1
	;;#ASMEND
	;;#ASMSTART
	v_max_f32 v19, v18, v18 row_ror:8 row_mask:0xf bank_mask:0xf bound_ctrl:1
	;;#ASMEND
	;;#ASMSTART
	v_max_f32 v18, v19, v19 row_bcast:15 row_mask:0xf bank_mask:0xf bound_ctrl:1
	;;#ASMEND
	;;#ASMSTART
	v_max_f32 v19, v18, v18 row_bcast:31 row_mask:0xf bank_mask:0xf bound_ctrl:1
	;;#ASMEND
	ds_bpermute_b32 v18, v12, v19
	v_cndmask_b32_e32 v15, v2, v1, vcc
	v_cndmask_b32_e32 v16, v6, v5, vcc
	v_cndmask_b32_e64 v17, 0, v15, s[0:1]
	s_waitcnt lgkmcnt(0)
	v_cmp_eq_f32_e32 vcc, v14, v18
	s_ff1_i32_b64 s7, vcc
	s_cmp_lg_u64 vcc, 0
	s_cselect_b32 s7, s7, 0
	v_readlane_b32 s7, v17, s7
	v_cmp_eq_u32_e32 vcc, s7, v15
	s_and_b64 vcc, s[0:1], vcc
	s_and_b32 s12, s7, 63
	v_cndmask_b32_e32 v15, 0, v16, vcc
	v_addc_co_u32_e32 v10, vcc, 0, v10, vcc
	v_readlane_b32 s0, v15, s12
	s_add_i32 s3, s3, -1
	v_mov_b32_e32 v14, s7
	v_mov_b32_e32 v15, s0
	v_cmp_eq_u32_e32 vcc, 0, v13
	s_cmp_eq_u32 s3, 0
	v_add_u32_e32 v13, -1, v13
	v_cndmask_b32_e32 v9, v9, v15, vcc
	v_cndmask_b32_e32 v8, v8, v14, vcc
	s_cbranch_scc0 .LBB106_6
; %bb.7:
	v_cmp_gt_i32_e32 vcc, s2, v0
	s_and_saveexec_b64 s[0:1], vcc
	s_cbranch_execz .LBB106_9
.LBB106_8:
	s_load_dword s2, s[4:5], 0x30
	s_load_dwordx2 s[0:1], s[4:5], 0x20
	s_ashr_i32 s3, s6, 31
	s_waitcnt lgkmcnt(0)
	v_mul_f32_e32 v0, s2, v9
	s_mul_i32 s1, s6, s1
	s_mul_hi_u32 s2, s6, s0
	s_add_i32 s1, s2, s1
	s_mul_i32 s3, s3, s0
	s_add_i32 s1, s1, s3
	s_mul_i32 s0, s6, s0
	s_lshl_b64 s[0:1], s[0:1], 2
	s_add_u32 s2, s8, s0
	s_addc_u32 s3, s9, s1
	s_add_u32 s0, s10, s0
	s_addc_u32 s1, s11, s1
	global_store_dword v7, v0, s[2:3]
	global_store_dword v7, v8, s[0:1]
.LBB106_9:
	s_endpgm
.LBB106_10:
	v_mov_b32_e32 v9, 0
	v_cmp_gt_i32_e32 vcc, s2, v0
	s_and_saveexec_b64 s[0:1], vcc
	s_cbranch_execnz .LBB106_8
	s_branch .LBB106_9
	.section	.rodata,"a",@progbits
	.p2align	6, 0x0
	.amdhsa_kernel _ZN5aiter24topk_softplus_kernel_optI6__halffLi128ELb0ELi1EEEvPKT_PKT0_PfPimiif
		.amdhsa_group_segment_fixed_size 0
		.amdhsa_private_segment_fixed_size 0
		.amdhsa_kernarg_size 52
		.amdhsa_user_sgpr_count 6
		.amdhsa_user_sgpr_private_segment_buffer 1
		.amdhsa_user_sgpr_dispatch_ptr 0
		.amdhsa_user_sgpr_queue_ptr 0
		.amdhsa_user_sgpr_kernarg_segment_ptr 1
		.amdhsa_user_sgpr_dispatch_id 0
		.amdhsa_user_sgpr_flat_scratch_init 0
		.amdhsa_user_sgpr_kernarg_preload_length 0
		.amdhsa_user_sgpr_kernarg_preload_offset 0
		.amdhsa_user_sgpr_private_segment_size 0
		.amdhsa_uses_dynamic_stack 0
		.amdhsa_system_sgpr_private_segment_wavefront_offset 0
		.amdhsa_system_sgpr_workgroup_id_x 1
		.amdhsa_system_sgpr_workgroup_id_y 0
		.amdhsa_system_sgpr_workgroup_id_z 0
		.amdhsa_system_sgpr_workgroup_info 0
		.amdhsa_system_vgpr_workitem_id 0
		.amdhsa_next_free_vgpr 20
		.amdhsa_next_free_sgpr 13
		.amdhsa_accum_offset 20
		.amdhsa_reserve_vcc 1
		.amdhsa_reserve_flat_scratch 0
		.amdhsa_float_round_mode_32 0
		.amdhsa_float_round_mode_16_64 0
		.amdhsa_float_denorm_mode_32 3
		.amdhsa_float_denorm_mode_16_64 3
		.amdhsa_dx10_clamp 1
		.amdhsa_ieee_mode 1
		.amdhsa_fp16_overflow 0
		.amdhsa_tg_split 0
		.amdhsa_exception_fp_ieee_invalid_op 0
		.amdhsa_exception_fp_denorm_src 0
		.amdhsa_exception_fp_ieee_div_zero 0
		.amdhsa_exception_fp_ieee_overflow 0
		.amdhsa_exception_fp_ieee_underflow 0
		.amdhsa_exception_fp_ieee_inexact 0
		.amdhsa_exception_int_div_zero 0
	.end_amdhsa_kernel
	.section	.text._ZN5aiter24topk_softplus_kernel_optI6__halffLi128ELb0ELi1EEEvPKT_PKT0_PfPimiif,"axG",@progbits,_ZN5aiter24topk_softplus_kernel_optI6__halffLi128ELb0ELi1EEEvPKT_PKT0_PfPimiif,comdat
.Lfunc_end106:
	.size	_ZN5aiter24topk_softplus_kernel_optI6__halffLi128ELb0ELi1EEEvPKT_PKT0_PfPimiif, .Lfunc_end106-_ZN5aiter24topk_softplus_kernel_optI6__halffLi128ELb0ELi1EEEvPKT_PKT0_PfPimiif
                                        ; -- End function
	.section	.AMDGPU.csdata,"",@progbits
; Kernel info:
; codeLenInByte = 716
; NumSgprs: 17
; NumVgprs: 20
; NumAgprs: 0
; TotalNumVgprs: 20
; ScratchSize: 0
; MemoryBound: 0
; FloatMode: 240
; IeeeMode: 1
; LDSByteSize: 0 bytes/workgroup (compile time only)
; SGPRBlocks: 2
; VGPRBlocks: 2
; NumSGPRsForWavesPerEU: 17
; NumVGPRsForWavesPerEU: 20
; AccumOffset: 20
; Occupancy: 8
; WaveLimiterHint : 0
; COMPUTE_PGM_RSRC2:SCRATCH_EN: 0
; COMPUTE_PGM_RSRC2:USER_SGPR: 6
; COMPUTE_PGM_RSRC2:TRAP_HANDLER: 0
; COMPUTE_PGM_RSRC2:TGID_X_EN: 1
; COMPUTE_PGM_RSRC2:TGID_Y_EN: 0
; COMPUTE_PGM_RSRC2:TGID_Z_EN: 0
; COMPUTE_PGM_RSRC2:TIDIG_COMP_CNT: 0
; COMPUTE_PGM_RSRC3_GFX90A:ACCUM_OFFSET: 4
; COMPUTE_PGM_RSRC3_GFX90A:TG_SPLIT: 0
	.section	.text._ZN5aiter24topk_softplus_kernel_optI6__halffLi256ELb1ELi1EEEvPKT_PKT0_PfPimiif,"axG",@progbits,_ZN5aiter24topk_softplus_kernel_optI6__halffLi256ELb1ELi1EEEvPKT_PKT0_PfPimiif,comdat
	.protected	_ZN5aiter24topk_softplus_kernel_optI6__halffLi256ELb1ELi1EEEvPKT_PKT0_PfPimiif ; -- Begin function _ZN5aiter24topk_softplus_kernel_optI6__halffLi256ELb1ELi1EEEvPKT_PKT0_PfPimiif
	.globl	_ZN5aiter24topk_softplus_kernel_optI6__halffLi256ELb1ELi1EEEvPKT_PKT0_PfPimiif
	.p2align	8
	.type	_ZN5aiter24topk_softplus_kernel_optI6__halffLi256ELb1ELi1EEEvPKT_PKT0_PfPimiif,@function
_ZN5aiter24topk_softplus_kernel_optI6__halffLi256ELb1ELi1EEEvPKT_PKT0_PfPimiif: ; @_ZN5aiter24topk_softplus_kernel_optI6__halffLi256ELb1ELi1EEEvPKT_PKT0_PfPimiif
; %bb.0:
	s_load_dwordx4 s[0:3], s[4:5], 0x0
	s_lshl_b32 s8, s6, 8
	s_ashr_i32 s9, s8, 31
	s_lshl_b64 s[8:9], s[8:9], 1
	v_lshlrev_b32_e32 v4, 1, v0
	s_waitcnt lgkmcnt(0)
	s_add_u32 s10, s0, s8
	s_addc_u32 s11, s1, s9
	global_load_ushort v2, v4, s[10:11]
	s_mov_b32 s1, 0xc2fc0000
	v_mov_b32_e32 v1, 0x42800000
	s_mov_b32 s0, 0xbfb8aa3b
	v_mov_b32_e32 v3, 0x1f800000
	s_cmp_lg_u64 s[2:3], 0
	s_cselect_b64 s[8:9], -1, 0
	v_lshlrev_b32_e32 v13, 2, v0
	s_waitcnt vmcnt(0)
	v_cvt_f32_f16_e32 v5, v2
	v_mul_f32_e32 v5, 0xbfb8aa3b, v5
	v_cmp_gt_f32_e32 vcc, s1, v5
	v_cndmask_b32_e32 v5, 0, v1, vcc
	v_fma_mix_f32 v2, v2, s0, v5 op_sel_hi:[1,0,0]
	v_exp_f32_e32 v2, v2
	v_cndmask_b32_e32 v6, 1.0, v3, vcc
	v_mov_b32_e32 v5, s11
	v_add_co_u32_e32 v4, vcc, s10, v4
	v_fma_f32 v2, v2, v6, 1.0
	v_rcp_f32_e32 v2, v2
	v_addc_co_u32_e32 v5, vcc, 0, v5, vcc
	s_and_b64 vcc, exec, s[8:9]
	v_mov_b32_e32 v10, v2
	s_cbranch_vccz .LBB107_2
; %bb.1:
	global_load_dword v6, v13, s[2:3]
	s_waitcnt vmcnt(0)
	v_add_f32_e32 v10, v2, v6
.LBB107_2:
	global_load_ushort v6, v[4:5], off offset:128
	s_waitcnt vmcnt(0)
	v_cvt_f32_f16_e32 v7, v6
	v_mul_f32_e32 v7, 0xbfb8aa3b, v7
	v_cmp_gt_f32_e32 vcc, s1, v7
	v_cndmask_b32_e32 v1, 0, v1, vcc
	v_fma_mix_f32 v1, v6, s0, v1 op_sel_hi:[1,0,0]
	v_exp_f32_e32 v1, v1
	v_cndmask_b32_e32 v3, 1.0, v3, vcc
	s_andn2_b64 vcc, exec, s[8:9]
	v_fma_f32 v1, v1, v3, 1.0
	v_rcp_f32_e32 v1, v1
	v_cndmask_b32_e64 v3, 0, 1, s[8:9]
	v_cmp_ne_u32_e64 s[0:1], 1, v3
	v_mov_b32_e32 v14, v1
	s_cbranch_vccnz .LBB107_4
; %bb.3:
	global_load_dword v3, v13, s[2:3] offset:256
	s_waitcnt vmcnt(0)
	v_add_f32_e32 v14, v1, v3
.LBB107_4:
	global_load_ushort v6, v[4:5], off offset:256
	s_mov_b32 s8, 0xc2fc0000
	s_mov_b32 s7, 0xbfb8aa3b
	v_mov_b32_e32 v3, 0x1f800000
	s_waitcnt vmcnt(0)
	v_cvt_f32_f16_e32 v7, v6
	v_mul_f32_e32 v7, 0xbfb8aa3b, v7
	v_cmp_gt_f32_e32 vcc, s8, v7
	v_mov_b32_e32 v7, 0x42800000
	v_cndmask_b32_e32 v9, 0, v7, vcc
	v_fma_mix_f32 v6, v6, s7, v9 op_sel_hi:[1,0,0]
	v_exp_f32_e32 v6, v6
	v_cndmask_b32_e32 v8, 1.0, v3, vcc
	s_and_b64 vcc, exec, s[0:1]
	v_fma_f32 v6, v6, v8, 1.0
	v_rcp_f32_e32 v8, v6
	v_mov_b32_e32 v6, v8
	s_cbranch_vccnz .LBB107_6
; %bb.5:
	global_load_dword v6, v13, s[2:3] offset:512
	s_waitcnt vmcnt(0)
	v_add_f32_e32 v6, v8, v6
.LBB107_6:
	global_load_ushort v4, v[4:5], off offset:384
	s_waitcnt vmcnt(0)
	v_cvt_f32_f16_e32 v5, v4
	v_mul_f32_e32 v5, 0xbfb8aa3b, v5
	v_cmp_gt_f32_e32 vcc, s8, v5
	v_cndmask_b32_e32 v5, 0, v7, vcc
	v_fma_mix_f32 v4, v4, s7, v5 op_sel_hi:[1,0,0]
	v_exp_f32_e32 v4, v4
	v_cndmask_b32_e32 v3, 1.0, v3, vcc
	s_and_b64 vcc, exec, s[0:1]
	v_fma_f32 v3, v4, v3, 1.0
	v_rcp_f32_e32 v3, v3
	v_mov_b32_e32 v5, v3
	s_cbranch_vccnz .LBB107_8
; %bb.7:
	global_load_dword v4, v13, s[2:3] offset:768
	s_waitcnt vmcnt(0)
	v_add_f32_e32 v5, v3, v4
.LBB107_8:
	v_add_u32_e32 v4, 64, v0
	v_cmp_lt_f32_e32 vcc, v10, v14
	v_add_u32_e32 v12, 0x80, v0
	v_add_u32_e32 v7, 0xc0, v0
	v_cndmask_b32_e32 v11, v1, v2, vcc
	v_cndmask_b32_e32 v2, v2, v1, vcc
	v_cndmask_b32_e32 v1, v4, v0, vcc
	v_cndmask_b32_e32 v4, v0, v4, vcc
	v_cndmask_b32_e32 v9, v14, v10, vcc
	v_cndmask_b32_e32 v15, v10, v14, vcc
	v_cmp_lt_f32_e32 vcc, v6, v5
	v_mov_b32_e32 v16, v6
	s_and_saveexec_b64 s[0:1], vcc
	s_xor_b64 s[0:1], exec, s[0:1]
; %bb.9:
	v_mov_b32_e32 v17, v6
	v_mov_b32_e32 v10, v8
	;; [unrolled: 1-line block ×4, first 2 shown]
	v_swap_b32 v8, v3
	v_swap_b32 v12, v7
	v_mov_b32_e32 v16, v5
	v_mov_b32_e32 v5, v17
; %bb.10:
	s_or_b64 exec, exec, s[0:1]
	v_cmp_lt_f32_e32 vcc, v15, v6
	v_cndmask_b32_e32 v14, v8, v2, vcc
	v_cndmask_b32_e32 v2, v2, v8, vcc
	;; [unrolled: 1-line block ×6, first 2 shown]
	v_cmp_lt_f32_e32 vcc, v9, v5
	v_mov_b32_e32 v15, v9
	s_and_saveexec_b64 s[0:1], vcc
; %bb.11:
	v_mov_b32_e32 v15, v1
	v_mov_b32_e32 v16, v9
	;; [unrolled: 1-line block ×4, first 2 shown]
	v_swap_b32 v11, v3
	v_swap_b32 v1, v7
	v_mov_b32_e32 v15, v5
	v_mov_b32_e32 v5, v16
; %bb.12:
	s_or_b64 exec, exec, s[0:1]
	s_load_dword s2, s[4:5], 0x28
	s_load_dwordx4 s[8:11], s[4:5], 0x10
	v_mov_b32_e32 v16, 0
	s_waitcnt lgkmcnt(0)
	s_cmp_lt_i32 s2, 1
	s_cbranch_scc1 .LBB107_18
; %bb.13:
	v_cmp_lt_f32_e32 vcc, v9, v12
	v_cndmask_b32_e32 v8, v10, v1, vcc
	v_cndmask_b32_e32 v1, v1, v10, vcc
	;; [unrolled: 1-line block ×6, first 2 shown]
	v_mbcnt_lo_u32_b32 v14, -1, 0
	v_mbcnt_hi_u32_b32 v14, -1, v14
	v_bfrev_b32_e32 v15, 0.5
	v_mov_b32_e32 v16, 0
	v_mov_b32_e32 v17, 0
	;; [unrolled: 1-line block ×3, first 2 shown]
	v_lshl_or_b32 v19, v14, 2, v15
	v_mov_b32_e32 v20, v0
	s_mov_b32 s3, s2
	v_mov_b32_e32 v14, 0
	v_mov_b32_e32 v15, 0
.LBB107_14:                             ; =>This Inner Loop Header: Depth=1
	v_cmp_eq_u32_e32 vcc, 1, v17
	v_cndmask_b32_e32 v21, v6, v9, vcc
	v_cmp_eq_u32_e64 s[0:1], 2, v17
	v_cndmask_b32_e64 v21, v21, v10, s[0:1]
	v_cndmask_b32_e32 v22, v4, v1, vcc
	v_cndmask_b32_e32 v23, v2, v11, vcc
	v_cmp_eq_u32_e32 vcc, 3, v17
	v_cndmask_b32_e32 v21, v21, v5, vcc
	v_cndmask_b32_e64 v22, v22, v8, s[0:1]
	v_cndmask_b32_e64 v23, v23, v12, s[0:1]
	v_cmp_gt_u32_e64 s[0:1], 4, v17
	v_cndmask_b32_e64 v21, v18, v21, s[0:1]
	;;#ASMSTART
	v_max_f32 v25, v21, v21 quad_perm:[1,0,3,2] row_mask:0xf bank_mask:0xf bound_ctrl:1
	;;#ASMEND
	;;#ASMSTART
	v_max_f32 v26, v25, v25 quad_perm:[2,3,0,1] row_mask:0xf bank_mask:0xf bound_ctrl:1
	;;#ASMEND
	;;#ASMSTART
	v_max_f32 v25, v26, v26 row_half_mirror row_mask:0xf bank_mask:0xf bound_ctrl:1
	;;#ASMEND
	;;#ASMSTART
	v_max_f32 v26, v25, v25 row_mirror row_mask:0xf bank_mask:0xf bound_ctrl:1
	;;#ASMEND
	;;#ASMSTART
	v_max_f32 v25, v26, v26 row_ror:4 row_mask:0xf bank_mask:0xf bound_ctrl:1
	;;#ASMEND
	;;#ASMSTART
	v_max_f32 v26, v25, v25 row_ror:8 row_mask:0xf bank_mask:0xf bound_ctrl:1
	;;#ASMEND
	;;#ASMSTART
	v_max_f32 v25, v26, v26 row_bcast:15 row_mask:0xf bank_mask:0xf bound_ctrl:1
	;;#ASMEND
	;;#ASMSTART
	v_max_f32 v26, v25, v25 row_bcast:31 row_mask:0xf bank_mask:0xf bound_ctrl:1
	;;#ASMEND
	ds_bpermute_b32 v25, v19, v26
	v_cndmask_b32_e32 v22, v22, v7, vcc
	v_cndmask_b32_e32 v23, v23, v3, vcc
	v_cndmask_b32_e64 v24, 0, v22, s[0:1]
	s_waitcnt lgkmcnt(0)
	v_cmp_eq_f32_e32 vcc, v21, v25
	s_ff1_i32_b64 s7, vcc
	s_cmp_lg_u64 vcc, 0
	s_cselect_b32 s7, s7, 0
	v_readlane_b32 s7, v24, s7
	v_cmp_eq_u32_e32 vcc, s7, v22
	s_and_b64 vcc, s[0:1], vcc
	s_and_b32 s12, s7, 63
	v_cndmask_b32_e32 v22, 0, v23, vcc
	v_addc_co_u32_e32 v17, vcc, 0, v17, vcc
	v_readlane_b32 s0, v22, s12
	s_add_i32 s3, s3, -1
	v_mov_b32_e32 v21, s7
	v_mov_b32_e32 v22, s0
	v_cmp_eq_u32_e32 vcc, 0, v20
	s_cmp_eq_u32 s3, 0
	v_add_f32_e32 v16, s0, v16
	v_add_u32_e32 v20, -1, v20
	v_cndmask_b32_e32 v15, v15, v22, vcc
	v_cndmask_b32_e32 v14, v14, v21, vcc
	s_cbranch_scc0 .LBB107_14
; %bb.15:
	v_cmp_gt_i32_e32 vcc, s2, v0
	s_and_saveexec_b64 s[0:1], vcc
	s_cbranch_execz .LBB107_17
.LBB107_16:
	s_load_dword s2, s[4:5], 0x30
	v_max_f32_e32 v0, v16, v16
	v_max_f32_e32 v0, 0x1e3ce508, v0
	s_waitcnt lgkmcnt(0)
	v_div_scale_f32 v1, s[0:1], v0, v0, s2
	v_rcp_f32_e32 v2, v1
	v_div_scale_f32 v3, vcc, s2, v0, s2
	s_load_dwordx2 s[0:1], s[4:5], 0x20
	v_fma_f32 v4, -v1, v2, 1.0
	v_fmac_f32_e32 v2, v4, v2
	v_mul_f32_e32 v4, v3, v2
	v_fma_f32 v5, -v1, v4, v3
	v_fmac_f32_e32 v4, v5, v2
	v_fma_f32 v1, -v1, v4, v3
	v_div_fmas_f32 v1, v1, v2, v4
	v_div_fixup_f32 v0, v1, v0, s2
	s_ashr_i32 s2, s6, 31
	s_waitcnt lgkmcnt(0)
	s_mul_i32 s1, s6, s1
	s_mul_hi_u32 s3, s6, s0
	s_add_i32 s1, s3, s1
	s_mul_i32 s2, s2, s0
	s_add_i32 s1, s1, s2
	s_mul_i32 s0, s6, s0
	s_lshl_b64 s[0:1], s[0:1], 2
	s_add_u32 s2, s8, s0
	s_addc_u32 s3, s9, s1
	s_add_u32 s0, s10, s0
	v_mul_f32_e32 v0, v15, v0
	s_addc_u32 s1, s11, s1
	global_store_dword v13, v0, s[2:3]
	global_store_dword v13, v14, s[0:1]
.LBB107_17:
	s_endpgm
.LBB107_18:
	v_mov_b32_e32 v14, 0
	v_mov_b32_e32 v15, 0
	v_cmp_gt_i32_e32 vcc, s2, v0
	s_and_saveexec_b64 s[0:1], vcc
	s_cbranch_execnz .LBB107_16
	s_branch .LBB107_17
	.section	.rodata,"a",@progbits
	.p2align	6, 0x0
	.amdhsa_kernel _ZN5aiter24topk_softplus_kernel_optI6__halffLi256ELb1ELi1EEEvPKT_PKT0_PfPimiif
		.amdhsa_group_segment_fixed_size 0
		.amdhsa_private_segment_fixed_size 0
		.amdhsa_kernarg_size 52
		.amdhsa_user_sgpr_count 6
		.amdhsa_user_sgpr_private_segment_buffer 1
		.amdhsa_user_sgpr_dispatch_ptr 0
		.amdhsa_user_sgpr_queue_ptr 0
		.amdhsa_user_sgpr_kernarg_segment_ptr 1
		.amdhsa_user_sgpr_dispatch_id 0
		.amdhsa_user_sgpr_flat_scratch_init 0
		.amdhsa_user_sgpr_kernarg_preload_length 0
		.amdhsa_user_sgpr_kernarg_preload_offset 0
		.amdhsa_user_sgpr_private_segment_size 0
		.amdhsa_uses_dynamic_stack 0
		.amdhsa_system_sgpr_private_segment_wavefront_offset 0
		.amdhsa_system_sgpr_workgroup_id_x 1
		.amdhsa_system_sgpr_workgroup_id_y 0
		.amdhsa_system_sgpr_workgroup_id_z 0
		.amdhsa_system_sgpr_workgroup_info 0
		.amdhsa_system_vgpr_workitem_id 0
		.amdhsa_next_free_vgpr 27
		.amdhsa_next_free_sgpr 13
		.amdhsa_accum_offset 28
		.amdhsa_reserve_vcc 1
		.amdhsa_reserve_flat_scratch 0
		.amdhsa_float_round_mode_32 0
		.amdhsa_float_round_mode_16_64 0
		.amdhsa_float_denorm_mode_32 3
		.amdhsa_float_denorm_mode_16_64 3
		.amdhsa_dx10_clamp 1
		.amdhsa_ieee_mode 1
		.amdhsa_fp16_overflow 0
		.amdhsa_tg_split 0
		.amdhsa_exception_fp_ieee_invalid_op 0
		.amdhsa_exception_fp_denorm_src 0
		.amdhsa_exception_fp_ieee_div_zero 0
		.amdhsa_exception_fp_ieee_overflow 0
		.amdhsa_exception_fp_ieee_underflow 0
		.amdhsa_exception_fp_ieee_inexact 0
		.amdhsa_exception_int_div_zero 0
	.end_amdhsa_kernel
	.section	.text._ZN5aiter24topk_softplus_kernel_optI6__halffLi256ELb1ELi1EEEvPKT_PKT0_PfPimiif,"axG",@progbits,_ZN5aiter24topk_softplus_kernel_optI6__halffLi256ELb1ELi1EEEvPKT_PKT0_PfPimiif,comdat
.Lfunc_end107:
	.size	_ZN5aiter24topk_softplus_kernel_optI6__halffLi256ELb1ELi1EEEvPKT_PKT0_PfPimiif, .Lfunc_end107-_ZN5aiter24topk_softplus_kernel_optI6__halffLi256ELb1ELi1EEEvPKT_PKT0_PfPimiif
                                        ; -- End function
	.section	.AMDGPU.csdata,"",@progbits
; Kernel info:
; codeLenInByte = 1260
; NumSgprs: 17
; NumVgprs: 27
; NumAgprs: 0
; TotalNumVgprs: 27
; ScratchSize: 0
; MemoryBound: 0
; FloatMode: 240
; IeeeMode: 1
; LDSByteSize: 0 bytes/workgroup (compile time only)
; SGPRBlocks: 2
; VGPRBlocks: 3
; NumSGPRsForWavesPerEU: 17
; NumVGPRsForWavesPerEU: 27
; AccumOffset: 28
; Occupancy: 8
; WaveLimiterHint : 0
; COMPUTE_PGM_RSRC2:SCRATCH_EN: 0
; COMPUTE_PGM_RSRC2:USER_SGPR: 6
; COMPUTE_PGM_RSRC2:TRAP_HANDLER: 0
; COMPUTE_PGM_RSRC2:TGID_X_EN: 1
; COMPUTE_PGM_RSRC2:TGID_Y_EN: 0
; COMPUTE_PGM_RSRC2:TGID_Z_EN: 0
; COMPUTE_PGM_RSRC2:TIDIG_COMP_CNT: 0
; COMPUTE_PGM_RSRC3_GFX90A:ACCUM_OFFSET: 6
; COMPUTE_PGM_RSRC3_GFX90A:TG_SPLIT: 0
	.section	.text._ZN5aiter24topk_softplus_kernel_optI6__halffLi256ELb0ELi1EEEvPKT_PKT0_PfPimiif,"axG",@progbits,_ZN5aiter24topk_softplus_kernel_optI6__halffLi256ELb0ELi1EEEvPKT_PKT0_PfPimiif,comdat
	.protected	_ZN5aiter24topk_softplus_kernel_optI6__halffLi256ELb0ELi1EEEvPKT_PKT0_PfPimiif ; -- Begin function _ZN5aiter24topk_softplus_kernel_optI6__halffLi256ELb0ELi1EEEvPKT_PKT0_PfPimiif
	.globl	_ZN5aiter24topk_softplus_kernel_optI6__halffLi256ELb0ELi1EEEvPKT_PKT0_PfPimiif
	.p2align	8
	.type	_ZN5aiter24topk_softplus_kernel_optI6__halffLi256ELb0ELi1EEEvPKT_PKT0_PfPimiif,@function
_ZN5aiter24topk_softplus_kernel_optI6__halffLi256ELb0ELi1EEEvPKT_PKT0_PfPimiif: ; @_ZN5aiter24topk_softplus_kernel_optI6__halffLi256ELb0ELi1EEEvPKT_PKT0_PfPimiif
; %bb.0:
	s_load_dwordx4 s[0:3], s[4:5], 0x0
	s_lshl_b32 s8, s6, 8
	s_ashr_i32 s9, s8, 31
	s_lshl_b64 s[8:9], s[8:9], 1
	v_lshlrev_b32_e32 v4, 1, v0
	s_waitcnt lgkmcnt(0)
	s_add_u32 s10, s0, s8
	s_addc_u32 s11, s1, s9
	global_load_ushort v2, v4, s[10:11]
	s_mov_b32 s1, 0xc2fc0000
	v_mov_b32_e32 v1, 0x42800000
	s_mov_b32 s0, 0xbfb8aa3b
	v_mov_b32_e32 v3, 0x1f800000
	s_cmp_lg_u64 s[2:3], 0
	s_cselect_b64 s[8:9], -1, 0
	v_lshlrev_b32_e32 v13, 2, v0
	s_waitcnt vmcnt(0)
	v_cvt_f32_f16_e32 v5, v2
	v_mul_f32_e32 v5, 0xbfb8aa3b, v5
	v_cmp_gt_f32_e32 vcc, s1, v5
	v_cndmask_b32_e32 v5, 0, v1, vcc
	v_fma_mix_f32 v2, v2, s0, v5 op_sel_hi:[1,0,0]
	v_exp_f32_e32 v2, v2
	v_cndmask_b32_e32 v6, 1.0, v3, vcc
	v_mov_b32_e32 v5, s11
	v_add_co_u32_e32 v4, vcc, s10, v4
	v_fma_f32 v2, v2, v6, 1.0
	v_rcp_f32_e32 v2, v2
	v_addc_co_u32_e32 v5, vcc, 0, v5, vcc
	s_and_b64 vcc, exec, s[8:9]
	v_mov_b32_e32 v10, v2
	s_cbranch_vccz .LBB108_2
; %bb.1:
	global_load_dword v6, v13, s[2:3]
	s_waitcnt vmcnt(0)
	v_add_f32_e32 v10, v2, v6
.LBB108_2:
	global_load_ushort v6, v[4:5], off offset:128
	s_waitcnt vmcnt(0)
	v_cvt_f32_f16_e32 v7, v6
	v_mul_f32_e32 v7, 0xbfb8aa3b, v7
	v_cmp_gt_f32_e32 vcc, s1, v7
	v_cndmask_b32_e32 v1, 0, v1, vcc
	v_fma_mix_f32 v1, v6, s0, v1 op_sel_hi:[1,0,0]
	v_exp_f32_e32 v1, v1
	v_cndmask_b32_e32 v3, 1.0, v3, vcc
	s_andn2_b64 vcc, exec, s[8:9]
	v_fma_f32 v1, v1, v3, 1.0
	v_rcp_f32_e32 v1, v1
	v_cndmask_b32_e64 v3, 0, 1, s[8:9]
	v_cmp_ne_u32_e64 s[0:1], 1, v3
	v_mov_b32_e32 v14, v1
	s_cbranch_vccnz .LBB108_4
; %bb.3:
	global_load_dword v3, v13, s[2:3] offset:256
	s_waitcnt vmcnt(0)
	v_add_f32_e32 v14, v1, v3
.LBB108_4:
	global_load_ushort v6, v[4:5], off offset:256
	s_mov_b32 s8, 0xc2fc0000
	s_mov_b32 s7, 0xbfb8aa3b
	v_mov_b32_e32 v3, 0x1f800000
	s_waitcnt vmcnt(0)
	v_cvt_f32_f16_e32 v7, v6
	v_mul_f32_e32 v7, 0xbfb8aa3b, v7
	v_cmp_gt_f32_e32 vcc, s8, v7
	v_mov_b32_e32 v7, 0x42800000
	v_cndmask_b32_e32 v9, 0, v7, vcc
	v_fma_mix_f32 v6, v6, s7, v9 op_sel_hi:[1,0,0]
	v_exp_f32_e32 v6, v6
	v_cndmask_b32_e32 v8, 1.0, v3, vcc
	s_and_b64 vcc, exec, s[0:1]
	v_fma_f32 v6, v6, v8, 1.0
	v_rcp_f32_e32 v8, v6
	v_mov_b32_e32 v6, v8
	s_cbranch_vccnz .LBB108_6
; %bb.5:
	global_load_dword v6, v13, s[2:3] offset:512
	s_waitcnt vmcnt(0)
	v_add_f32_e32 v6, v8, v6
.LBB108_6:
	global_load_ushort v4, v[4:5], off offset:384
	s_waitcnt vmcnt(0)
	v_cvt_f32_f16_e32 v5, v4
	v_mul_f32_e32 v5, 0xbfb8aa3b, v5
	v_cmp_gt_f32_e32 vcc, s8, v5
	v_cndmask_b32_e32 v5, 0, v7, vcc
	v_fma_mix_f32 v4, v4, s7, v5 op_sel_hi:[1,0,0]
	v_exp_f32_e32 v4, v4
	v_cndmask_b32_e32 v3, 1.0, v3, vcc
	s_and_b64 vcc, exec, s[0:1]
	v_fma_f32 v3, v4, v3, 1.0
	v_rcp_f32_e32 v3, v3
	v_mov_b32_e32 v5, v3
	s_cbranch_vccnz .LBB108_8
; %bb.7:
	global_load_dword v4, v13, s[2:3] offset:768
	s_waitcnt vmcnt(0)
	v_add_f32_e32 v5, v3, v4
.LBB108_8:
	v_add_u32_e32 v4, 64, v0
	v_cmp_lt_f32_e32 vcc, v10, v14
	v_add_u32_e32 v12, 0x80, v0
	v_add_u32_e32 v7, 0xc0, v0
	v_cndmask_b32_e32 v11, v1, v2, vcc
	v_cndmask_b32_e32 v2, v2, v1, vcc
	;; [unrolled: 1-line block ×6, first 2 shown]
	v_cmp_lt_f32_e32 vcc, v6, v5
	v_mov_b32_e32 v16, v6
	s_and_saveexec_b64 s[0:1], vcc
	s_xor_b64 s[0:1], exec, s[0:1]
; %bb.9:
	v_mov_b32_e32 v17, v6
	v_mov_b32_e32 v10, v8
	;; [unrolled: 1-line block ×4, first 2 shown]
	v_swap_b32 v8, v3
	v_swap_b32 v12, v7
	v_mov_b32_e32 v16, v5
	v_mov_b32_e32 v5, v17
; %bb.10:
	s_or_b64 exec, exec, s[0:1]
	v_cmp_lt_f32_e32 vcc, v15, v6
	v_cndmask_b32_e32 v14, v8, v2, vcc
	v_cndmask_b32_e32 v2, v2, v8, vcc
	;; [unrolled: 1-line block ×6, first 2 shown]
	v_cmp_lt_f32_e32 vcc, v9, v5
	v_mov_b32_e32 v15, v9
	s_and_saveexec_b64 s[0:1], vcc
; %bb.11:
	v_mov_b32_e32 v15, v1
	v_mov_b32_e32 v16, v9
	;; [unrolled: 1-line block ×4, first 2 shown]
	v_swap_b32 v11, v3
	v_swap_b32 v1, v7
	v_mov_b32_e32 v15, v5
	v_mov_b32_e32 v5, v16
; %bb.12:
	s_or_b64 exec, exec, s[0:1]
	s_load_dword s2, s[4:5], 0x28
	s_load_dwordx4 s[8:11], s[4:5], 0x10
	s_waitcnt lgkmcnt(0)
	s_cmp_lt_i32 s2, 1
	s_cbranch_scc1 .LBB108_18
; %bb.13:
	v_cmp_lt_f32_e32 vcc, v9, v12
	v_cndmask_b32_e32 v8, v10, v1, vcc
	v_cndmask_b32_e32 v1, v1, v10, vcc
	;; [unrolled: 1-line block ×6, first 2 shown]
	v_mbcnt_lo_u32_b32 v14, -1, 0
	v_mbcnt_hi_u32_b32 v14, -1, v14
	v_bfrev_b32_e32 v18, 0.5
	v_mov_b32_e32 v16, 0
	v_mov_b32_e32 v15, 0
	;; [unrolled: 1-line block ×3, first 2 shown]
	v_lshl_or_b32 v18, v14, 2, v18
	v_mov_b32_e32 v19, v0
	s_mov_b32 s3, s2
	v_mov_b32_e32 v14, 0
.LBB108_14:                             ; =>This Inner Loop Header: Depth=1
	v_cmp_eq_u32_e32 vcc, 1, v16
	v_cndmask_b32_e32 v20, v6, v9, vcc
	v_cmp_eq_u32_e64 s[0:1], 2, v16
	v_cndmask_b32_e64 v20, v20, v10, s[0:1]
	v_cndmask_b32_e32 v21, v4, v1, vcc
	v_cndmask_b32_e32 v22, v2, v11, vcc
	v_cmp_eq_u32_e32 vcc, 3, v16
	v_cndmask_b32_e32 v20, v20, v5, vcc
	v_cndmask_b32_e64 v21, v21, v8, s[0:1]
	v_cndmask_b32_e64 v22, v22, v12, s[0:1]
	v_cmp_gt_u32_e64 s[0:1], 4, v16
	v_cndmask_b32_e64 v20, v17, v20, s[0:1]
	;;#ASMSTART
	v_max_f32 v24, v20, v20 quad_perm:[1,0,3,2] row_mask:0xf bank_mask:0xf bound_ctrl:1
	;;#ASMEND
	;;#ASMSTART
	v_max_f32 v25, v24, v24 quad_perm:[2,3,0,1] row_mask:0xf bank_mask:0xf bound_ctrl:1
	;;#ASMEND
	;;#ASMSTART
	v_max_f32 v24, v25, v25 row_half_mirror row_mask:0xf bank_mask:0xf bound_ctrl:1
	;;#ASMEND
	;;#ASMSTART
	v_max_f32 v25, v24, v24 row_mirror row_mask:0xf bank_mask:0xf bound_ctrl:1
	;;#ASMEND
	;;#ASMSTART
	v_max_f32 v24, v25, v25 row_ror:4 row_mask:0xf bank_mask:0xf bound_ctrl:1
	;;#ASMEND
	;;#ASMSTART
	v_max_f32 v25, v24, v24 row_ror:8 row_mask:0xf bank_mask:0xf bound_ctrl:1
	;;#ASMEND
	;;#ASMSTART
	v_max_f32 v24, v25, v25 row_bcast:15 row_mask:0xf bank_mask:0xf bound_ctrl:1
	;;#ASMEND
	;;#ASMSTART
	v_max_f32 v25, v24, v24 row_bcast:31 row_mask:0xf bank_mask:0xf bound_ctrl:1
	;;#ASMEND
	ds_bpermute_b32 v24, v18, v25
	v_cndmask_b32_e32 v21, v21, v7, vcc
	v_cndmask_b32_e32 v22, v22, v3, vcc
	v_cndmask_b32_e64 v23, 0, v21, s[0:1]
	s_waitcnt lgkmcnt(0)
	v_cmp_eq_f32_e32 vcc, v20, v24
	s_ff1_i32_b64 s7, vcc
	s_cmp_lg_u64 vcc, 0
	s_cselect_b32 s7, s7, 0
	v_readlane_b32 s7, v23, s7
	v_cmp_eq_u32_e32 vcc, s7, v21
	s_and_b64 vcc, s[0:1], vcc
	s_and_b32 s12, s7, 63
	v_cndmask_b32_e32 v21, 0, v22, vcc
	v_addc_co_u32_e32 v16, vcc, 0, v16, vcc
	v_readlane_b32 s0, v21, s12
	s_add_i32 s3, s3, -1
	v_mov_b32_e32 v20, s7
	v_mov_b32_e32 v21, s0
	v_cmp_eq_u32_e32 vcc, 0, v19
	s_cmp_eq_u32 s3, 0
	v_add_u32_e32 v19, -1, v19
	v_cndmask_b32_e32 v15, v15, v21, vcc
	v_cndmask_b32_e32 v14, v14, v20, vcc
	s_cbranch_scc0 .LBB108_14
; %bb.15:
	v_cmp_gt_i32_e32 vcc, s2, v0
	s_and_saveexec_b64 s[0:1], vcc
	s_cbranch_execz .LBB108_17
.LBB108_16:
	s_load_dword s2, s[4:5], 0x30
	s_load_dwordx2 s[0:1], s[4:5], 0x20
	s_ashr_i32 s3, s6, 31
	s_waitcnt lgkmcnt(0)
	v_mul_f32_e32 v0, s2, v15
	s_mul_i32 s1, s6, s1
	s_mul_hi_u32 s2, s6, s0
	s_add_i32 s1, s2, s1
	s_mul_i32 s3, s3, s0
	s_add_i32 s1, s1, s3
	s_mul_i32 s0, s6, s0
	s_lshl_b64 s[0:1], s[0:1], 2
	s_add_u32 s2, s8, s0
	s_addc_u32 s3, s9, s1
	s_add_u32 s0, s10, s0
	s_addc_u32 s1, s11, s1
	global_store_dword v13, v0, s[2:3]
	global_store_dword v13, v14, s[0:1]
.LBB108_17:
	s_endpgm
.LBB108_18:
	v_mov_b32_e32 v14, 0
	v_mov_b32_e32 v15, 0
	v_cmp_gt_i32_e32 vcc, s2, v0
	s_and_saveexec_b64 s[0:1], vcc
	s_cbranch_execnz .LBB108_16
	s_branch .LBB108_17
	.section	.rodata,"a",@progbits
	.p2align	6, 0x0
	.amdhsa_kernel _ZN5aiter24topk_softplus_kernel_optI6__halffLi256ELb0ELi1EEEvPKT_PKT0_PfPimiif
		.amdhsa_group_segment_fixed_size 0
		.amdhsa_private_segment_fixed_size 0
		.amdhsa_kernarg_size 52
		.amdhsa_user_sgpr_count 6
		.amdhsa_user_sgpr_private_segment_buffer 1
		.amdhsa_user_sgpr_dispatch_ptr 0
		.amdhsa_user_sgpr_queue_ptr 0
		.amdhsa_user_sgpr_kernarg_segment_ptr 1
		.amdhsa_user_sgpr_dispatch_id 0
		.amdhsa_user_sgpr_flat_scratch_init 0
		.amdhsa_user_sgpr_kernarg_preload_length 0
		.amdhsa_user_sgpr_kernarg_preload_offset 0
		.amdhsa_user_sgpr_private_segment_size 0
		.amdhsa_uses_dynamic_stack 0
		.amdhsa_system_sgpr_private_segment_wavefront_offset 0
		.amdhsa_system_sgpr_workgroup_id_x 1
		.amdhsa_system_sgpr_workgroup_id_y 0
		.amdhsa_system_sgpr_workgroup_id_z 0
		.amdhsa_system_sgpr_workgroup_info 0
		.amdhsa_system_vgpr_workitem_id 0
		.amdhsa_next_free_vgpr 26
		.amdhsa_next_free_sgpr 13
		.amdhsa_accum_offset 28
		.amdhsa_reserve_vcc 1
		.amdhsa_reserve_flat_scratch 0
		.amdhsa_float_round_mode_32 0
		.amdhsa_float_round_mode_16_64 0
		.amdhsa_float_denorm_mode_32 3
		.amdhsa_float_denorm_mode_16_64 3
		.amdhsa_dx10_clamp 1
		.amdhsa_ieee_mode 1
		.amdhsa_fp16_overflow 0
		.amdhsa_tg_split 0
		.amdhsa_exception_fp_ieee_invalid_op 0
		.amdhsa_exception_fp_denorm_src 0
		.amdhsa_exception_fp_ieee_div_zero 0
		.amdhsa_exception_fp_ieee_overflow 0
		.amdhsa_exception_fp_ieee_underflow 0
		.amdhsa_exception_fp_ieee_inexact 0
		.amdhsa_exception_int_div_zero 0
	.end_amdhsa_kernel
	.section	.text._ZN5aiter24topk_softplus_kernel_optI6__halffLi256ELb0ELi1EEEvPKT_PKT0_PfPimiif,"axG",@progbits,_ZN5aiter24topk_softplus_kernel_optI6__halffLi256ELb0ELi1EEEvPKT_PKT0_PfPimiif,comdat
.Lfunc_end108:
	.size	_ZN5aiter24topk_softplus_kernel_optI6__halffLi256ELb0ELi1EEEvPKT_PKT0_PfPimiif, .Lfunc_end108-_ZN5aiter24topk_softplus_kernel_optI6__halffLi256ELb0ELi1EEEvPKT_PKT0_PfPimiif
                                        ; -- End function
	.section	.AMDGPU.csdata,"",@progbits
; Kernel info:
; codeLenInByte = 1160
; NumSgprs: 17
; NumVgprs: 26
; NumAgprs: 0
; TotalNumVgprs: 26
; ScratchSize: 0
; MemoryBound: 0
; FloatMode: 240
; IeeeMode: 1
; LDSByteSize: 0 bytes/workgroup (compile time only)
; SGPRBlocks: 2
; VGPRBlocks: 3
; NumSGPRsForWavesPerEU: 17
; NumVGPRsForWavesPerEU: 26
; AccumOffset: 28
; Occupancy: 8
; WaveLimiterHint : 0
; COMPUTE_PGM_RSRC2:SCRATCH_EN: 0
; COMPUTE_PGM_RSRC2:USER_SGPR: 6
; COMPUTE_PGM_RSRC2:TRAP_HANDLER: 0
; COMPUTE_PGM_RSRC2:TGID_X_EN: 1
; COMPUTE_PGM_RSRC2:TGID_Y_EN: 0
; COMPUTE_PGM_RSRC2:TGID_Z_EN: 0
; COMPUTE_PGM_RSRC2:TIDIG_COMP_CNT: 0
; COMPUTE_PGM_RSRC3_GFX90A:ACCUM_OFFSET: 6
; COMPUTE_PGM_RSRC3_GFX90A:TG_SPLIT: 0
	.section	.text._ZN5aiter24topk_softplus_kernel_optI6__halffLi384ELb1ELi1EEEvPKT_PKT0_PfPimiif,"axG",@progbits,_ZN5aiter24topk_softplus_kernel_optI6__halffLi384ELb1ELi1EEEvPKT_PKT0_PfPimiif,comdat
	.protected	_ZN5aiter24topk_softplus_kernel_optI6__halffLi384ELb1ELi1EEEvPKT_PKT0_PfPimiif ; -- Begin function _ZN5aiter24topk_softplus_kernel_optI6__halffLi384ELb1ELi1EEEvPKT_PKT0_PfPimiif
	.globl	_ZN5aiter24topk_softplus_kernel_optI6__halffLi384ELb1ELi1EEEvPKT_PKT0_PfPimiif
	.p2align	8
	.type	_ZN5aiter24topk_softplus_kernel_optI6__halffLi384ELb1ELi1EEEvPKT_PKT0_PfPimiif,@function
_ZN5aiter24topk_softplus_kernel_optI6__halffLi384ELb1ELi1EEEvPKT_PKT0_PfPimiif: ; @_ZN5aiter24topk_softplus_kernel_optI6__halffLi384ELb1ELi1EEEvPKT_PKT0_PfPimiif
; %bb.0:
	s_load_dwordx4 s[0:3], s[4:5], 0x0
	s_mul_i32 s8, s6, 0x180
	s_ashr_i32 s9, s8, 31
	s_lshl_b64 s[8:9], s[8:9], 1
	v_lshlrev_b32_e32 v2, 1, v0
	s_waitcnt lgkmcnt(0)
	s_add_u32 s10, s0, s8
	s_addc_u32 s11, s1, s9
	global_load_ushort v1, v2, s[10:11]
	s_mov_b32 s1, 0xc2fc0000
	v_mov_b32_e32 v5, 0x42800000
	s_mov_b32 s0, 0xbfb8aa3b
	v_mov_b32_e32 v6, 0x1f800000
	s_cmp_lg_u64 s[2:3], 0
	s_cselect_b64 s[8:9], -1, 0
	v_lshlrev_b32_e32 v19, 2, v0
	s_waitcnt vmcnt(0)
	v_cvt_f32_f16_e32 v3, v1
	v_mul_f32_e32 v3, 0xbfb8aa3b, v3
	v_cmp_gt_f32_e32 vcc, s1, v3
	v_cndmask_b32_e32 v3, 0, v5, vcc
	v_fma_mix_f32 v1, v1, s0, v3 op_sel_hi:[1,0,0]
	v_exp_f32_e32 v1, v1
	v_cndmask_b32_e32 v4, 1.0, v6, vcc
	v_mov_b32_e32 v3, s11
	v_add_co_u32_e32 v2, vcc, s10, v2
	v_fma_f32 v1, v1, v4, 1.0
	v_rcp_f32_e32 v1, v1
	v_addc_co_u32_e32 v3, vcc, 0, v3, vcc
	s_and_b64 vcc, exec, s[8:9]
	v_mov_b32_e32 v4, v1
	s_cbranch_vccz .LBB109_2
; %bb.1:
	global_load_dword v4, v19, s[2:3]
	s_waitcnt vmcnt(0)
	v_add_f32_e32 v4, v1, v4
.LBB109_2:
	global_load_ushort v7, v[2:3], off offset:128
	s_waitcnt vmcnt(0)
	v_cvt_f32_f16_e32 v8, v7
	v_mul_f32_e32 v8, 0xbfb8aa3b, v8
	v_cmp_gt_f32_e32 vcc, s1, v8
	v_cndmask_b32_e32 v5, 0, v5, vcc
	v_fma_mix_f32 v5, v7, s0, v5 op_sel_hi:[1,0,0]
	v_exp_f32_e32 v5, v5
	v_cndmask_b32_e32 v6, 1.0, v6, vcc
	s_andn2_b64 vcc, exec, s[8:9]
	v_fma_f32 v5, v5, v6, 1.0
	v_rcp_f32_e32 v5, v5
	v_cndmask_b32_e64 v6, 0, 1, s[8:9]
	v_cmp_ne_u32_e64 s[0:1], 1, v6
	v_mov_b32_e32 v6, v5
	s_cbranch_vccnz .LBB109_4
; %bb.3:
	global_load_dword v6, v19, s[2:3] offset:256
	s_waitcnt vmcnt(0)
	v_add_f32_e32 v6, v5, v6
.LBB109_4:
	global_load_ushort v7, v[2:3], off offset:256
	s_mov_b32 s8, 0xc2fc0000
	v_mov_b32_e32 v10, 0x42800000
	s_mov_b32 s7, 0xbfb8aa3b
	v_mov_b32_e32 v9, 0x1f800000
	s_waitcnt vmcnt(0)
	v_cvt_f32_f16_e32 v8, v7
	v_mul_f32_e32 v8, 0xbfb8aa3b, v8
	v_cmp_gt_f32_e32 vcc, s8, v8
	v_cndmask_b32_e32 v11, 0, v10, vcc
	v_fma_mix_f32 v7, v7, s7, v11 op_sel_hi:[1,0,0]
	v_exp_f32_e32 v7, v7
	v_cndmask_b32_e32 v8, 1.0, v9, vcc
	s_and_b64 vcc, exec, s[0:1]
	v_fma_f32 v7, v7, v8, 1.0
	v_rcp_f32_e32 v7, v7
	v_mov_b32_e32 v8, v7
	s_cbranch_vccnz .LBB109_6
; %bb.5:
	global_load_dword v8, v19, s[2:3] offset:512
	s_waitcnt vmcnt(0)
	v_add_f32_e32 v8, v7, v8
.LBB109_6:
	global_load_ushort v11, v[2:3], off offset:384
	s_waitcnt vmcnt(0)
	v_cvt_f32_f16_e32 v12, v11
	v_mul_f32_e32 v12, 0xbfb8aa3b, v12
	v_cmp_gt_f32_e32 vcc, s8, v12
	v_cndmask_b32_e32 v10, 0, v10, vcc
	v_fma_mix_f32 v10, v11, s7, v10 op_sel_hi:[1,0,0]
	v_exp_f32_e32 v10, v10
	v_cndmask_b32_e32 v9, 1.0, v9, vcc
	s_and_b64 vcc, exec, s[0:1]
	v_fma_f32 v9, v10, v9, 1.0
	v_rcp_f32_e32 v9, v9
	v_mov_b32_e32 v10, v9
	s_cbranch_vccnz .LBB109_8
; %bb.7:
	global_load_dword v10, v19, s[2:3] offset:768
	s_waitcnt vmcnt(0)
	v_add_f32_e32 v10, v9, v10
.LBB109_8:
	global_load_ushort v11, v[2:3], off offset:512
	v_mov_b32_e32 v14, 0x42800000
	v_mov_b32_e32 v13, 0x1f800000
	s_waitcnt vmcnt(0)
	v_cvt_f32_f16_e32 v12, v11
	v_mul_f32_e32 v12, 0xbfb8aa3b, v12
	v_cmp_gt_f32_e32 vcc, s8, v12
	v_cndmask_b32_e32 v15, 0, v14, vcc
	v_fma_mix_f32 v11, v11, s7, v15 op_sel_hi:[1,0,0]
	v_exp_f32_e32 v11, v11
	v_cndmask_b32_e32 v12, 1.0, v13, vcc
	s_and_b64 vcc, exec, s[0:1]
	v_fma_f32 v11, v11, v12, 1.0
	v_rcp_f32_e32 v11, v11
	v_mov_b32_e32 v12, v11
	s_cbranch_vccnz .LBB109_10
; %bb.9:
	global_load_dword v12, v19, s[2:3] offset:1024
	s_waitcnt vmcnt(0)
	v_add_f32_e32 v12, v11, v12
.LBB109_10:
	global_load_ushort v2, v[2:3], off offset:640
	s_waitcnt vmcnt(0)
	v_cvt_f32_f16_e32 v3, v2
	v_mul_f32_e32 v3, 0xbfb8aa3b, v3
	v_cmp_gt_f32_e32 vcc, s8, v3
	v_cndmask_b32_e32 v3, 1.0, v13, vcc
	v_cndmask_b32_e32 v13, 0, v14, vcc
	v_fma_mix_f32 v2, v2, s7, v13 op_sel_hi:[1,0,0]
	v_exp_f32_e32 v2, v2
	s_and_b64 vcc, exec, s[0:1]
	v_fma_f32 v2, v2, v3, 1.0
	v_rcp_f32_e32 v2, v2
	v_mov_b32_e32 v3, v2
	s_cbranch_vccnz .LBB109_12
; %bb.11:
	global_load_dword v3, v19, s[2:3] offset:1280
	s_waitcnt vmcnt(0)
	v_add_f32_e32 v3, v2, v3
.LBB109_12:
	v_add_u32_e32 v13, 64, v0
	v_cmp_lt_f32_e32 vcc, v4, v6
	v_add_u32_e32 v14, 0x80, v0
	v_add_u32_e32 v15, 0xc0, v0
	v_cndmask_b32_e32 v18, v5, v1, vcc
	v_cndmask_b32_e32 v1, v1, v5, vcc
	;; [unrolled: 1-line block ×6, first 2 shown]
	v_cmp_lt_f32_e32 vcc, v8, v10
	v_add_u32_e32 v16, 0x100, v0
	v_add_u32_e32 v17, 0x140, v0
	v_cndmask_b32_e32 v6, v9, v7, vcc
	v_cndmask_b32_e32 v7, v7, v9, vcc
	v_cndmask_b32_e32 v9, v15, v14, vcc
	v_cndmask_b32_e32 v14, v14, v15, vcc
	v_cndmask_b32_e32 v15, v10, v8, vcc
	v_cndmask_b32_e32 v8, v8, v10, vcc
	v_cmp_lt_f32_e32 vcc, v12, v3
	v_cndmask_b32_e32 v10, v2, v11, vcc
	v_cndmask_b32_e32 v2, v11, v2, vcc
	v_cndmask_b32_e32 v11, v17, v16, vcc
	v_cndmask_b32_e32 v16, v16, v17, vcc
	v_cndmask_b32_e32 v17, v3, v12, vcc
	v_cndmask_b32_e32 v3, v12, v3, vcc
	v_cmp_lt_f32_e32 vcc, v4, v8
	;; [unrolled: 7-line block ×7, first 2 shown]
	v_cndmask_b32_e32 v12, v23, v11, vcc
	v_cmp_lt_f32_e64 s[0:1], v25, v27
	v_cndmask_b32_e32 v5, v18, v21, vcc
	v_cndmask_b32_e32 v8, v21, v18, vcc
	;; [unrolled: 1-line block ×3, first 2 shown]
	v_cndmask_b32_e64 v18, v3, v1, s[0:1]
	v_cndmask_b32_e64 v14, v26, v13, s[0:1]
	;; [unrolled: 1-line block ×3, first 2 shown]
	v_cmp_lt_f32_e64 s[2:3], v16, v12
	v_cndmask_b32_e32 v10, v22, v24, vcc
	v_cndmask_b32_e32 v9, v11, v23, vcc
	v_cndmask_b32_e64 v1, v1, v3, s[0:1]
	v_cndmask_b32_e64 v3, v13, v26, s[0:1]
	;; [unrolled: 1-line block ×3, first 2 shown]
	s_and_saveexec_b64 s[0:1], s[2:3]
	s_xor_b64 s[0:1], exec, s[0:1]
; %bb.13:
	v_mov_b32_e32 v13, v20
	v_mov_b32_e32 v21, v15
	;; [unrolled: 1-line block ×3, first 2 shown]
	v_swap_b32 v16, v12
	v_swap_b32 v20, v8
	;; [unrolled: 1-line block ×3, first 2 shown]
; %bb.14:
	s_or_b64 exec, exec, s[0:1]
	s_load_dword s7, s[4:5], 0x28
	s_load_dwordx4 s[16:19], s[4:5], 0x10
	v_mov_b32_e32 v22, 0
	s_waitcnt lgkmcnt(0)
	s_cmp_lt_i32 s7, 1
	s_cbranch_scc1 .LBB109_20
; %bb.15:
	v_cmp_lt_f32_e32 vcc, v17, v16
	v_cndmask_b32_e32 v13, v15, v14, vcc
	v_cndmask_b32_e32 v14, v14, v15, vcc
	;; [unrolled: 1-line block ×6, first 2 shown]
	v_mbcnt_lo_u32_b32 v20, -1, 0
	v_mbcnt_hi_u32_b32 v20, -1, v20
	v_bfrev_b32_e32 v21, 0.5
	v_mov_b32_e32 v22, 0
	v_mov_b32_e32 v23, 0
	;; [unrolled: 1-line block ×3, first 2 shown]
	v_lshl_or_b32 v25, v20, 2, v21
	v_mov_b32_e32 v26, v0
	s_mov_b32 s20, s7
	v_mov_b32_e32 v20, 0
	v_mov_b32_e32 v21, 0
.LBB109_16:                             ; =>This Inner Loop Header: Depth=1
	v_cmp_eq_u32_e32 vcc, 1, v23
	v_cndmask_b32_e32 v27, v6, v11, vcc
	v_cmp_eq_u32_e64 s[0:1], 2, v23
	v_cndmask_b32_e64 v27, v27, v16, s[0:1]
	v_cmp_eq_u32_e64 s[2:3], 3, v23
	v_cndmask_b32_e64 v27, v27, v15, s[2:3]
	;; [unrolled: 2-line block ×4, first 2 shown]
	v_cmp_gt_u32_e64 s[12:13], 6, v23
	v_cndmask_b32_e64 v27, v24, v27, s[12:13]
	;;#ASMSTART
	v_max_f32 v28, v27, v27 quad_perm:[1,0,3,2] row_mask:0xf bank_mask:0xf bound_ctrl:1
	;;#ASMEND
	;;#ASMSTART
	v_max_f32 v29, v28, v28 quad_perm:[2,3,0,1] row_mask:0xf bank_mask:0xf bound_ctrl:1
	;;#ASMEND
	;;#ASMSTART
	v_max_f32 v28, v29, v29 row_half_mirror row_mask:0xf bank_mask:0xf bound_ctrl:1
	;;#ASMEND
	;;#ASMSTART
	v_max_f32 v29, v28, v28 row_mirror row_mask:0xf bank_mask:0xf bound_ctrl:1
	;;#ASMEND
	;;#ASMSTART
	v_max_f32 v28, v29, v29 row_ror:4 row_mask:0xf bank_mask:0xf bound_ctrl:1
	;;#ASMEND
	;;#ASMSTART
	v_max_f32 v29, v28, v28 row_ror:8 row_mask:0xf bank_mask:0xf bound_ctrl:1
	;;#ASMEND
	;;#ASMSTART
	v_max_f32 v28, v29, v29 row_bcast:15 row_mask:0xf bank_mask:0xf bound_ctrl:1
	;;#ASMEND
	;;#ASMSTART
	v_max_f32 v29, v28, v28 row_bcast:31 row_mask:0xf bank_mask:0xf bound_ctrl:1
	;;#ASMEND
	ds_bpermute_b32 v28, v25, v29
	s_waitcnt lgkmcnt(0)
	v_cmp_eq_f32_e64 s[14:15], v27, v28
	v_cndmask_b32_e32 v27, v4, v3, vcc
	v_cndmask_b32_e64 v27, v27, v14, s[0:1]
	v_cndmask_b32_e64 v27, v27, v13, s[2:3]
	;; [unrolled: 1-line block ×4, first 2 shown]
	s_ff1_i32_b64 s21, s[14:15]
	s_cmp_lg_u64 s[14:15], 0
	s_cselect_b32 s14, s21, 0
	v_cndmask_b32_e64 v28, 0, v27, s[12:13]
	v_readlane_b32 s21, v28, s14
	v_cmp_eq_u32_e64 s[14:15], s21, v27
	v_cndmask_b32_e32 v27, v2, v1, vcc
	v_cndmask_b32_e64 v27, v27, v18, s[0:1]
	v_cndmask_b32_e64 v27, v27, v17, s[2:3]
	;; [unrolled: 1-line block ×4, first 2 shown]
	s_and_b64 vcc, s[12:13], s[14:15]
	s_and_b32 s0, s21, 63
	v_cndmask_b32_e32 v27, 0, v27, vcc
	v_readlane_b32 s2, v27, s0
	v_mov_b32_e32 v27, s2
	v_cmp_eq_u32_e64 s[0:1], 0, v26
	v_cndmask_b32_e64 v21, v21, v27, s[0:1]
	v_mov_b32_e32 v27, s21
	s_add_i32 s20, s20, -1
	v_cndmask_b32_e64 v20, v20, v27, s[0:1]
	v_addc_co_u32_e32 v23, vcc, 0, v23, vcc
	s_cmp_eq_u32 s20, 0
	v_add_f32_e32 v22, s2, v22
	v_add_u32_e32 v26, -1, v26
	s_cbranch_scc0 .LBB109_16
; %bb.17:
	v_cmp_gt_i32_e32 vcc, s7, v0
	s_and_saveexec_b64 s[0:1], vcc
	s_cbranch_execz .LBB109_19
.LBB109_18:
	s_load_dword s2, s[4:5], 0x30
	v_max_f32_e32 v0, v22, v22
	v_max_f32_e32 v0, 0x1e3ce508, v0
	s_waitcnt lgkmcnt(0)
	v_div_scale_f32 v1, s[0:1], v0, v0, s2
	v_rcp_f32_e32 v2, v1
	v_div_scale_f32 v3, vcc, s2, v0, s2
	s_load_dwordx2 s[0:1], s[4:5], 0x20
	v_fma_f32 v4, -v1, v2, 1.0
	v_fmac_f32_e32 v2, v4, v2
	v_mul_f32_e32 v4, v3, v2
	v_fma_f32 v5, -v1, v4, v3
	v_fmac_f32_e32 v4, v5, v2
	v_fma_f32 v1, -v1, v4, v3
	v_div_fmas_f32 v1, v1, v2, v4
	v_div_fixup_f32 v0, v1, v0, s2
	s_ashr_i32 s2, s6, 31
	s_waitcnt lgkmcnt(0)
	s_mul_i32 s1, s6, s1
	s_mul_hi_u32 s3, s6, s0
	s_add_i32 s1, s3, s1
	s_mul_i32 s2, s2, s0
	s_add_i32 s1, s1, s2
	s_mul_i32 s0, s6, s0
	s_lshl_b64 s[0:1], s[0:1], 2
	s_add_u32 s2, s16, s0
	s_addc_u32 s3, s17, s1
	s_add_u32 s0, s18, s0
	v_mul_f32_e32 v0, v21, v0
	s_addc_u32 s1, s19, s1
	global_store_dword v19, v0, s[2:3]
	global_store_dword v19, v20, s[0:1]
.LBB109_19:
	s_endpgm
.LBB109_20:
	v_mov_b32_e32 v20, 0
	v_mov_b32_e32 v21, 0
	v_cmp_gt_i32_e32 vcc, s7, v0
	s_and_saveexec_b64 s[0:1], vcc
	s_cbranch_execnz .LBB109_18
	s_branch .LBB109_19
	.section	.rodata,"a",@progbits
	.p2align	6, 0x0
	.amdhsa_kernel _ZN5aiter24topk_softplus_kernel_optI6__halffLi384ELb1ELi1EEEvPKT_PKT0_PfPimiif
		.amdhsa_group_segment_fixed_size 0
		.amdhsa_private_segment_fixed_size 0
		.amdhsa_kernarg_size 52
		.amdhsa_user_sgpr_count 6
		.amdhsa_user_sgpr_private_segment_buffer 1
		.amdhsa_user_sgpr_dispatch_ptr 0
		.amdhsa_user_sgpr_queue_ptr 0
		.amdhsa_user_sgpr_kernarg_segment_ptr 1
		.amdhsa_user_sgpr_dispatch_id 0
		.amdhsa_user_sgpr_flat_scratch_init 0
		.amdhsa_user_sgpr_kernarg_preload_length 0
		.amdhsa_user_sgpr_kernarg_preload_offset 0
		.amdhsa_user_sgpr_private_segment_size 0
		.amdhsa_uses_dynamic_stack 0
		.amdhsa_system_sgpr_private_segment_wavefront_offset 0
		.amdhsa_system_sgpr_workgroup_id_x 1
		.amdhsa_system_sgpr_workgroup_id_y 0
		.amdhsa_system_sgpr_workgroup_id_z 0
		.amdhsa_system_sgpr_workgroup_info 0
		.amdhsa_system_vgpr_workitem_id 0
		.amdhsa_next_free_vgpr 30
		.amdhsa_next_free_sgpr 22
		.amdhsa_accum_offset 32
		.amdhsa_reserve_vcc 1
		.amdhsa_reserve_flat_scratch 0
		.amdhsa_float_round_mode_32 0
		.amdhsa_float_round_mode_16_64 0
		.amdhsa_float_denorm_mode_32 3
		.amdhsa_float_denorm_mode_16_64 3
		.amdhsa_dx10_clamp 1
		.amdhsa_ieee_mode 1
		.amdhsa_fp16_overflow 0
		.amdhsa_tg_split 0
		.amdhsa_exception_fp_ieee_invalid_op 0
		.amdhsa_exception_fp_denorm_src 0
		.amdhsa_exception_fp_ieee_div_zero 0
		.amdhsa_exception_fp_ieee_overflow 0
		.amdhsa_exception_fp_ieee_underflow 0
		.amdhsa_exception_fp_ieee_inexact 0
		.amdhsa_exception_int_div_zero 0
	.end_amdhsa_kernel
	.section	.text._ZN5aiter24topk_softplus_kernel_optI6__halffLi384ELb1ELi1EEEvPKT_PKT0_PfPimiif,"axG",@progbits,_ZN5aiter24topk_softplus_kernel_optI6__halffLi384ELb1ELi1EEEvPKT_PKT0_PfPimiif,comdat
.Lfunc_end109:
	.size	_ZN5aiter24topk_softplus_kernel_optI6__halffLi384ELb1ELi1EEEvPKT_PKT0_PfPimiif, .Lfunc_end109-_ZN5aiter24topk_softplus_kernel_optI6__halffLi384ELb1ELi1EEEvPKT_PKT0_PfPimiif
                                        ; -- End function
	.section	.AMDGPU.csdata,"",@progbits
; Kernel info:
; codeLenInByte = 1768
; NumSgprs: 26
; NumVgprs: 30
; NumAgprs: 0
; TotalNumVgprs: 30
; ScratchSize: 0
; MemoryBound: 0
; FloatMode: 240
; IeeeMode: 1
; LDSByteSize: 0 bytes/workgroup (compile time only)
; SGPRBlocks: 3
; VGPRBlocks: 3
; NumSGPRsForWavesPerEU: 26
; NumVGPRsForWavesPerEU: 30
; AccumOffset: 32
; Occupancy: 8
; WaveLimiterHint : 0
; COMPUTE_PGM_RSRC2:SCRATCH_EN: 0
; COMPUTE_PGM_RSRC2:USER_SGPR: 6
; COMPUTE_PGM_RSRC2:TRAP_HANDLER: 0
; COMPUTE_PGM_RSRC2:TGID_X_EN: 1
; COMPUTE_PGM_RSRC2:TGID_Y_EN: 0
; COMPUTE_PGM_RSRC2:TGID_Z_EN: 0
; COMPUTE_PGM_RSRC2:TIDIG_COMP_CNT: 0
; COMPUTE_PGM_RSRC3_GFX90A:ACCUM_OFFSET: 7
; COMPUTE_PGM_RSRC3_GFX90A:TG_SPLIT: 0
	.section	.text._ZN5aiter24topk_softplus_kernel_optI6__halffLi384ELb0ELi1EEEvPKT_PKT0_PfPimiif,"axG",@progbits,_ZN5aiter24topk_softplus_kernel_optI6__halffLi384ELb0ELi1EEEvPKT_PKT0_PfPimiif,comdat
	.protected	_ZN5aiter24topk_softplus_kernel_optI6__halffLi384ELb0ELi1EEEvPKT_PKT0_PfPimiif ; -- Begin function _ZN5aiter24topk_softplus_kernel_optI6__halffLi384ELb0ELi1EEEvPKT_PKT0_PfPimiif
	.globl	_ZN5aiter24topk_softplus_kernel_optI6__halffLi384ELb0ELi1EEEvPKT_PKT0_PfPimiif
	.p2align	8
	.type	_ZN5aiter24topk_softplus_kernel_optI6__halffLi384ELb0ELi1EEEvPKT_PKT0_PfPimiif,@function
_ZN5aiter24topk_softplus_kernel_optI6__halffLi384ELb0ELi1EEEvPKT_PKT0_PfPimiif: ; @_ZN5aiter24topk_softplus_kernel_optI6__halffLi384ELb0ELi1EEEvPKT_PKT0_PfPimiif
; %bb.0:
	s_load_dwordx4 s[0:3], s[4:5], 0x0
	s_mul_i32 s8, s6, 0x180
	s_ashr_i32 s9, s8, 31
	s_lshl_b64 s[8:9], s[8:9], 1
	v_lshlrev_b32_e32 v2, 1, v0
	s_waitcnt lgkmcnt(0)
	s_add_u32 s10, s0, s8
	s_addc_u32 s11, s1, s9
	global_load_ushort v1, v2, s[10:11]
	s_mov_b32 s1, 0xc2fc0000
	v_mov_b32_e32 v5, 0x42800000
	s_mov_b32 s0, 0xbfb8aa3b
	v_mov_b32_e32 v6, 0x1f800000
	s_cmp_lg_u64 s[2:3], 0
	s_cselect_b64 s[8:9], -1, 0
	v_lshlrev_b32_e32 v19, 2, v0
	s_waitcnt vmcnt(0)
	v_cvt_f32_f16_e32 v3, v1
	v_mul_f32_e32 v3, 0xbfb8aa3b, v3
	v_cmp_gt_f32_e32 vcc, s1, v3
	v_cndmask_b32_e32 v3, 0, v5, vcc
	v_fma_mix_f32 v1, v1, s0, v3 op_sel_hi:[1,0,0]
	v_exp_f32_e32 v1, v1
	v_cndmask_b32_e32 v4, 1.0, v6, vcc
	v_mov_b32_e32 v3, s11
	v_add_co_u32_e32 v2, vcc, s10, v2
	v_fma_f32 v1, v1, v4, 1.0
	v_rcp_f32_e32 v1, v1
	v_addc_co_u32_e32 v3, vcc, 0, v3, vcc
	s_and_b64 vcc, exec, s[8:9]
	v_mov_b32_e32 v4, v1
	s_cbranch_vccz .LBB110_2
; %bb.1:
	global_load_dword v4, v19, s[2:3]
	s_waitcnt vmcnt(0)
	v_add_f32_e32 v4, v1, v4
.LBB110_2:
	global_load_ushort v7, v[2:3], off offset:128
	s_waitcnt vmcnt(0)
	v_cvt_f32_f16_e32 v8, v7
	v_mul_f32_e32 v8, 0xbfb8aa3b, v8
	v_cmp_gt_f32_e32 vcc, s1, v8
	v_cndmask_b32_e32 v5, 0, v5, vcc
	v_fma_mix_f32 v5, v7, s0, v5 op_sel_hi:[1,0,0]
	v_exp_f32_e32 v5, v5
	v_cndmask_b32_e32 v6, 1.0, v6, vcc
	s_andn2_b64 vcc, exec, s[8:9]
	v_fma_f32 v5, v5, v6, 1.0
	v_rcp_f32_e32 v5, v5
	v_cndmask_b32_e64 v6, 0, 1, s[8:9]
	v_cmp_ne_u32_e64 s[0:1], 1, v6
	v_mov_b32_e32 v6, v5
	s_cbranch_vccnz .LBB110_4
; %bb.3:
	global_load_dword v6, v19, s[2:3] offset:256
	s_waitcnt vmcnt(0)
	v_add_f32_e32 v6, v5, v6
.LBB110_4:
	global_load_ushort v7, v[2:3], off offset:256
	s_mov_b32 s8, 0xc2fc0000
	v_mov_b32_e32 v10, 0x42800000
	s_mov_b32 s7, 0xbfb8aa3b
	v_mov_b32_e32 v9, 0x1f800000
	s_waitcnt vmcnt(0)
	v_cvt_f32_f16_e32 v8, v7
	v_mul_f32_e32 v8, 0xbfb8aa3b, v8
	v_cmp_gt_f32_e32 vcc, s8, v8
	v_cndmask_b32_e32 v11, 0, v10, vcc
	v_fma_mix_f32 v7, v7, s7, v11 op_sel_hi:[1,0,0]
	v_exp_f32_e32 v7, v7
	v_cndmask_b32_e32 v8, 1.0, v9, vcc
	s_and_b64 vcc, exec, s[0:1]
	v_fma_f32 v7, v7, v8, 1.0
	v_rcp_f32_e32 v7, v7
	v_mov_b32_e32 v8, v7
	s_cbranch_vccnz .LBB110_6
; %bb.5:
	global_load_dword v8, v19, s[2:3] offset:512
	s_waitcnt vmcnt(0)
	v_add_f32_e32 v8, v7, v8
.LBB110_6:
	global_load_ushort v11, v[2:3], off offset:384
	s_waitcnt vmcnt(0)
	v_cvt_f32_f16_e32 v12, v11
	v_mul_f32_e32 v12, 0xbfb8aa3b, v12
	v_cmp_gt_f32_e32 vcc, s8, v12
	v_cndmask_b32_e32 v10, 0, v10, vcc
	v_fma_mix_f32 v10, v11, s7, v10 op_sel_hi:[1,0,0]
	v_exp_f32_e32 v10, v10
	v_cndmask_b32_e32 v9, 1.0, v9, vcc
	s_and_b64 vcc, exec, s[0:1]
	v_fma_f32 v9, v10, v9, 1.0
	v_rcp_f32_e32 v9, v9
	v_mov_b32_e32 v10, v9
	s_cbranch_vccnz .LBB110_8
; %bb.7:
	global_load_dword v10, v19, s[2:3] offset:768
	s_waitcnt vmcnt(0)
	v_add_f32_e32 v10, v9, v10
.LBB110_8:
	global_load_ushort v11, v[2:3], off offset:512
	v_mov_b32_e32 v14, 0x42800000
	v_mov_b32_e32 v13, 0x1f800000
	s_waitcnt vmcnt(0)
	v_cvt_f32_f16_e32 v12, v11
	v_mul_f32_e32 v12, 0xbfb8aa3b, v12
	v_cmp_gt_f32_e32 vcc, s8, v12
	v_cndmask_b32_e32 v15, 0, v14, vcc
	v_fma_mix_f32 v11, v11, s7, v15 op_sel_hi:[1,0,0]
	v_exp_f32_e32 v11, v11
	v_cndmask_b32_e32 v12, 1.0, v13, vcc
	s_and_b64 vcc, exec, s[0:1]
	v_fma_f32 v11, v11, v12, 1.0
	v_rcp_f32_e32 v11, v11
	v_mov_b32_e32 v12, v11
	s_cbranch_vccnz .LBB110_10
; %bb.9:
	global_load_dword v12, v19, s[2:3] offset:1024
	s_waitcnt vmcnt(0)
	v_add_f32_e32 v12, v11, v12
.LBB110_10:
	global_load_ushort v2, v[2:3], off offset:640
	s_waitcnt vmcnt(0)
	v_cvt_f32_f16_e32 v3, v2
	v_mul_f32_e32 v3, 0xbfb8aa3b, v3
	v_cmp_gt_f32_e32 vcc, s8, v3
	v_cndmask_b32_e32 v3, 1.0, v13, vcc
	v_cndmask_b32_e32 v13, 0, v14, vcc
	v_fma_mix_f32 v2, v2, s7, v13 op_sel_hi:[1,0,0]
	v_exp_f32_e32 v2, v2
	s_and_b64 vcc, exec, s[0:1]
	v_fma_f32 v2, v2, v3, 1.0
	v_rcp_f32_e32 v2, v2
	v_mov_b32_e32 v3, v2
	s_cbranch_vccnz .LBB110_12
; %bb.11:
	global_load_dword v3, v19, s[2:3] offset:1280
	s_waitcnt vmcnt(0)
	v_add_f32_e32 v3, v2, v3
.LBB110_12:
	v_add_u32_e32 v13, 64, v0
	v_cmp_lt_f32_e32 vcc, v4, v6
	v_add_u32_e32 v14, 0x80, v0
	v_add_u32_e32 v15, 0xc0, v0
	v_cndmask_b32_e32 v18, v5, v1, vcc
	v_cndmask_b32_e32 v1, v1, v5, vcc
	;; [unrolled: 1-line block ×6, first 2 shown]
	v_cmp_lt_f32_e32 vcc, v8, v10
	v_add_u32_e32 v16, 0x100, v0
	v_add_u32_e32 v17, 0x140, v0
	v_cndmask_b32_e32 v6, v9, v7, vcc
	v_cndmask_b32_e32 v7, v7, v9, vcc
	v_cndmask_b32_e32 v9, v15, v14, vcc
	v_cndmask_b32_e32 v14, v14, v15, vcc
	v_cndmask_b32_e32 v15, v10, v8, vcc
	v_cndmask_b32_e32 v8, v8, v10, vcc
	v_cmp_lt_f32_e32 vcc, v12, v3
	v_cndmask_b32_e32 v10, v2, v11, vcc
	v_cndmask_b32_e32 v2, v11, v2, vcc
	v_cndmask_b32_e32 v11, v17, v16, vcc
	v_cndmask_b32_e32 v16, v16, v17, vcc
	v_cndmask_b32_e32 v17, v3, v12, vcc
	v_cndmask_b32_e32 v3, v12, v3, vcc
	v_cmp_lt_f32_e32 vcc, v4, v8
	;; [unrolled: 7-line block ×7, first 2 shown]
	v_cndmask_b32_e32 v12, v23, v11, vcc
	v_cmp_lt_f32_e64 s[0:1], v25, v27
	v_cndmask_b32_e32 v5, v18, v21, vcc
	v_cndmask_b32_e32 v8, v21, v18, vcc
	;; [unrolled: 1-line block ×3, first 2 shown]
	v_cndmask_b32_e64 v18, v3, v1, s[0:1]
	v_cndmask_b32_e64 v14, v26, v13, s[0:1]
	;; [unrolled: 1-line block ×3, first 2 shown]
	v_cmp_lt_f32_e64 s[2:3], v16, v12
	v_cndmask_b32_e32 v10, v22, v24, vcc
	v_cndmask_b32_e32 v9, v11, v23, vcc
	v_cndmask_b32_e64 v1, v1, v3, s[0:1]
	v_cndmask_b32_e64 v3, v13, v26, s[0:1]
	;; [unrolled: 1-line block ×3, first 2 shown]
	s_and_saveexec_b64 s[0:1], s[2:3]
	s_xor_b64 s[0:1], exec, s[0:1]
; %bb.13:
	v_mov_b32_e32 v13, v20
	v_mov_b32_e32 v21, v15
	;; [unrolled: 1-line block ×3, first 2 shown]
	v_swap_b32 v16, v12
	v_swap_b32 v20, v8
	;; [unrolled: 1-line block ×3, first 2 shown]
; %bb.14:
	s_or_b64 exec, exec, s[0:1]
	s_load_dword s7, s[4:5], 0x28
	s_load_dwordx4 s[16:19], s[4:5], 0x10
	s_waitcnt lgkmcnt(0)
	s_cmp_lt_i32 s7, 1
	s_cbranch_scc1 .LBB110_20
; %bb.15:
	v_cmp_lt_f32_e32 vcc, v17, v16
	v_cndmask_b32_e32 v13, v15, v14, vcc
	v_cndmask_b32_e32 v14, v14, v15, vcc
	;; [unrolled: 1-line block ×6, first 2 shown]
	v_mbcnt_lo_u32_b32 v20, -1, 0
	v_mbcnt_hi_u32_b32 v20, -1, v20
	v_bfrev_b32_e32 v24, 0.5
	v_mov_b32_e32 v22, 0
	v_mov_b32_e32 v21, 0
	;; [unrolled: 1-line block ×3, first 2 shown]
	v_lshl_or_b32 v24, v20, 2, v24
	v_mov_b32_e32 v25, v0
	s_mov_b32 s20, s7
	v_mov_b32_e32 v20, 0
.LBB110_16:                             ; =>This Inner Loop Header: Depth=1
	v_cmp_eq_u32_e32 vcc, 1, v22
	v_cndmask_b32_e32 v26, v6, v11, vcc
	v_cmp_eq_u32_e64 s[0:1], 2, v22
	v_cndmask_b32_e64 v26, v26, v16, s[0:1]
	v_cmp_eq_u32_e64 s[2:3], 3, v22
	v_cndmask_b32_e64 v26, v26, v15, s[2:3]
	;; [unrolled: 2-line block ×4, first 2 shown]
	v_cmp_gt_u32_e64 s[12:13], 6, v22
	v_cndmask_b32_e64 v26, v23, v26, s[12:13]
	;;#ASMSTART
	v_max_f32 v27, v26, v26 quad_perm:[1,0,3,2] row_mask:0xf bank_mask:0xf bound_ctrl:1
	;;#ASMEND
	;;#ASMSTART
	v_max_f32 v28, v27, v27 quad_perm:[2,3,0,1] row_mask:0xf bank_mask:0xf bound_ctrl:1
	;;#ASMEND
	;;#ASMSTART
	v_max_f32 v27, v28, v28 row_half_mirror row_mask:0xf bank_mask:0xf bound_ctrl:1
	;;#ASMEND
	;;#ASMSTART
	v_max_f32 v28, v27, v27 row_mirror row_mask:0xf bank_mask:0xf bound_ctrl:1
	;;#ASMEND
	;;#ASMSTART
	v_max_f32 v27, v28, v28 row_ror:4 row_mask:0xf bank_mask:0xf bound_ctrl:1
	;;#ASMEND
	;;#ASMSTART
	v_max_f32 v28, v27, v27 row_ror:8 row_mask:0xf bank_mask:0xf bound_ctrl:1
	;;#ASMEND
	;;#ASMSTART
	v_max_f32 v27, v28, v28 row_bcast:15 row_mask:0xf bank_mask:0xf bound_ctrl:1
	;;#ASMEND
	;;#ASMSTART
	v_max_f32 v28, v27, v27 row_bcast:31 row_mask:0xf bank_mask:0xf bound_ctrl:1
	;;#ASMEND
	ds_bpermute_b32 v27, v24, v28
	s_waitcnt lgkmcnt(0)
	v_cmp_eq_f32_e64 s[14:15], v26, v27
	v_cndmask_b32_e32 v26, v4, v3, vcc
	v_cndmask_b32_e64 v26, v26, v14, s[0:1]
	v_cndmask_b32_e64 v26, v26, v13, s[2:3]
	;; [unrolled: 1-line block ×4, first 2 shown]
	s_ff1_i32_b64 s21, s[14:15]
	s_cmp_lg_u64 s[14:15], 0
	s_cselect_b32 s14, s21, 0
	v_cndmask_b32_e64 v27, 0, v26, s[12:13]
	v_readlane_b32 s21, v27, s14
	v_cmp_eq_u32_e64 s[14:15], s21, v26
	v_cndmask_b32_e32 v26, v2, v1, vcc
	v_cndmask_b32_e64 v26, v26, v18, s[0:1]
	v_cndmask_b32_e64 v26, v26, v17, s[2:3]
	;; [unrolled: 1-line block ×4, first 2 shown]
	s_and_b64 vcc, s[12:13], s[14:15]
	s_and_b32 s0, s21, 63
	v_cndmask_b32_e32 v26, 0, v26, vcc
	v_readlane_b32 s0, v26, s0
	v_mov_b32_e32 v26, s0
	v_cmp_eq_u32_e64 s[0:1], 0, v25
	v_cndmask_b32_e64 v21, v21, v26, s[0:1]
	v_mov_b32_e32 v26, s21
	s_add_i32 s20, s20, -1
	v_cndmask_b32_e64 v20, v20, v26, s[0:1]
	v_addc_co_u32_e32 v22, vcc, 0, v22, vcc
	s_cmp_eq_u32 s20, 0
	v_add_u32_e32 v25, -1, v25
	s_cbranch_scc0 .LBB110_16
; %bb.17:
	v_cmp_gt_i32_e32 vcc, s7, v0
	s_and_saveexec_b64 s[0:1], vcc
	s_cbranch_execz .LBB110_19
.LBB110_18:
	s_load_dword s2, s[4:5], 0x30
	s_load_dwordx2 s[0:1], s[4:5], 0x20
	s_ashr_i32 s3, s6, 31
	s_waitcnt lgkmcnt(0)
	v_mul_f32_e32 v0, s2, v21
	s_mul_i32 s1, s6, s1
	s_mul_hi_u32 s2, s6, s0
	s_add_i32 s1, s2, s1
	s_mul_i32 s3, s3, s0
	s_add_i32 s1, s1, s3
	s_mul_i32 s0, s6, s0
	s_lshl_b64 s[0:1], s[0:1], 2
	s_add_u32 s2, s16, s0
	s_addc_u32 s3, s17, s1
	s_add_u32 s0, s18, s0
	s_addc_u32 s1, s19, s1
	global_store_dword v19, v0, s[2:3]
	global_store_dword v19, v20, s[0:1]
.LBB110_19:
	s_endpgm
.LBB110_20:
	v_mov_b32_e32 v20, 0
	v_mov_b32_e32 v21, 0
	v_cmp_gt_i32_e32 vcc, s7, v0
	s_and_saveexec_b64 s[0:1], vcc
	s_cbranch_execnz .LBB110_18
	s_branch .LBB110_19
	.section	.rodata,"a",@progbits
	.p2align	6, 0x0
	.amdhsa_kernel _ZN5aiter24topk_softplus_kernel_optI6__halffLi384ELb0ELi1EEEvPKT_PKT0_PfPimiif
		.amdhsa_group_segment_fixed_size 0
		.amdhsa_private_segment_fixed_size 0
		.amdhsa_kernarg_size 52
		.amdhsa_user_sgpr_count 6
		.amdhsa_user_sgpr_private_segment_buffer 1
		.amdhsa_user_sgpr_dispatch_ptr 0
		.amdhsa_user_sgpr_queue_ptr 0
		.amdhsa_user_sgpr_kernarg_segment_ptr 1
		.amdhsa_user_sgpr_dispatch_id 0
		.amdhsa_user_sgpr_flat_scratch_init 0
		.amdhsa_user_sgpr_kernarg_preload_length 0
		.amdhsa_user_sgpr_kernarg_preload_offset 0
		.amdhsa_user_sgpr_private_segment_size 0
		.amdhsa_uses_dynamic_stack 0
		.amdhsa_system_sgpr_private_segment_wavefront_offset 0
		.amdhsa_system_sgpr_workgroup_id_x 1
		.amdhsa_system_sgpr_workgroup_id_y 0
		.amdhsa_system_sgpr_workgroup_id_z 0
		.amdhsa_system_sgpr_workgroup_info 0
		.amdhsa_system_vgpr_workitem_id 0
		.amdhsa_next_free_vgpr 29
		.amdhsa_next_free_sgpr 22
		.amdhsa_accum_offset 32
		.amdhsa_reserve_vcc 1
		.amdhsa_reserve_flat_scratch 0
		.amdhsa_float_round_mode_32 0
		.amdhsa_float_round_mode_16_64 0
		.amdhsa_float_denorm_mode_32 3
		.amdhsa_float_denorm_mode_16_64 3
		.amdhsa_dx10_clamp 1
		.amdhsa_ieee_mode 1
		.amdhsa_fp16_overflow 0
		.amdhsa_tg_split 0
		.amdhsa_exception_fp_ieee_invalid_op 0
		.amdhsa_exception_fp_denorm_src 0
		.amdhsa_exception_fp_ieee_div_zero 0
		.amdhsa_exception_fp_ieee_overflow 0
		.amdhsa_exception_fp_ieee_underflow 0
		.amdhsa_exception_fp_ieee_inexact 0
		.amdhsa_exception_int_div_zero 0
	.end_amdhsa_kernel
	.section	.text._ZN5aiter24topk_softplus_kernel_optI6__halffLi384ELb0ELi1EEEvPKT_PKT0_PfPimiif,"axG",@progbits,_ZN5aiter24topk_softplus_kernel_optI6__halffLi384ELb0ELi1EEEvPKT_PKT0_PfPimiif,comdat
.Lfunc_end110:
	.size	_ZN5aiter24topk_softplus_kernel_optI6__halffLi384ELb0ELi1EEEvPKT_PKT0_PfPimiif, .Lfunc_end110-_ZN5aiter24topk_softplus_kernel_optI6__halffLi384ELb0ELi1EEEvPKT_PKT0_PfPimiif
                                        ; -- End function
	.section	.AMDGPU.csdata,"",@progbits
; Kernel info:
; codeLenInByte = 1668
; NumSgprs: 26
; NumVgprs: 29
; NumAgprs: 0
; TotalNumVgprs: 29
; ScratchSize: 0
; MemoryBound: 0
; FloatMode: 240
; IeeeMode: 1
; LDSByteSize: 0 bytes/workgroup (compile time only)
; SGPRBlocks: 3
; VGPRBlocks: 3
; NumSGPRsForWavesPerEU: 26
; NumVGPRsForWavesPerEU: 29
; AccumOffset: 32
; Occupancy: 8
; WaveLimiterHint : 0
; COMPUTE_PGM_RSRC2:SCRATCH_EN: 0
; COMPUTE_PGM_RSRC2:USER_SGPR: 6
; COMPUTE_PGM_RSRC2:TRAP_HANDLER: 0
; COMPUTE_PGM_RSRC2:TGID_X_EN: 1
; COMPUTE_PGM_RSRC2:TGID_Y_EN: 0
; COMPUTE_PGM_RSRC2:TGID_Z_EN: 0
; COMPUTE_PGM_RSRC2:TIDIG_COMP_CNT: 0
; COMPUTE_PGM_RSRC3_GFX90A:ACCUM_OFFSET: 7
; COMPUTE_PGM_RSRC3_GFX90A:TG_SPLIT: 0
	.section	.text._ZN5aiter20topk_softplus_kernelI6__halffDv4_fLb1ELi1EEEvPKT_PKT0_PfPimiiif,"axG",@progbits,_ZN5aiter20topk_softplus_kernelI6__halffDv4_fLb1ELi1EEEvPKT_PKT0_PfPimiiif,comdat
	.protected	_ZN5aiter20topk_softplus_kernelI6__halffDv4_fLb1ELi1EEEvPKT_PKT0_PfPimiiif ; -- Begin function _ZN5aiter20topk_softplus_kernelI6__halffDv4_fLb1ELi1EEEvPKT_PKT0_PfPimiiif
	.globl	_ZN5aiter20topk_softplus_kernelI6__halffDv4_fLb1ELi1EEEvPKT_PKT0_PfPimiiif
	.p2align	8
	.type	_ZN5aiter20topk_softplus_kernelI6__halffDv4_fLb1ELi1EEEvPKT_PKT0_PfPimiiif,@function
_ZN5aiter20topk_softplus_kernelI6__halffDv4_fLb1ELi1EEEvPKT_PKT0_PfPimiiif: ; @_ZN5aiter20topk_softplus_kernelI6__halffDv4_fLb1ELi1EEEvPKT_PKT0_PfPimiiif
; %bb.0:
	s_load_dwordx2 s[16:17], s[4:5], 0x28
	s_load_dwordx8 s[8:15], s[4:5], 0x0
	v_lshlrev_b32_e32 v1, 2, v0
	v_lshl_add_u32 v12, v0, 4, 0
	s_waitcnt lgkmcnt(0)
	s_ashr_i32 s0, s16, 31
	s_lshr_b32 s0, s0, 30
	s_add_i32 s0, s16, s0
	s_mul_i32 s18, s6, s16
	s_ashr_i32 s7, s0, 2
	s_ashr_i32 s19, s18, 31
	v_cmp_gt_i32_e64 s[0:1], s7, v0
	s_and_saveexec_b64 s[20:21], s[0:1]
	s_cbranch_execz .LBB111_11
; %bb.1:
	s_load_dword s24, s[4:5], 0x44
	s_cmp_lg_u64 s[10:11], 0
	s_cselect_b64 s[2:3], -1, 0
	v_lshlrev_b32_e32 v2, 3, v0
	s_mov_b64 s[22:23], 0
	s_waitcnt lgkmcnt(0)
	s_and_b32 s24, s24, 0xffff
	s_add_u32 s25, s10, 4
	s_addc_u32 s26, s11, 0
	s_add_u32 s27, s10, 8
	s_addc_u32 s28, s11, 0
	s_add_u32 s29, s10, 12
	s_addc_u32 s30, s11, 0
	s_lshl_b64 s[34:35], s[18:19], 1
	s_add_u32 s33, s8, s34
	s_addc_u32 s34, s9, s35
	v_mov_b32_e32 v3, s34
	v_add_co_u32_e32 v6, vcc, s33, v2
	v_cndmask_b32_e64 v2, 0, 1, s[2:3]
	s_mov_b32 s31, 0
	v_addc_co_u32_e32 v7, vcc, 0, v3, vcc
	s_lshl_b32 s33, s24, 3
	v_lshlrev_b32_e32 v8, 2, v0
	s_lshl_b32 s34, s24, 2
	v_lshl_add_u32 v13, v0, 4, 0
	s_lshl_b32 s35, s24, 4
	v_mov_b32_e32 v9, 0
	s_mov_b32 s36, 0xbfb8aa3b
	s_mov_b32 s37, 0xc2fc0000
	v_mov_b32_e32 v14, 0x1f800000
	v_mov_b32_e32 v15, 0x42800000
	v_cmp_ne_u32_e64 s[2:3], 1, v2
	v_mov_b32_e32 v16, v0
	s_branch .LBB111_3
.LBB111_2:                              ;   in Loop: Header=BB111_3 Depth=1
	ds_write_b128 v13, v[2:5]
	v_mov_b32_e32 v2, s31
	v_add_co_u32_e32 v6, vcc, s33, v6
	v_add_u32_e32 v16, s24, v16
	v_addc_co_u32_e32 v7, vcc, v7, v2, vcc
	v_cmp_le_i32_e32 vcc, s7, v16
	v_add_u32_e32 v8, s34, v8
	s_or_b64 s[22:23], vcc, s[22:23]
	v_add_u32_e32 v13, s35, v13
	s_andn2_b64 exec, exec, s[22:23]
	s_cbranch_execz .LBB111_11
.LBB111_3:                              ; =>This Inner Loop Header: Depth=1
	global_load_dwordx2 v[4:5], v[6:7], off
	v_lshlrev_b64 v[10:11], 2, v[8:9]
	s_waitcnt vmcnt(0)
	v_cvt_f32_f16_e32 v2, v4
	v_mul_f32_e32 v2, 0xbfb8aa3b, v2
	v_cmp_gt_f32_e32 vcc, s37, v2
	v_cndmask_b32_e32 v3, 0, v15, vcc
	v_fma_mix_f32 v3, v4, s36, v3 op_sel_hi:[1,0,0]
	v_exp_f32_e32 v3, v3
	v_cndmask_b32_e32 v2, 1.0, v14, vcc
	s_and_b64 vcc, exec, s[2:3]
	v_fma_f32 v2, v3, v2, 1.0
	v_rcp_f32_e32 v2, v2
	s_cbranch_vccnz .LBB111_5
; %bb.4:                                ;   in Loop: Header=BB111_3 Depth=1
	v_mov_b32_e32 v3, s11
	v_add_co_u32_e32 v18, vcc, s10, v10
	v_addc_co_u32_e32 v19, vcc, v3, v11, vcc
	global_load_dword v3, v[18:19], off
	s_waitcnt vmcnt(0)
	v_add_f32_e32 v2, v2, v3
.LBB111_5:                              ;   in Loop: Header=BB111_3 Depth=1
	v_cvt_f32_f16_sdwa v3, v4 dst_sel:DWORD dst_unused:UNUSED_PAD src0_sel:WORD_1
	v_mul_f32_e32 v3, 0xbfb8aa3b, v3
	v_cmp_gt_f32_e32 vcc, s37, v3
	v_cndmask_b32_e32 v17, 0, v15, vcc
	v_fma_mix_f32 v4, v4, s36, v17 op_sel:[1,0,0] op_sel_hi:[1,0,0]
	v_exp_f32_e32 v4, v4
	v_cndmask_b32_e32 v3, 1.0, v14, vcc
	s_and_b64 vcc, exec, s[2:3]
	v_fma_f32 v3, v4, v3, 1.0
	v_rcp_f32_e32 v3, v3
	s_cbranch_vccnz .LBB111_7
; %bb.6:                                ;   in Loop: Header=BB111_3 Depth=1
	v_mov_b32_e32 v4, s26
	v_add_co_u32_e32 v18, vcc, s25, v10
	v_addc_co_u32_e32 v19, vcc, v4, v11, vcc
	global_load_dword v4, v[18:19], off
	s_waitcnt vmcnt(0)
	v_add_f32_e32 v3, v3, v4
.LBB111_7:                              ;   in Loop: Header=BB111_3 Depth=1
	v_cvt_f32_f16_e32 v4, v5
	v_mul_f32_e32 v4, 0xbfb8aa3b, v4
	v_cmp_gt_f32_e32 vcc, s37, v4
	v_cndmask_b32_e32 v17, 0, v15, vcc
	v_fma_mix_f32 v17, v5, s36, v17 op_sel_hi:[1,0,0]
	v_exp_f32_e32 v17, v17
	v_cndmask_b32_e32 v4, 1.0, v14, vcc
	s_and_b64 vcc, exec, s[2:3]
	v_fma_f32 v4, v17, v4, 1.0
	v_rcp_f32_e32 v4, v4
	s_cbranch_vccnz .LBB111_9
; %bb.8:                                ;   in Loop: Header=BB111_3 Depth=1
	v_mov_b32_e32 v17, s28
	v_add_co_u32_e32 v18, vcc, s27, v10
	v_addc_co_u32_e32 v19, vcc, v17, v11, vcc
	global_load_dword v17, v[18:19], off
	s_waitcnt vmcnt(0)
	v_add_f32_e32 v4, v4, v17
.LBB111_9:                              ;   in Loop: Header=BB111_3 Depth=1
	v_cvt_f32_f16_sdwa v17, v5 dst_sel:DWORD dst_unused:UNUSED_PAD src0_sel:WORD_1
	v_mul_f32_e32 v17, 0xbfb8aa3b, v17
	v_cmp_gt_f32_e32 vcc, s37, v17
	v_cndmask_b32_e32 v18, 0, v15, vcc
	v_fma_mix_f32 v5, v5, s36, v18 op_sel:[1,0,0] op_sel_hi:[1,0,0]
	v_exp_f32_e32 v5, v5
	v_cndmask_b32_e32 v17, 1.0, v14, vcc
	s_and_b64 vcc, exec, s[2:3]
	v_fma_f32 v5, v5, v17, 1.0
	v_rcp_f32_e32 v5, v5
	s_cbranch_vccnz .LBB111_2
; %bb.10:                               ;   in Loop: Header=BB111_3 Depth=1
	v_mov_b32_e32 v17, s30
	v_add_co_u32_e32 v10, vcc, s29, v10
	v_addc_co_u32_e32 v11, vcc, v17, v11, vcc
	global_load_dword v10, v[10:11], off
	s_waitcnt vmcnt(0)
	v_add_f32_e32 v5, v5, v10
	s_branch .LBB111_2
.LBB111_11:
	s_or_b64 exec, exec, s[20:21]
	v_lshl_add_u32 v2, s7, 2, v0
	v_cmp_gt_i32_e32 vcc, s16, v2
	s_and_saveexec_b64 s[20:21], vcc
	s_cbranch_execz .LBB111_16
; %bb.12:
	s_lshl_b64 s[2:3], s[18:19], 1
	s_load_dword s19, s[4:5], 0x44
	s_add_u32 s18, s8, s2
	s_addc_u32 s23, s9, s3
	s_cmp_lg_u64 s[10:11], 0
	s_cselect_b64 s[2:3], -1, 0
	s_lshl_b32 s22, s7, 4
	s_waitcnt lgkmcnt(0)
	s_and_b32 s19, s19, 0xffff
	s_add_i32 s22, s22, 0
	v_cndmask_b32_e64 v3, 0, 1, s[2:3]
	s_mov_b64 s[8:9], 0
	v_lshl_add_u32 v4, v0, 2, s22
	s_lshl_b32 s22, s19, 2
	v_mov_b32_e32 v5, s23
	s_mov_b32 s23, 0xbfb8aa3b
	s_mov_b32 s24, 0xc2fc0000
	v_mov_b32_e32 v6, 0x42800000
	v_mov_b32_e32 v7, 0x1f800000
	v_cmp_ne_u32_e64 s[2:3], 1, v3
	s_branch .LBB111_14
.LBB111_13:                             ;   in Loop: Header=BB111_14 Depth=1
	v_add_u32_e32 v2, s19, v2
	v_cmp_le_i32_e32 vcc, s16, v2
	s_or_b64 s[8:9], vcc, s[8:9]
	v_add_u32_e32 v4, s22, v4
	s_andn2_b64 exec, exec, s[8:9]
	s_cbranch_execz .LBB111_16
.LBB111_14:                             ; =>This Inner Loop Header: Depth=1
	v_ashrrev_i32_e32 v3, 31, v2
	v_lshlrev_b64 v[8:9], 1, v[2:3]
	v_add_co_u32_e32 v8, vcc, s18, v8
	v_addc_co_u32_e32 v9, vcc, v5, v9, vcc
	global_load_ushort v8, v[8:9], off
	s_waitcnt vmcnt(0)
	v_cvt_f32_f16_e32 v9, v8
	v_mul_f32_e32 v9, 0xbfb8aa3b, v9
	v_cmp_gt_f32_e32 vcc, s24, v9
	v_cndmask_b32_e32 v9, 0, v6, vcc
	v_fma_mix_f32 v8, v8, s23, v9 op_sel_hi:[1,0,0]
	v_exp_f32_e32 v8, v8
	v_cndmask_b32_e32 v9, 1.0, v7, vcc
	s_and_b64 vcc, exec, s[2:3]
	v_fma_f32 v8, v8, v9, 1.0
	v_rcp_f32_e32 v8, v8
	ds_write_b32 v4, v8
	s_cbranch_vccnz .LBB111_13
; %bb.15:                               ;   in Loop: Header=BB111_14 Depth=1
	v_lshlrev_b64 v[10:11], 2, v[2:3]
	v_mov_b32_e32 v3, s11
	v_add_co_u32_e32 v10, vcc, s10, v10
	v_addc_co_u32_e32 v11, vcc, v3, v11, vcc
	global_load_dword v3, v[10:11], off
	s_waitcnt vmcnt(0)
	v_add_f32_e32 v3, v8, v3
	ds_write_b32 v4, v3
	s_branch .LBB111_13
.LBB111_16:
	s_or_b64 exec, exec, s[20:21]
	s_cmp_lt_i32 s17, 1
	v_mov_b32_e32 v3, 0
	s_waitcnt lgkmcnt(0)
	s_barrier
	s_cbranch_scc1 .LBB111_25
; %bb.17:
	s_add_u32 s2, s4, 56
	s_addc_u32 s3, s5, 0
	v_mbcnt_lo_u32_b32 v2, -1, 0
	s_cmp_lg_u64 s[10:11], 0
	v_mbcnt_hi_u32_b32 v2, -1, v2
	v_bfrev_b32_e32 v4, 0.5
	s_cselect_b64 s[8:9], -1, 0
	s_mov_b32 s16, 0
	v_mov_b32_e32 v3, 0
	v_lshl_or_b32 v5, v2, 2, v4
	v_mov_b32_e32 v6, 0xff800000
	v_mov_b32_e32 v2, 0
	;; [unrolled: 1-line block ×3, first 2 shown]
	s_branch .LBB111_19
.LBB111_18:                             ;   in Loop: Header=BB111_19 Depth=1
	s_lshl_b32 s19, s18, 2
	s_add_i32 s19, s19, 0
	v_mov_b32_e32 v7, s19
	ds_write_b32 v7, v6
	v_mov_b32_e32 v7, s18
	v_cmp_eq_u32_e32 vcc, s16, v0
	s_add_i32 s16, s16, 1
	v_cndmask_b32_e32 v2, v2, v7, vcc
	v_cndmask_b32_e32 v3, v3, v9, vcc
	s_cmp_eq_u32 s16, s17
	v_add_f32_e32 v4, v4, v9
	s_cbranch_scc1 .LBB111_26
.LBB111_19:                             ; =>This Loop Header: Depth=1
                                        ;     Child Loop BB111_21 Depth 2
	v_mov_b32_e32 v7, s16
	v_mov_b32_e32 v8, 0xff800000
	s_and_saveexec_b64 s[18:19], s[0:1]
	s_cbranch_execz .LBB111_23
; %bb.20:                               ;   in Loop: Header=BB111_19 Depth=1
	s_load_dword s22, s[2:3], 0xc
	s_mov_b64 s[20:21], 0
	v_mov_b32_e32 v7, s16
	v_mov_b32_e32 v8, 0xff800000
	;; [unrolled: 1-line block ×3, first 2 shown]
	s_waitcnt lgkmcnt(0)
	s_and_b32 s22, s22, 0xffff
	s_lshl_b32 s23, s22, 2
	s_lshl_b32 s24, s22, 4
	v_mov_b32_e32 v10, v1
	v_mov_b32_e32 v11, v0
.LBB111_21:                             ;   Parent Loop BB111_19 Depth=1
                                        ; =>  This Inner Loop Header: Depth=2
	ds_read_b128 v[14:17], v9
	v_add_u32_e32 v11, s22, v11
	v_cmp_le_i32_e32 vcc, s7, v11
	s_or_b64 s[20:21], vcc, s[20:21]
	v_add_u32_e32 v13, 1, v10
	s_waitcnt lgkmcnt(0)
	v_cmp_gt_f32_e32 vcc, v14, v8
	v_cndmask_b32_e32 v8, v8, v14, vcc
	v_cndmask_b32_e32 v7, v7, v10, vcc
	v_cmp_gt_f32_e32 vcc, v15, v8
	v_cndmask_b32_e32 v8, v8, v15, vcc
	v_cndmask_b32_e32 v7, v7, v13, vcc
	v_cmp_gt_f32_e32 vcc, v16, v8
	v_add_u32_e32 v18, 2, v10
	v_cndmask_b32_e32 v8, v8, v16, vcc
	v_add_u32_e32 v19, 3, v10
	v_cndmask_b32_e32 v7, v7, v18, vcc
	v_cmp_gt_f32_e32 vcc, v17, v8
	v_add_u32_e32 v9, s24, v9
	v_add_u32_e32 v10, s23, v10
	v_cndmask_b32_e32 v8, v8, v17, vcc
	v_cndmask_b32_e32 v7, v7, v19, vcc
	s_andn2_b64 exec, exec, s[20:21]
	s_cbranch_execnz .LBB111_21
; %bb.22:                               ;   in Loop: Header=BB111_19 Depth=1
	s_or_b64 exec, exec, s[20:21]
.LBB111_23:                             ;   in Loop: Header=BB111_19 Depth=1
	s_or_b64 exec, exec, s[18:19]
	;;#ASMSTART
	v_max_f32 v9, v8, v8 quad_perm:[1,0,3,2] row_mask:0xf bank_mask:0xf bound_ctrl:1
	;;#ASMEND
	;;#ASMSTART
	v_max_f32 v10, v9, v9 quad_perm:[2,3,0,1] row_mask:0xf bank_mask:0xf bound_ctrl:1
	;;#ASMEND
	;;#ASMSTART
	v_max_f32 v9, v10, v10 row_half_mirror row_mask:0xf bank_mask:0xf bound_ctrl:1
	;;#ASMEND
	;;#ASMSTART
	v_max_f32 v10, v9, v9 row_mirror row_mask:0xf bank_mask:0xf bound_ctrl:1
	;;#ASMEND
	;;#ASMSTART
	v_max_f32 v9, v10, v10 row_ror:4 row_mask:0xf bank_mask:0xf bound_ctrl:1
	;;#ASMEND
	;;#ASMSTART
	v_max_f32 v10, v9, v9 row_ror:8 row_mask:0xf bank_mask:0xf bound_ctrl:1
	;;#ASMEND
	;;#ASMSTART
	v_max_f32 v9, v10, v10 row_bcast:15 row_mask:0xf bank_mask:0xf bound_ctrl:1
	;;#ASMEND
	;;#ASMSTART
	v_max_f32 v10, v9, v9 row_bcast:31 row_mask:0xf bank_mask:0xf bound_ctrl:1
	;;#ASMEND
	ds_bpermute_b32 v9, v5, v10
	s_waitcnt lgkmcnt(0)
	v_cmp_eq_f32_e32 vcc, v8, v9
	s_ff1_i32_b64 s18, vcc
	s_cmp_lg_u64 vcc, 0
	s_cselect_b32 s18, s18, 0
	s_and_b64 vcc, exec, s[8:9]
	v_readlane_b32 s18, v7, s18
	s_cbranch_vccz .LBB111_18
; %bb.24:                               ;   in Loop: Header=BB111_19 Depth=1
	s_ashr_i32 s19, s18, 31
	s_lshl_b64 s[20:21], s[18:19], 2
	s_add_u32 s20, s10, s20
	s_addc_u32 s21, s11, s21
	s_load_dword s19, s[20:21], 0x0
	s_waitcnt lgkmcnt(0)
	v_subrev_f32_e32 v9, s19, v9
	s_branch .LBB111_18
.LBB111_25:
	v_mov_b32_e32 v2, 0
	v_mov_b32_e32 v4, 0
.LBB111_26:
	v_cmp_gt_i32_e32 vcc, s17, v0
	s_and_saveexec_b64 s[0:1], vcc
	s_cbranch_execz .LBB111_29
; %bb.27:
	s_load_dword s2, s[4:5], 0x34
	v_max_f32_e32 v1, v4, v4
	v_max_f32_e32 v1, 0x1e3ce508, v1
	s_load_dword s3, s[4:5], 0x44
	s_waitcnt lgkmcnt(0)
	v_div_scale_f32 v4, s[0:1], v1, v1, s2
	s_load_dwordx2 s[0:1], s[4:5], 0x20
	v_rcp_f32_e32 v5, v4
	v_div_scale_f32 v6, vcc, s2, v1, s2
	s_and_b32 s3, s3, 0xffff
	v_fma_f32 v7, -v4, v5, 1.0
	v_fmac_f32_e32 v5, v7, v5
	v_mul_f32_e32 v7, v6, v5
	v_fma_f32 v8, -v4, v7, v6
	v_fmac_f32_e32 v7, v8, v5
	v_fma_f32 v4, -v4, v7, v6
	v_div_fmas_f32 v4, v4, v5, v7
	v_div_fixup_f32 v1, v4, v1, s2
	s_ashr_i32 s2, s6, 31
	s_waitcnt lgkmcnt(0)
	s_mul_i32 s1, s6, s1
	s_mul_hi_u32 s4, s6, s0
	s_add_i32 s1, s4, s1
	s_mul_i32 s2, s2, s0
	s_add_i32 s4, s1, s2
	v_mul_f32_e32 v1, v3, v1
	s_mul_i32 s2, s6, s0
	s_mov_b64 s[0:1], 0
	v_mov_b32_e32 v3, s4
	v_mov_b32_e32 v4, s13
	;; [unrolled: 1-line block ×3, first 2 shown]
.LBB111_28:                             ; =>This Inner Loop Header: Depth=1
	v_ashrrev_i32_e32 v7, 31, v0
	v_add_co_u32_e32 v6, vcc, s2, v0
	v_addc_co_u32_e32 v7, vcc, v3, v7, vcc
	v_add_u32_e32 v0, s3, v0
	v_cmp_le_i32_e32 vcc, s17, v0
	v_lshlrev_b64 v[6:7], 2, v[6:7]
	s_or_b64 s[0:1], vcc, s[0:1]
	v_add_co_u32_e32 v8, vcc, s12, v6
	v_addc_co_u32_e32 v9, vcc, v4, v7, vcc
	v_add_co_u32_e32 v6, vcc, s14, v6
	v_addc_co_u32_e32 v7, vcc, v5, v7, vcc
	global_store_dword v[8:9], v1, off
	global_store_dword v[6:7], v2, off
	s_andn2_b64 exec, exec, s[0:1]
	s_cbranch_execnz .LBB111_28
.LBB111_29:
	s_endpgm
	.section	.rodata,"a",@progbits
	.p2align	6, 0x0
	.amdhsa_kernel _ZN5aiter20topk_softplus_kernelI6__halffDv4_fLb1ELi1EEEvPKT_PKT0_PfPimiiif
		.amdhsa_group_segment_fixed_size 0
		.amdhsa_private_segment_fixed_size 0
		.amdhsa_kernarg_size 312
		.amdhsa_user_sgpr_count 6
		.amdhsa_user_sgpr_private_segment_buffer 1
		.amdhsa_user_sgpr_dispatch_ptr 0
		.amdhsa_user_sgpr_queue_ptr 0
		.amdhsa_user_sgpr_kernarg_segment_ptr 1
		.amdhsa_user_sgpr_dispatch_id 0
		.amdhsa_user_sgpr_flat_scratch_init 0
		.amdhsa_user_sgpr_kernarg_preload_length 0
		.amdhsa_user_sgpr_kernarg_preload_offset 0
		.amdhsa_user_sgpr_private_segment_size 0
		.amdhsa_uses_dynamic_stack 0
		.amdhsa_system_sgpr_private_segment_wavefront_offset 0
		.amdhsa_system_sgpr_workgroup_id_x 1
		.amdhsa_system_sgpr_workgroup_id_y 0
		.amdhsa_system_sgpr_workgroup_id_z 0
		.amdhsa_system_sgpr_workgroup_info 0
		.amdhsa_system_vgpr_workitem_id 0
		.amdhsa_next_free_vgpr 20
		.amdhsa_next_free_sgpr 38
		.amdhsa_accum_offset 20
		.amdhsa_reserve_vcc 1
		.amdhsa_reserve_flat_scratch 0
		.amdhsa_float_round_mode_32 0
		.amdhsa_float_round_mode_16_64 0
		.amdhsa_float_denorm_mode_32 3
		.amdhsa_float_denorm_mode_16_64 3
		.amdhsa_dx10_clamp 1
		.amdhsa_ieee_mode 1
		.amdhsa_fp16_overflow 0
		.amdhsa_tg_split 0
		.amdhsa_exception_fp_ieee_invalid_op 0
		.amdhsa_exception_fp_denorm_src 0
		.amdhsa_exception_fp_ieee_div_zero 0
		.amdhsa_exception_fp_ieee_overflow 0
		.amdhsa_exception_fp_ieee_underflow 0
		.amdhsa_exception_fp_ieee_inexact 0
		.amdhsa_exception_int_div_zero 0
	.end_amdhsa_kernel
	.section	.text._ZN5aiter20topk_softplus_kernelI6__halffDv4_fLb1ELi1EEEvPKT_PKT0_PfPimiiif,"axG",@progbits,_ZN5aiter20topk_softplus_kernelI6__halffDv4_fLb1ELi1EEEvPKT_PKT0_PfPimiiif,comdat
.Lfunc_end111:
	.size	_ZN5aiter20topk_softplus_kernelI6__halffDv4_fLb1ELi1EEEvPKT_PKT0_PfPimiiif, .Lfunc_end111-_ZN5aiter20topk_softplus_kernelI6__halffDv4_fLb1ELi1EEEvPKT_PKT0_PfPimiiif
                                        ; -- End function
	.section	.AMDGPU.csdata,"",@progbits
; Kernel info:
; codeLenInByte = 1716
; NumSgprs: 42
; NumVgprs: 20
; NumAgprs: 0
; TotalNumVgprs: 20
; ScratchSize: 0
; MemoryBound: 0
; FloatMode: 240
; IeeeMode: 1
; LDSByteSize: 0 bytes/workgroup (compile time only)
; SGPRBlocks: 5
; VGPRBlocks: 2
; NumSGPRsForWavesPerEU: 42
; NumVGPRsForWavesPerEU: 20
; AccumOffset: 20
; Occupancy: 8
; WaveLimiterHint : 0
; COMPUTE_PGM_RSRC2:SCRATCH_EN: 0
; COMPUTE_PGM_RSRC2:USER_SGPR: 6
; COMPUTE_PGM_RSRC2:TRAP_HANDLER: 0
; COMPUTE_PGM_RSRC2:TGID_X_EN: 1
; COMPUTE_PGM_RSRC2:TGID_Y_EN: 0
; COMPUTE_PGM_RSRC2:TGID_Z_EN: 0
; COMPUTE_PGM_RSRC2:TIDIG_COMP_CNT: 0
; COMPUTE_PGM_RSRC3_GFX90A:ACCUM_OFFSET: 4
; COMPUTE_PGM_RSRC3_GFX90A:TG_SPLIT: 0
	.section	.text._ZN5aiter20topk_softplus_kernelI6__halffDv4_fLb0ELi1EEEvPKT_PKT0_PfPimiiif,"axG",@progbits,_ZN5aiter20topk_softplus_kernelI6__halffDv4_fLb0ELi1EEEvPKT_PKT0_PfPimiiif,comdat
	.protected	_ZN5aiter20topk_softplus_kernelI6__halffDv4_fLb0ELi1EEEvPKT_PKT0_PfPimiiif ; -- Begin function _ZN5aiter20topk_softplus_kernelI6__halffDv4_fLb0ELi1EEEvPKT_PKT0_PfPimiiif
	.globl	_ZN5aiter20topk_softplus_kernelI6__halffDv4_fLb0ELi1EEEvPKT_PKT0_PfPimiiif
	.p2align	8
	.type	_ZN5aiter20topk_softplus_kernelI6__halffDv4_fLb0ELi1EEEvPKT_PKT0_PfPimiiif,@function
_ZN5aiter20topk_softplus_kernelI6__halffDv4_fLb0ELi1EEEvPKT_PKT0_PfPimiiif: ; @_ZN5aiter20topk_softplus_kernelI6__halffDv4_fLb0ELi1EEEvPKT_PKT0_PfPimiiif
; %bb.0:
	s_load_dwordx2 s[16:17], s[4:5], 0x28
	s_load_dwordx8 s[8:15], s[4:5], 0x0
	v_lshlrev_b32_e32 v1, 2, v0
	v_lshl_add_u32 v12, v0, 4, 0
	s_waitcnt lgkmcnt(0)
	s_ashr_i32 s0, s16, 31
	s_lshr_b32 s0, s0, 30
	s_add_i32 s0, s16, s0
	s_mul_i32 s18, s6, s16
	s_ashr_i32 s7, s0, 2
	s_ashr_i32 s19, s18, 31
	v_cmp_gt_i32_e64 s[0:1], s7, v0
	s_and_saveexec_b64 s[20:21], s[0:1]
	s_cbranch_execz .LBB112_11
; %bb.1:
	s_load_dword s24, s[4:5], 0x44
	s_cmp_lg_u64 s[10:11], 0
	s_cselect_b64 s[2:3], -1, 0
	v_lshlrev_b32_e32 v2, 3, v0
	s_mov_b64 s[22:23], 0
	s_waitcnt lgkmcnt(0)
	s_and_b32 s24, s24, 0xffff
	s_add_u32 s25, s10, 4
	s_addc_u32 s26, s11, 0
	s_add_u32 s27, s10, 8
	s_addc_u32 s28, s11, 0
	;; [unrolled: 2-line block ×3, first 2 shown]
	s_lshl_b64 s[34:35], s[18:19], 1
	s_add_u32 s33, s8, s34
	s_addc_u32 s34, s9, s35
	v_mov_b32_e32 v3, s34
	v_add_co_u32_e32 v6, vcc, s33, v2
	v_cndmask_b32_e64 v2, 0, 1, s[2:3]
	s_mov_b32 s31, 0
	v_addc_co_u32_e32 v7, vcc, 0, v3, vcc
	s_lshl_b32 s33, s24, 3
	v_lshlrev_b32_e32 v8, 2, v0
	s_lshl_b32 s34, s24, 2
	v_lshl_add_u32 v13, v0, 4, 0
	s_lshl_b32 s35, s24, 4
	v_mov_b32_e32 v9, 0
	s_mov_b32 s36, 0xbfb8aa3b
	s_mov_b32 s37, 0xc2fc0000
	v_mov_b32_e32 v14, 0x1f800000
	v_mov_b32_e32 v15, 0x42800000
	v_cmp_ne_u32_e64 s[2:3], 1, v2
	v_mov_b32_e32 v16, v0
	s_branch .LBB112_3
.LBB112_2:                              ;   in Loop: Header=BB112_3 Depth=1
	ds_write_b128 v13, v[2:5]
	v_mov_b32_e32 v2, s31
	v_add_co_u32_e32 v6, vcc, s33, v6
	v_add_u32_e32 v16, s24, v16
	v_addc_co_u32_e32 v7, vcc, v7, v2, vcc
	v_cmp_le_i32_e32 vcc, s7, v16
	v_add_u32_e32 v8, s34, v8
	s_or_b64 s[22:23], vcc, s[22:23]
	v_add_u32_e32 v13, s35, v13
	s_andn2_b64 exec, exec, s[22:23]
	s_cbranch_execz .LBB112_11
.LBB112_3:                              ; =>This Inner Loop Header: Depth=1
	global_load_dwordx2 v[4:5], v[6:7], off
	v_lshlrev_b64 v[10:11], 2, v[8:9]
	s_waitcnt vmcnt(0)
	v_cvt_f32_f16_e32 v2, v4
	v_mul_f32_e32 v2, 0xbfb8aa3b, v2
	v_cmp_gt_f32_e32 vcc, s37, v2
	v_cndmask_b32_e32 v3, 0, v15, vcc
	v_fma_mix_f32 v3, v4, s36, v3 op_sel_hi:[1,0,0]
	v_exp_f32_e32 v3, v3
	v_cndmask_b32_e32 v2, 1.0, v14, vcc
	s_and_b64 vcc, exec, s[2:3]
	v_fma_f32 v2, v3, v2, 1.0
	v_rcp_f32_e32 v2, v2
	s_cbranch_vccnz .LBB112_5
; %bb.4:                                ;   in Loop: Header=BB112_3 Depth=1
	v_mov_b32_e32 v3, s11
	v_add_co_u32_e32 v18, vcc, s10, v10
	v_addc_co_u32_e32 v19, vcc, v3, v11, vcc
	global_load_dword v3, v[18:19], off
	s_waitcnt vmcnt(0)
	v_add_f32_e32 v2, v2, v3
.LBB112_5:                              ;   in Loop: Header=BB112_3 Depth=1
	v_cvt_f32_f16_sdwa v3, v4 dst_sel:DWORD dst_unused:UNUSED_PAD src0_sel:WORD_1
	v_mul_f32_e32 v3, 0xbfb8aa3b, v3
	v_cmp_gt_f32_e32 vcc, s37, v3
	v_cndmask_b32_e32 v17, 0, v15, vcc
	v_fma_mix_f32 v4, v4, s36, v17 op_sel:[1,0,0] op_sel_hi:[1,0,0]
	v_exp_f32_e32 v4, v4
	v_cndmask_b32_e32 v3, 1.0, v14, vcc
	s_and_b64 vcc, exec, s[2:3]
	v_fma_f32 v3, v4, v3, 1.0
	v_rcp_f32_e32 v3, v3
	s_cbranch_vccnz .LBB112_7
; %bb.6:                                ;   in Loop: Header=BB112_3 Depth=1
	v_mov_b32_e32 v4, s26
	v_add_co_u32_e32 v18, vcc, s25, v10
	v_addc_co_u32_e32 v19, vcc, v4, v11, vcc
	global_load_dword v4, v[18:19], off
	s_waitcnt vmcnt(0)
	v_add_f32_e32 v3, v3, v4
.LBB112_7:                              ;   in Loop: Header=BB112_3 Depth=1
	v_cvt_f32_f16_e32 v4, v5
	v_mul_f32_e32 v4, 0xbfb8aa3b, v4
	v_cmp_gt_f32_e32 vcc, s37, v4
	v_cndmask_b32_e32 v17, 0, v15, vcc
	v_fma_mix_f32 v17, v5, s36, v17 op_sel_hi:[1,0,0]
	v_exp_f32_e32 v17, v17
	v_cndmask_b32_e32 v4, 1.0, v14, vcc
	s_and_b64 vcc, exec, s[2:3]
	v_fma_f32 v4, v17, v4, 1.0
	v_rcp_f32_e32 v4, v4
	s_cbranch_vccnz .LBB112_9
; %bb.8:                                ;   in Loop: Header=BB112_3 Depth=1
	v_mov_b32_e32 v17, s28
	v_add_co_u32_e32 v18, vcc, s27, v10
	v_addc_co_u32_e32 v19, vcc, v17, v11, vcc
	global_load_dword v17, v[18:19], off
	s_waitcnt vmcnt(0)
	v_add_f32_e32 v4, v4, v17
.LBB112_9:                              ;   in Loop: Header=BB112_3 Depth=1
	v_cvt_f32_f16_sdwa v17, v5 dst_sel:DWORD dst_unused:UNUSED_PAD src0_sel:WORD_1
	v_mul_f32_e32 v17, 0xbfb8aa3b, v17
	v_cmp_gt_f32_e32 vcc, s37, v17
	v_cndmask_b32_e32 v18, 0, v15, vcc
	v_fma_mix_f32 v5, v5, s36, v18 op_sel:[1,0,0] op_sel_hi:[1,0,0]
	v_exp_f32_e32 v5, v5
	v_cndmask_b32_e32 v17, 1.0, v14, vcc
	s_and_b64 vcc, exec, s[2:3]
	v_fma_f32 v5, v5, v17, 1.0
	v_rcp_f32_e32 v5, v5
	s_cbranch_vccnz .LBB112_2
; %bb.10:                               ;   in Loop: Header=BB112_3 Depth=1
	v_mov_b32_e32 v17, s30
	v_add_co_u32_e32 v10, vcc, s29, v10
	v_addc_co_u32_e32 v11, vcc, v17, v11, vcc
	global_load_dword v10, v[10:11], off
	s_waitcnt vmcnt(0)
	v_add_f32_e32 v5, v5, v10
	s_branch .LBB112_2
.LBB112_11:
	s_or_b64 exec, exec, s[20:21]
	v_lshl_add_u32 v2, s7, 2, v0
	v_cmp_gt_i32_e32 vcc, s16, v2
	s_and_saveexec_b64 s[20:21], vcc
	s_cbranch_execz .LBB112_16
; %bb.12:
	s_lshl_b64 s[2:3], s[18:19], 1
	s_load_dword s19, s[4:5], 0x44
	s_add_u32 s18, s8, s2
	s_addc_u32 s23, s9, s3
	s_cmp_lg_u64 s[10:11], 0
	s_cselect_b64 s[2:3], -1, 0
	s_lshl_b32 s22, s7, 4
	s_waitcnt lgkmcnt(0)
	s_and_b32 s19, s19, 0xffff
	s_add_i32 s22, s22, 0
	v_cndmask_b32_e64 v3, 0, 1, s[2:3]
	s_mov_b64 s[8:9], 0
	v_lshl_add_u32 v4, v0, 2, s22
	s_lshl_b32 s22, s19, 2
	v_mov_b32_e32 v5, s23
	s_mov_b32 s23, 0xbfb8aa3b
	s_mov_b32 s24, 0xc2fc0000
	v_mov_b32_e32 v6, 0x42800000
	v_mov_b32_e32 v7, 0x1f800000
	v_cmp_ne_u32_e64 s[2:3], 1, v3
	s_branch .LBB112_14
.LBB112_13:                             ;   in Loop: Header=BB112_14 Depth=1
	v_add_u32_e32 v2, s19, v2
	v_cmp_le_i32_e32 vcc, s16, v2
	s_or_b64 s[8:9], vcc, s[8:9]
	v_add_u32_e32 v4, s22, v4
	s_andn2_b64 exec, exec, s[8:9]
	s_cbranch_execz .LBB112_16
.LBB112_14:                             ; =>This Inner Loop Header: Depth=1
	v_ashrrev_i32_e32 v3, 31, v2
	v_lshlrev_b64 v[8:9], 1, v[2:3]
	v_add_co_u32_e32 v8, vcc, s18, v8
	v_addc_co_u32_e32 v9, vcc, v5, v9, vcc
	global_load_ushort v8, v[8:9], off
	s_waitcnt vmcnt(0)
	v_cvt_f32_f16_e32 v9, v8
	v_mul_f32_e32 v9, 0xbfb8aa3b, v9
	v_cmp_gt_f32_e32 vcc, s24, v9
	v_cndmask_b32_e32 v9, 0, v6, vcc
	v_fma_mix_f32 v8, v8, s23, v9 op_sel_hi:[1,0,0]
	v_exp_f32_e32 v8, v8
	v_cndmask_b32_e32 v9, 1.0, v7, vcc
	s_and_b64 vcc, exec, s[2:3]
	v_fma_f32 v8, v8, v9, 1.0
	v_rcp_f32_e32 v8, v8
	ds_write_b32 v4, v8
	s_cbranch_vccnz .LBB112_13
; %bb.15:                               ;   in Loop: Header=BB112_14 Depth=1
	v_lshlrev_b64 v[10:11], 2, v[2:3]
	v_mov_b32_e32 v3, s11
	v_add_co_u32_e32 v10, vcc, s10, v10
	v_addc_co_u32_e32 v11, vcc, v3, v11, vcc
	global_load_dword v3, v[10:11], off
	s_waitcnt vmcnt(0)
	v_add_f32_e32 v3, v8, v3
	ds_write_b32 v4, v3
	s_branch .LBB112_13
.LBB112_16:
	s_or_b64 exec, exec, s[20:21]
	s_cmp_lt_i32 s17, 1
	s_waitcnt lgkmcnt(0)
	s_barrier
	s_cbranch_scc1 .LBB112_25
; %bb.17:
	s_add_u32 s2, s4, 56
	s_addc_u32 s3, s5, 0
	v_mbcnt_lo_u32_b32 v4, -1, 0
	s_cmp_lg_u64 s[10:11], 0
	v_mbcnt_hi_u32_b32 v4, -1, v4
	v_bfrev_b32_e32 v5, 0.5
	s_cselect_b64 s[8:9], -1, 0
	s_mov_b32 s16, 0
	v_mov_b32_e32 v2, 0
	v_mov_b32_e32 v3, 0
	v_lshl_or_b32 v4, v4, 2, v5
	v_mov_b32_e32 v5, 0xff800000
	s_branch .LBB112_19
.LBB112_18:                             ;   in Loop: Header=BB112_19 Depth=1
	s_lshl_b32 s19, s18, 2
	s_add_i32 s19, s19, 0
	v_mov_b32_e32 v6, s19
	ds_write_b32 v6, v5
	v_mov_b32_e32 v6, s18
	v_cmp_eq_u32_e32 vcc, s16, v0
	s_add_i32 s16, s16, 1
	v_cndmask_b32_e32 v2, v2, v6, vcc
	s_cmp_eq_u32 s16, s17
	v_cndmask_b32_e32 v3, v3, v8, vcc
	s_cbranch_scc1 .LBB112_26
.LBB112_19:                             ; =>This Loop Header: Depth=1
                                        ;     Child Loop BB112_21 Depth 2
	v_mov_b32_e32 v6, s16
	v_mov_b32_e32 v7, 0xff800000
	s_and_saveexec_b64 s[18:19], s[0:1]
	s_cbranch_execz .LBB112_23
; %bb.20:                               ;   in Loop: Header=BB112_19 Depth=1
	s_load_dword s22, s[2:3], 0xc
	s_mov_b64 s[20:21], 0
	v_mov_b32_e32 v6, s16
	v_mov_b32_e32 v7, 0xff800000
	;; [unrolled: 1-line block ×3, first 2 shown]
	s_waitcnt lgkmcnt(0)
	s_and_b32 s22, s22, 0xffff
	s_lshl_b32 s23, s22, 2
	s_lshl_b32 s24, s22, 4
	v_mov_b32_e32 v9, v1
	v_mov_b32_e32 v10, v0
.LBB112_21:                             ;   Parent Loop BB112_19 Depth=1
                                        ; =>  This Inner Loop Header: Depth=2
	ds_read_b128 v[14:17], v8
	v_add_u32_e32 v10, s22, v10
	v_cmp_le_i32_e32 vcc, s7, v10
	s_or_b64 s[20:21], vcc, s[20:21]
	v_add_u32_e32 v11, 1, v9
	s_waitcnt lgkmcnt(0)
	v_cmp_gt_f32_e32 vcc, v14, v7
	v_cndmask_b32_e32 v7, v7, v14, vcc
	v_cndmask_b32_e32 v6, v6, v9, vcc
	v_cmp_gt_f32_e32 vcc, v15, v7
	v_cndmask_b32_e32 v7, v7, v15, vcc
	v_cndmask_b32_e32 v6, v6, v11, vcc
	v_cmp_gt_f32_e32 vcc, v16, v7
	v_add_u32_e32 v13, 2, v9
	v_cndmask_b32_e32 v7, v7, v16, vcc
	v_add_u32_e32 v18, 3, v9
	v_cndmask_b32_e32 v6, v6, v13, vcc
	v_cmp_gt_f32_e32 vcc, v17, v7
	v_add_u32_e32 v8, s24, v8
	v_add_u32_e32 v9, s23, v9
	v_cndmask_b32_e32 v7, v7, v17, vcc
	v_cndmask_b32_e32 v6, v6, v18, vcc
	s_andn2_b64 exec, exec, s[20:21]
	s_cbranch_execnz .LBB112_21
; %bb.22:                               ;   in Loop: Header=BB112_19 Depth=1
	s_or_b64 exec, exec, s[20:21]
.LBB112_23:                             ;   in Loop: Header=BB112_19 Depth=1
	s_or_b64 exec, exec, s[18:19]
	;;#ASMSTART
	v_max_f32 v8, v7, v7 quad_perm:[1,0,3,2] row_mask:0xf bank_mask:0xf bound_ctrl:1
	;;#ASMEND
	;;#ASMSTART
	v_max_f32 v9, v8, v8 quad_perm:[2,3,0,1] row_mask:0xf bank_mask:0xf bound_ctrl:1
	;;#ASMEND
	;;#ASMSTART
	v_max_f32 v8, v9, v9 row_half_mirror row_mask:0xf bank_mask:0xf bound_ctrl:1
	;;#ASMEND
	;;#ASMSTART
	v_max_f32 v9, v8, v8 row_mirror row_mask:0xf bank_mask:0xf bound_ctrl:1
	;;#ASMEND
	;;#ASMSTART
	v_max_f32 v8, v9, v9 row_ror:4 row_mask:0xf bank_mask:0xf bound_ctrl:1
	;;#ASMEND
	;;#ASMSTART
	v_max_f32 v9, v8, v8 row_ror:8 row_mask:0xf bank_mask:0xf bound_ctrl:1
	;;#ASMEND
	;;#ASMSTART
	v_max_f32 v8, v9, v9 row_bcast:15 row_mask:0xf bank_mask:0xf bound_ctrl:1
	;;#ASMEND
	;;#ASMSTART
	v_max_f32 v9, v8, v8 row_bcast:31 row_mask:0xf bank_mask:0xf bound_ctrl:1
	;;#ASMEND
	ds_bpermute_b32 v8, v4, v9
	s_waitcnt lgkmcnt(0)
	v_cmp_eq_f32_e32 vcc, v7, v8
	s_ff1_i32_b64 s18, vcc
	s_cmp_lg_u64 vcc, 0
	s_cselect_b32 s18, s18, 0
	s_and_b64 vcc, exec, s[8:9]
	v_readlane_b32 s18, v6, s18
	s_cbranch_vccz .LBB112_18
; %bb.24:                               ;   in Loop: Header=BB112_19 Depth=1
	s_ashr_i32 s19, s18, 31
	s_lshl_b64 s[20:21], s[18:19], 2
	s_add_u32 s20, s10, s20
	s_addc_u32 s21, s11, s21
	s_load_dword s19, s[20:21], 0x0
	s_waitcnt lgkmcnt(0)
	v_subrev_f32_e32 v8, s19, v8
	s_branch .LBB112_18
.LBB112_25:
	v_mov_b32_e32 v3, 0
	v_mov_b32_e32 v2, 0
.LBB112_26:
	v_cmp_gt_i32_e32 vcc, s17, v0
	s_and_saveexec_b64 s[0:1], vcc
	s_cbranch_execz .LBB112_29
; %bb.27:
	s_load_dword s2, s[4:5], 0x34
	s_load_dwordx2 s[0:1], s[4:5], 0x20
	s_ashr_i32 s3, s6, 31
	s_load_dword s4, s[4:5], 0x44
	v_mov_b32_e32 v4, s13
	s_waitcnt lgkmcnt(0)
	v_mul_f32_e32 v1, s2, v3
	s_mul_i32 s1, s6, s1
	s_mul_hi_u32 s2, s6, s0
	s_add_i32 s1, s2, s1
	s_mul_i32 s3, s3, s0
	s_add_i32 s5, s1, s3
	s_mul_i32 s2, s6, s0
	s_and_b32 s3, s4, 0xffff
	s_mov_b64 s[0:1], 0
	v_mov_b32_e32 v3, s5
	v_mov_b32_e32 v5, s15
.LBB112_28:                             ; =>This Inner Loop Header: Depth=1
	v_ashrrev_i32_e32 v7, 31, v0
	v_add_co_u32_e32 v6, vcc, s2, v0
	v_addc_co_u32_e32 v7, vcc, v3, v7, vcc
	v_add_u32_e32 v0, s3, v0
	v_cmp_le_i32_e32 vcc, s17, v0
	v_lshlrev_b64 v[6:7], 2, v[6:7]
	s_or_b64 s[0:1], vcc, s[0:1]
	v_add_co_u32_e32 v8, vcc, s12, v6
	v_addc_co_u32_e32 v9, vcc, v4, v7, vcc
	v_add_co_u32_e32 v6, vcc, s14, v6
	v_addc_co_u32_e32 v7, vcc, v5, v7, vcc
	global_store_dword v[8:9], v1, off
	global_store_dword v[6:7], v2, off
	s_andn2_b64 exec, exec, s[0:1]
	s_cbranch_execnz .LBB112_28
.LBB112_29:
	s_endpgm
	.section	.rodata,"a",@progbits
	.p2align	6, 0x0
	.amdhsa_kernel _ZN5aiter20topk_softplus_kernelI6__halffDv4_fLb0ELi1EEEvPKT_PKT0_PfPimiiif
		.amdhsa_group_segment_fixed_size 0
		.amdhsa_private_segment_fixed_size 0
		.amdhsa_kernarg_size 312
		.amdhsa_user_sgpr_count 6
		.amdhsa_user_sgpr_private_segment_buffer 1
		.amdhsa_user_sgpr_dispatch_ptr 0
		.amdhsa_user_sgpr_queue_ptr 0
		.amdhsa_user_sgpr_kernarg_segment_ptr 1
		.amdhsa_user_sgpr_dispatch_id 0
		.amdhsa_user_sgpr_flat_scratch_init 0
		.amdhsa_user_sgpr_kernarg_preload_length 0
		.amdhsa_user_sgpr_kernarg_preload_offset 0
		.amdhsa_user_sgpr_private_segment_size 0
		.amdhsa_uses_dynamic_stack 0
		.amdhsa_system_sgpr_private_segment_wavefront_offset 0
		.amdhsa_system_sgpr_workgroup_id_x 1
		.amdhsa_system_sgpr_workgroup_id_y 0
		.amdhsa_system_sgpr_workgroup_id_z 0
		.amdhsa_system_sgpr_workgroup_info 0
		.amdhsa_system_vgpr_workitem_id 0
		.amdhsa_next_free_vgpr 20
		.amdhsa_next_free_sgpr 38
		.amdhsa_accum_offset 20
		.amdhsa_reserve_vcc 1
		.amdhsa_reserve_flat_scratch 0
		.amdhsa_float_round_mode_32 0
		.amdhsa_float_round_mode_16_64 0
		.amdhsa_float_denorm_mode_32 3
		.amdhsa_float_denorm_mode_16_64 3
		.amdhsa_dx10_clamp 1
		.amdhsa_ieee_mode 1
		.amdhsa_fp16_overflow 0
		.amdhsa_tg_split 0
		.amdhsa_exception_fp_ieee_invalid_op 0
		.amdhsa_exception_fp_denorm_src 0
		.amdhsa_exception_fp_ieee_div_zero 0
		.amdhsa_exception_fp_ieee_overflow 0
		.amdhsa_exception_fp_ieee_underflow 0
		.amdhsa_exception_fp_ieee_inexact 0
		.amdhsa_exception_int_div_zero 0
	.end_amdhsa_kernel
	.section	.text._ZN5aiter20topk_softplus_kernelI6__halffDv4_fLb0ELi1EEEvPKT_PKT0_PfPimiiif,"axG",@progbits,_ZN5aiter20topk_softplus_kernelI6__halffDv4_fLb0ELi1EEEvPKT_PKT0_PfPimiiif,comdat
.Lfunc_end112:
	.size	_ZN5aiter20topk_softplus_kernelI6__halffDv4_fLb0ELi1EEEvPKT_PKT0_PfPimiiif, .Lfunc_end112-_ZN5aiter20topk_softplus_kernelI6__halffDv4_fLb0ELi1EEEvPKT_PKT0_PfPimiiif
                                        ; -- End function
	.section	.AMDGPU.csdata,"",@progbits
; Kernel info:
; codeLenInByte = 1616
; NumSgprs: 42
; NumVgprs: 20
; NumAgprs: 0
; TotalNumVgprs: 20
; ScratchSize: 0
; MemoryBound: 0
; FloatMode: 240
; IeeeMode: 1
; LDSByteSize: 0 bytes/workgroup (compile time only)
; SGPRBlocks: 5
; VGPRBlocks: 2
; NumSGPRsForWavesPerEU: 42
; NumVGPRsForWavesPerEU: 20
; AccumOffset: 20
; Occupancy: 8
; WaveLimiterHint : 0
; COMPUTE_PGM_RSRC2:SCRATCH_EN: 0
; COMPUTE_PGM_RSRC2:USER_SGPR: 6
; COMPUTE_PGM_RSRC2:TRAP_HANDLER: 0
; COMPUTE_PGM_RSRC2:TGID_X_EN: 1
; COMPUTE_PGM_RSRC2:TGID_Y_EN: 0
; COMPUTE_PGM_RSRC2:TGID_Z_EN: 0
; COMPUTE_PGM_RSRC2:TIDIG_COMP_CNT: 0
; COMPUTE_PGM_RSRC3_GFX90A:ACCUM_OFFSET: 4
; COMPUTE_PGM_RSRC3_GFX90A:TG_SPLIT: 0
	.section	.text._ZN5aiter20topk_softplus_kernelI6__halffDv2_fLb1ELi1EEEvPKT_PKT0_PfPimiiif,"axG",@progbits,_ZN5aiter20topk_softplus_kernelI6__halffDv2_fLb1ELi1EEEvPKT_PKT0_PfPimiiif,comdat
	.protected	_ZN5aiter20topk_softplus_kernelI6__halffDv2_fLb1ELi1EEEvPKT_PKT0_PfPimiiif ; -- Begin function _ZN5aiter20topk_softplus_kernelI6__halffDv2_fLb1ELi1EEEvPKT_PKT0_PfPimiiif
	.globl	_ZN5aiter20topk_softplus_kernelI6__halffDv2_fLb1ELi1EEEvPKT_PKT0_PfPimiiif
	.p2align	8
	.type	_ZN5aiter20topk_softplus_kernelI6__halffDv2_fLb1ELi1EEEvPKT_PKT0_PfPimiiif,@function
_ZN5aiter20topk_softplus_kernelI6__halffDv2_fLb1ELi1EEEvPKT_PKT0_PfPimiiif: ; @_ZN5aiter20topk_softplus_kernelI6__halffDv2_fLb1ELi1EEEvPKT_PKT0_PfPimiiif
; %bb.0:
	s_load_dwordx2 s[16:17], s[4:5], 0x28
	s_load_dwordx8 s[8:15], s[4:5], 0x0
	s_waitcnt lgkmcnt(0)
	s_lshr_b32 s0, s16, 31
	s_add_i32 s0, s16, s0
	s_mul_i32 s18, s6, s16
	s_ashr_i32 s7, s0, 1
	s_ashr_i32 s19, s18, 31
	v_cmp_gt_i32_e64 s[0:1], s7, v0
	s_and_saveexec_b64 s[20:21], s[0:1]
	s_cbranch_execz .LBB113_7
; %bb.1:
	s_load_dword s24, s[4:5], 0x44
	s_cmp_lg_u64 s[10:11], 0
	s_cselect_b64 s[2:3], -1, 0
	s_lshl_b64 s[26:27], s[18:19], 1
	v_lshlrev_b32_e32 v1, 2, v0
	s_waitcnt lgkmcnt(0)
	s_and_b32 s24, s24, 0xffff
	s_add_u32 s25, s8, s26
	s_addc_u32 s26, s9, s27
	v_mov_b32_e32 v3, s26
	v_add_co_u32_e32 v2, vcc, s25, v1
	v_addc_co_u32_e32 v3, vcc, 0, v3, vcc
	v_lshlrev_b32_e32 v1, 3, v0
	v_mov_b32_e32 v4, s11
	v_add_co_u32_e32 v5, vcc, s10, v1
	v_addc_co_u32_e32 v6, vcc, 0, v4, vcc
	v_add_co_u32_e32 v4, vcc, 4, v5
	s_mov_b32 s29, 0
	v_addc_co_u32_e32 v5, vcc, 0, v6, vcc
	v_cndmask_b32_e64 v6, 0, 1, s[2:3]
	s_mov_b64 s[22:23], 0
	s_lshl_b32 s25, s24, 2
	s_lshl_b32 s26, s24, 3
	v_add_u32_e32 v1, 0, v1
	s_mov_b32 s27, 0xbfb8aa3b
	s_mov_b32 s28, 0xc2fc0000
	v_mov_b32_e32 v8, 0x1f800000
	v_mov_b32_e32 v9, 0x42800000
	v_cmp_ne_u32_e64 s[2:3], 1, v6
	v_mov_b32_e32 v10, s29
	v_mov_b32_e32 v11, s29
	;; [unrolled: 1-line block ×3, first 2 shown]
	s_branch .LBB113_3
.LBB113_2:                              ;   in Loop: Header=BB113_3 Depth=1
	v_add_co_u32_e32 v2, vcc, s25, v2
	v_addc_co_u32_e32 v3, vcc, v3, v10, vcc
	v_add_co_u32_e32 v4, vcc, s26, v4
	v_add_u32_e32 v12, s24, v12
	v_addc_co_u32_e32 v5, vcc, v5, v11, vcc
	v_cmp_le_i32_e32 vcc, s7, v12
	ds_write_b64 v1, v[6:7]
	s_or_b64 s[22:23], vcc, s[22:23]
	v_add_u32_e32 v1, s26, v1
	s_andn2_b64 exec, exec, s[22:23]
	s_cbranch_execz .LBB113_7
.LBB113_3:                              ; =>This Inner Loop Header: Depth=1
	global_load_dword v7, v[2:3], off
	s_waitcnt vmcnt(0)
	v_cvt_f32_f16_e32 v6, v7
	v_mul_f32_e32 v6, 0xbfb8aa3b, v6
	v_cmp_gt_f32_e32 vcc, s28, v6
	v_cndmask_b32_e32 v13, 0, v9, vcc
	v_fma_mix_f32 v13, v7, s27, v13 op_sel_hi:[1,0,0]
	v_exp_f32_e32 v13, v13
	v_cndmask_b32_e32 v6, 1.0, v8, vcc
	s_and_b64 vcc, exec, s[2:3]
	v_fma_f32 v6, v13, v6, 1.0
	v_rcp_f32_e32 v6, v6
	s_cbranch_vccnz .LBB113_5
; %bb.4:                                ;   in Loop: Header=BB113_3 Depth=1
	global_load_dword v13, v[4:5], off offset:-4
	s_waitcnt vmcnt(0)
	v_add_f32_e32 v6, v6, v13
.LBB113_5:                              ;   in Loop: Header=BB113_3 Depth=1
	v_cvt_f32_f16_sdwa v13, v7 dst_sel:DWORD dst_unused:UNUSED_PAD src0_sel:WORD_1
	v_mul_f32_e32 v13, 0xbfb8aa3b, v13
	v_cmp_gt_f32_e32 vcc, s28, v13
	v_cndmask_b32_e32 v14, 0, v9, vcc
	v_fma_mix_f32 v7, v7, s27, v14 op_sel:[1,0,0] op_sel_hi:[1,0,0]
	v_exp_f32_e32 v7, v7
	v_cndmask_b32_e32 v13, 1.0, v8, vcc
	s_and_b64 vcc, exec, s[2:3]
	v_fma_f32 v7, v7, v13, 1.0
	v_rcp_f32_e32 v7, v7
	s_cbranch_vccnz .LBB113_2
; %bb.6:                                ;   in Loop: Header=BB113_3 Depth=1
	global_load_dword v13, v[4:5], off
	s_waitcnt vmcnt(0)
	v_add_f32_e32 v7, v7, v13
	s_branch .LBB113_2
.LBB113_7:
	s_or_b64 exec, exec, s[20:21]
	v_lshl_add_u32 v2, s7, 1, v0
	v_cmp_gt_i32_e32 vcc, s16, v2
	s_and_saveexec_b64 s[20:21], vcc
	s_cbranch_execz .LBB113_12
; %bb.8:
	s_lshl_b64 s[2:3], s[18:19], 1
	s_load_dword s19, s[4:5], 0x44
	s_add_u32 s18, s8, s2
	s_addc_u32 s23, s9, s3
	s_cmp_lg_u64 s[10:11], 0
	s_cselect_b64 s[2:3], -1, 0
	s_lshl_b32 s22, s7, 3
	s_waitcnt lgkmcnt(0)
	s_and_b32 s19, s19, 0xffff
	s_add_i32 s22, s22, 0
	v_cndmask_b32_e64 v3, 0, 1, s[2:3]
	s_mov_b64 s[8:9], 0
	v_lshl_add_u32 v1, v0, 2, s22
	s_lshl_b32 s22, s19, 2
	v_mov_b32_e32 v4, s23
	s_mov_b32 s23, 0xbfb8aa3b
	s_mov_b32 s24, 0xc2fc0000
	v_mov_b32_e32 v5, 0x42800000
	v_mov_b32_e32 v6, 0x1f800000
	v_cmp_ne_u32_e64 s[2:3], 1, v3
	s_branch .LBB113_10
.LBB113_9:                              ;   in Loop: Header=BB113_10 Depth=1
	v_add_u32_e32 v2, s19, v2
	v_cmp_le_i32_e32 vcc, s16, v2
	s_or_b64 s[8:9], vcc, s[8:9]
	v_add_u32_e32 v1, s22, v1
	s_andn2_b64 exec, exec, s[8:9]
	s_cbranch_execz .LBB113_12
.LBB113_10:                             ; =>This Inner Loop Header: Depth=1
	v_ashrrev_i32_e32 v3, 31, v2
	v_lshlrev_b64 v[8:9], 1, v[2:3]
	v_add_co_u32_e32 v8, vcc, s18, v8
	v_addc_co_u32_e32 v9, vcc, v4, v9, vcc
	global_load_ushort v7, v[8:9], off
	s_waitcnt vmcnt(0)
	v_cvt_f32_f16_e32 v8, v7
	v_mul_f32_e32 v8, 0xbfb8aa3b, v8
	v_cmp_gt_f32_e32 vcc, s24, v8
	v_cndmask_b32_e32 v8, 0, v5, vcc
	v_fma_mix_f32 v7, v7, s23, v8 op_sel_hi:[1,0,0]
	v_exp_f32_e32 v7, v7
	v_cndmask_b32_e32 v8, 1.0, v6, vcc
	s_and_b64 vcc, exec, s[2:3]
	v_fma_f32 v7, v7, v8, 1.0
	v_rcp_f32_e32 v7, v7
	ds_write_b32 v1, v7
	s_cbranch_vccnz .LBB113_9
; %bb.11:                               ;   in Loop: Header=BB113_10 Depth=1
	v_lshlrev_b64 v[8:9], 2, v[2:3]
	v_mov_b32_e32 v3, s11
	v_add_co_u32_e32 v8, vcc, s10, v8
	v_addc_co_u32_e32 v9, vcc, v3, v9, vcc
	global_load_dword v3, v[8:9], off
	s_waitcnt vmcnt(0)
	v_add_f32_e32 v3, v7, v3
	ds_write_b32 v1, v3
	s_branch .LBB113_9
.LBB113_12:
	s_or_b64 exec, exec, s[20:21]
	s_cmp_lt_i32 s17, 1
	v_mov_b32_e32 v2, 0
	s_waitcnt lgkmcnt(0)
	s_barrier
	s_cbranch_scc1 .LBB113_21
; %bb.13:
	s_add_u32 s2, s4, 56
	s_addc_u32 s3, s5, 0
	v_mbcnt_lo_u32_b32 v1, -1, 0
	s_cmp_lg_u64 s[10:11], 0
	v_mbcnt_hi_u32_b32 v1, -1, v1
	v_bfrev_b32_e32 v3, 0.5
	s_cselect_b64 s[8:9], -1, 0
	v_lshlrev_b32_e32 v4, 1, v0
	v_lshl_add_u32 v5, v0, 3, 0
	s_mov_b32 s16, 0
	v_mov_b32_e32 v2, 0
	v_lshl_or_b32 v6, v1, 2, v3
	v_mov_b32_e32 v7, 0xff800000
	v_mov_b32_e32 v1, 0
	;; [unrolled: 1-line block ×3, first 2 shown]
	s_branch .LBB113_15
.LBB113_14:                             ;   in Loop: Header=BB113_15 Depth=1
	s_lshl_b32 s19, s18, 2
	s_add_i32 s19, s19, 0
	v_mov_b32_e32 v8, s19
	ds_write_b32 v8, v7
	v_mov_b32_e32 v8, s18
	v_cmp_eq_u32_e32 vcc, s16, v0
	s_add_i32 s16, s16, 1
	v_cndmask_b32_e32 v1, v1, v8, vcc
	v_cndmask_b32_e32 v2, v2, v10, vcc
	s_cmp_eq_u32 s16, s17
	v_add_f32_e32 v3, v3, v10
	s_cbranch_scc1 .LBB113_22
.LBB113_15:                             ; =>This Loop Header: Depth=1
                                        ;     Child Loop BB113_17 Depth 2
	v_mov_b32_e32 v8, s16
	v_mov_b32_e32 v9, 0xff800000
	s_and_saveexec_b64 s[18:19], s[0:1]
	s_cbranch_execz .LBB113_19
; %bb.16:                               ;   in Loop: Header=BB113_15 Depth=1
	s_load_dword s22, s[2:3], 0xc
	s_mov_b64 s[20:21], 0
	v_mov_b32_e32 v8, s16
	v_mov_b32_e32 v9, 0xff800000
	;; [unrolled: 1-line block ×3, first 2 shown]
	s_waitcnt lgkmcnt(0)
	s_and_b32 s22, s22, 0xffff
	s_lshl_b32 s23, s22, 1
	s_lshl_b32 s24, s22, 3
	v_mov_b32_e32 v11, v4
	v_mov_b32_e32 v12, v0
.LBB113_17:                             ;   Parent Loop BB113_15 Depth=1
                                        ; =>  This Inner Loop Header: Depth=2
	ds_read_b64 v[14:15], v10
	v_add_u32_e32 v12, s22, v12
	v_cmp_le_i32_e32 vcc, s7, v12
	s_or_b64 s[20:21], vcc, s[20:21]
	v_add_u32_e32 v13, 1, v11
	s_waitcnt lgkmcnt(0)
	v_cmp_gt_f32_e32 vcc, v14, v9
	v_cndmask_b32_e32 v9, v9, v14, vcc
	v_cndmask_b32_e32 v8, v8, v11, vcc
	v_cmp_gt_f32_e32 vcc, v15, v9
	v_add_u32_e32 v10, s24, v10
	v_cndmask_b32_e32 v9, v9, v15, vcc
	v_add_u32_e32 v11, s23, v11
	v_cndmask_b32_e32 v8, v8, v13, vcc
	s_andn2_b64 exec, exec, s[20:21]
	s_cbranch_execnz .LBB113_17
; %bb.18:                               ;   in Loop: Header=BB113_15 Depth=1
	s_or_b64 exec, exec, s[20:21]
.LBB113_19:                             ;   in Loop: Header=BB113_15 Depth=1
	s_or_b64 exec, exec, s[18:19]
	;;#ASMSTART
	v_max_f32 v10, v9, v9 quad_perm:[1,0,3,2] row_mask:0xf bank_mask:0xf bound_ctrl:1
	;;#ASMEND
	;;#ASMSTART
	v_max_f32 v11, v10, v10 quad_perm:[2,3,0,1] row_mask:0xf bank_mask:0xf bound_ctrl:1
	;;#ASMEND
	;;#ASMSTART
	v_max_f32 v10, v11, v11 row_half_mirror row_mask:0xf bank_mask:0xf bound_ctrl:1
	;;#ASMEND
	;;#ASMSTART
	v_max_f32 v11, v10, v10 row_mirror row_mask:0xf bank_mask:0xf bound_ctrl:1
	;;#ASMEND
	;;#ASMSTART
	v_max_f32 v10, v11, v11 row_ror:4 row_mask:0xf bank_mask:0xf bound_ctrl:1
	;;#ASMEND
	;;#ASMSTART
	v_max_f32 v11, v10, v10 row_ror:8 row_mask:0xf bank_mask:0xf bound_ctrl:1
	;;#ASMEND
	;;#ASMSTART
	v_max_f32 v10, v11, v11 row_bcast:15 row_mask:0xf bank_mask:0xf bound_ctrl:1
	;;#ASMEND
	;;#ASMSTART
	v_max_f32 v11, v10, v10 row_bcast:31 row_mask:0xf bank_mask:0xf bound_ctrl:1
	;;#ASMEND
	ds_bpermute_b32 v10, v6, v11
	s_waitcnt lgkmcnt(0)
	v_cmp_eq_f32_e32 vcc, v9, v10
	s_ff1_i32_b64 s18, vcc
	s_cmp_lg_u64 vcc, 0
	s_cselect_b32 s18, s18, 0
	s_and_b64 vcc, exec, s[8:9]
	v_readlane_b32 s18, v8, s18
	s_cbranch_vccz .LBB113_14
; %bb.20:                               ;   in Loop: Header=BB113_15 Depth=1
	s_ashr_i32 s19, s18, 31
	s_lshl_b64 s[20:21], s[18:19], 2
	s_add_u32 s20, s10, s20
	s_addc_u32 s21, s11, s21
	s_load_dword s19, s[20:21], 0x0
	s_waitcnt lgkmcnt(0)
	v_subrev_f32_e32 v10, s19, v10
	s_branch .LBB113_14
.LBB113_21:
	v_mov_b32_e32 v1, 0
	v_mov_b32_e32 v3, 0
.LBB113_22:
	v_cmp_gt_i32_e32 vcc, s17, v0
	s_and_saveexec_b64 s[0:1], vcc
	s_cbranch_execz .LBB113_25
; %bb.23:
	s_load_dword s2, s[4:5], 0x34
	v_max_f32_e32 v3, v3, v3
	v_max_f32_e32 v3, 0x1e3ce508, v3
	s_load_dword s3, s[4:5], 0x44
	s_waitcnt lgkmcnt(0)
	v_div_scale_f32 v4, s[0:1], v3, v3, s2
	s_load_dwordx2 s[0:1], s[4:5], 0x20
	v_rcp_f32_e32 v5, v4
	v_div_scale_f32 v6, vcc, s2, v3, s2
	s_and_b32 s3, s3, 0xffff
	v_fma_f32 v7, -v4, v5, 1.0
	v_fmac_f32_e32 v5, v7, v5
	v_mul_f32_e32 v7, v6, v5
	v_fma_f32 v8, -v4, v7, v6
	v_fmac_f32_e32 v7, v8, v5
	v_fma_f32 v4, -v4, v7, v6
	v_div_fmas_f32 v4, v4, v5, v7
	v_div_fixup_f32 v3, v4, v3, s2
	s_ashr_i32 s2, s6, 31
	s_waitcnt lgkmcnt(0)
	s_mul_i32 s1, s6, s1
	s_mul_hi_u32 s4, s6, s0
	s_add_i32 s1, s4, s1
	s_mul_i32 s2, s2, s0
	s_add_i32 s4, s1, s2
	v_mul_f32_e32 v2, v2, v3
	s_mul_i32 s2, s6, s0
	s_mov_b64 s[0:1], 0
	v_mov_b32_e32 v3, s4
	v_mov_b32_e32 v4, s13
	;; [unrolled: 1-line block ×3, first 2 shown]
.LBB113_24:                             ; =>This Inner Loop Header: Depth=1
	v_ashrrev_i32_e32 v7, 31, v0
	v_add_co_u32_e32 v6, vcc, s2, v0
	v_addc_co_u32_e32 v7, vcc, v3, v7, vcc
	v_add_u32_e32 v0, s3, v0
	v_cmp_le_i32_e32 vcc, s17, v0
	v_lshlrev_b64 v[6:7], 2, v[6:7]
	s_or_b64 s[0:1], vcc, s[0:1]
	v_add_co_u32_e32 v8, vcc, s12, v6
	v_addc_co_u32_e32 v9, vcc, v4, v7, vcc
	v_add_co_u32_e32 v6, vcc, s14, v6
	v_addc_co_u32_e32 v7, vcc, v5, v7, vcc
	global_store_dword v[8:9], v2, off
	global_store_dword v[6:7], v1, off
	s_andn2_b64 exec, exec, s[0:1]
	s_cbranch_execnz .LBB113_24
.LBB113_25:
	s_endpgm
	.section	.rodata,"a",@progbits
	.p2align	6, 0x0
	.amdhsa_kernel _ZN5aiter20topk_softplus_kernelI6__halffDv2_fLb1ELi1EEEvPKT_PKT0_PfPimiiif
		.amdhsa_group_segment_fixed_size 0
		.amdhsa_private_segment_fixed_size 0
		.amdhsa_kernarg_size 312
		.amdhsa_user_sgpr_count 6
		.amdhsa_user_sgpr_private_segment_buffer 1
		.amdhsa_user_sgpr_dispatch_ptr 0
		.amdhsa_user_sgpr_queue_ptr 0
		.amdhsa_user_sgpr_kernarg_segment_ptr 1
		.amdhsa_user_sgpr_dispatch_id 0
		.amdhsa_user_sgpr_flat_scratch_init 0
		.amdhsa_user_sgpr_kernarg_preload_length 0
		.amdhsa_user_sgpr_kernarg_preload_offset 0
		.amdhsa_user_sgpr_private_segment_size 0
		.amdhsa_uses_dynamic_stack 0
		.amdhsa_system_sgpr_private_segment_wavefront_offset 0
		.amdhsa_system_sgpr_workgroup_id_x 1
		.amdhsa_system_sgpr_workgroup_id_y 0
		.amdhsa_system_sgpr_workgroup_id_z 0
		.amdhsa_system_sgpr_workgroup_info 0
		.amdhsa_system_vgpr_workitem_id 0
		.amdhsa_next_free_vgpr 16
		.amdhsa_next_free_sgpr 30
		.amdhsa_accum_offset 16
		.amdhsa_reserve_vcc 1
		.amdhsa_reserve_flat_scratch 0
		.amdhsa_float_round_mode_32 0
		.amdhsa_float_round_mode_16_64 0
		.amdhsa_float_denorm_mode_32 3
		.amdhsa_float_denorm_mode_16_64 3
		.amdhsa_dx10_clamp 1
		.amdhsa_ieee_mode 1
		.amdhsa_fp16_overflow 0
		.amdhsa_tg_split 0
		.amdhsa_exception_fp_ieee_invalid_op 0
		.amdhsa_exception_fp_denorm_src 0
		.amdhsa_exception_fp_ieee_div_zero 0
		.amdhsa_exception_fp_ieee_overflow 0
		.amdhsa_exception_fp_ieee_underflow 0
		.amdhsa_exception_fp_ieee_inexact 0
		.amdhsa_exception_int_div_zero 0
	.end_amdhsa_kernel
	.section	.text._ZN5aiter20topk_softplus_kernelI6__halffDv2_fLb1ELi1EEEvPKT_PKT0_PfPimiiif,"axG",@progbits,_ZN5aiter20topk_softplus_kernelI6__halffDv2_fLb1ELi1EEEvPKT_PKT0_PfPimiiif,comdat
.Lfunc_end113:
	.size	_ZN5aiter20topk_softplus_kernelI6__halffDv2_fLb1ELi1EEEvPKT_PKT0_PfPimiiif, .Lfunc_end113-_ZN5aiter20topk_softplus_kernelI6__halffDv2_fLb1ELi1EEEvPKT_PKT0_PfPimiiif
                                        ; -- End function
	.section	.AMDGPU.csdata,"",@progbits
; Kernel info:
; codeLenInByte = 1468
; NumSgprs: 34
; NumVgprs: 16
; NumAgprs: 0
; TotalNumVgprs: 16
; ScratchSize: 0
; MemoryBound: 0
; FloatMode: 240
; IeeeMode: 1
; LDSByteSize: 0 bytes/workgroup (compile time only)
; SGPRBlocks: 4
; VGPRBlocks: 1
; NumSGPRsForWavesPerEU: 34
; NumVGPRsForWavesPerEU: 16
; AccumOffset: 16
; Occupancy: 8
; WaveLimiterHint : 0
; COMPUTE_PGM_RSRC2:SCRATCH_EN: 0
; COMPUTE_PGM_RSRC2:USER_SGPR: 6
; COMPUTE_PGM_RSRC2:TRAP_HANDLER: 0
; COMPUTE_PGM_RSRC2:TGID_X_EN: 1
; COMPUTE_PGM_RSRC2:TGID_Y_EN: 0
; COMPUTE_PGM_RSRC2:TGID_Z_EN: 0
; COMPUTE_PGM_RSRC2:TIDIG_COMP_CNT: 0
; COMPUTE_PGM_RSRC3_GFX90A:ACCUM_OFFSET: 3
; COMPUTE_PGM_RSRC3_GFX90A:TG_SPLIT: 0
	.section	.text._ZN5aiter20topk_softplus_kernelI6__halffDv2_fLb0ELi1EEEvPKT_PKT0_PfPimiiif,"axG",@progbits,_ZN5aiter20topk_softplus_kernelI6__halffDv2_fLb0ELi1EEEvPKT_PKT0_PfPimiiif,comdat
	.protected	_ZN5aiter20topk_softplus_kernelI6__halffDv2_fLb0ELi1EEEvPKT_PKT0_PfPimiiif ; -- Begin function _ZN5aiter20topk_softplus_kernelI6__halffDv2_fLb0ELi1EEEvPKT_PKT0_PfPimiiif
	.globl	_ZN5aiter20topk_softplus_kernelI6__halffDv2_fLb0ELi1EEEvPKT_PKT0_PfPimiiif
	.p2align	8
	.type	_ZN5aiter20topk_softplus_kernelI6__halffDv2_fLb0ELi1EEEvPKT_PKT0_PfPimiiif,@function
_ZN5aiter20topk_softplus_kernelI6__halffDv2_fLb0ELi1EEEvPKT_PKT0_PfPimiiif: ; @_ZN5aiter20topk_softplus_kernelI6__halffDv2_fLb0ELi1EEEvPKT_PKT0_PfPimiiif
; %bb.0:
	s_load_dwordx2 s[16:17], s[4:5], 0x28
	s_load_dwordx8 s[8:15], s[4:5], 0x0
	s_waitcnt lgkmcnt(0)
	s_lshr_b32 s0, s16, 31
	s_add_i32 s0, s16, s0
	s_mul_i32 s18, s6, s16
	s_ashr_i32 s7, s0, 1
	s_ashr_i32 s19, s18, 31
	v_cmp_gt_i32_e64 s[0:1], s7, v0
	s_and_saveexec_b64 s[20:21], s[0:1]
	s_cbranch_execz .LBB114_7
; %bb.1:
	s_load_dword s24, s[4:5], 0x44
	s_cmp_lg_u64 s[10:11], 0
	s_cselect_b64 s[2:3], -1, 0
	s_lshl_b64 s[26:27], s[18:19], 1
	v_lshlrev_b32_e32 v1, 2, v0
	s_waitcnt lgkmcnt(0)
	s_and_b32 s24, s24, 0xffff
	s_add_u32 s25, s8, s26
	s_addc_u32 s26, s9, s27
	v_mov_b32_e32 v3, s26
	v_add_co_u32_e32 v2, vcc, s25, v1
	v_addc_co_u32_e32 v3, vcc, 0, v3, vcc
	v_lshlrev_b32_e32 v1, 3, v0
	v_mov_b32_e32 v4, s11
	v_add_co_u32_e32 v5, vcc, s10, v1
	v_addc_co_u32_e32 v6, vcc, 0, v4, vcc
	v_add_co_u32_e32 v4, vcc, 4, v5
	s_mov_b32 s29, 0
	v_addc_co_u32_e32 v5, vcc, 0, v6, vcc
	v_cndmask_b32_e64 v6, 0, 1, s[2:3]
	s_mov_b64 s[22:23], 0
	s_lshl_b32 s25, s24, 2
	s_lshl_b32 s26, s24, 3
	v_add_u32_e32 v1, 0, v1
	s_mov_b32 s27, 0xbfb8aa3b
	s_mov_b32 s28, 0xc2fc0000
	v_mov_b32_e32 v8, 0x1f800000
	v_mov_b32_e32 v9, 0x42800000
	v_cmp_ne_u32_e64 s[2:3], 1, v6
	v_mov_b32_e32 v10, s29
	v_mov_b32_e32 v11, s29
	;; [unrolled: 1-line block ×3, first 2 shown]
	s_branch .LBB114_3
.LBB114_2:                              ;   in Loop: Header=BB114_3 Depth=1
	v_add_co_u32_e32 v2, vcc, s25, v2
	v_addc_co_u32_e32 v3, vcc, v3, v10, vcc
	v_add_co_u32_e32 v4, vcc, s26, v4
	v_add_u32_e32 v12, s24, v12
	v_addc_co_u32_e32 v5, vcc, v5, v11, vcc
	v_cmp_le_i32_e32 vcc, s7, v12
	ds_write_b64 v1, v[6:7]
	s_or_b64 s[22:23], vcc, s[22:23]
	v_add_u32_e32 v1, s26, v1
	s_andn2_b64 exec, exec, s[22:23]
	s_cbranch_execz .LBB114_7
.LBB114_3:                              ; =>This Inner Loop Header: Depth=1
	global_load_dword v7, v[2:3], off
	s_waitcnt vmcnt(0)
	v_cvt_f32_f16_e32 v6, v7
	v_mul_f32_e32 v6, 0xbfb8aa3b, v6
	v_cmp_gt_f32_e32 vcc, s28, v6
	v_cndmask_b32_e32 v13, 0, v9, vcc
	v_fma_mix_f32 v13, v7, s27, v13 op_sel_hi:[1,0,0]
	v_exp_f32_e32 v13, v13
	v_cndmask_b32_e32 v6, 1.0, v8, vcc
	s_and_b64 vcc, exec, s[2:3]
	v_fma_f32 v6, v13, v6, 1.0
	v_rcp_f32_e32 v6, v6
	s_cbranch_vccnz .LBB114_5
; %bb.4:                                ;   in Loop: Header=BB114_3 Depth=1
	global_load_dword v13, v[4:5], off offset:-4
	s_waitcnt vmcnt(0)
	v_add_f32_e32 v6, v6, v13
.LBB114_5:                              ;   in Loop: Header=BB114_3 Depth=1
	v_cvt_f32_f16_sdwa v13, v7 dst_sel:DWORD dst_unused:UNUSED_PAD src0_sel:WORD_1
	v_mul_f32_e32 v13, 0xbfb8aa3b, v13
	v_cmp_gt_f32_e32 vcc, s28, v13
	v_cndmask_b32_e32 v14, 0, v9, vcc
	v_fma_mix_f32 v7, v7, s27, v14 op_sel:[1,0,0] op_sel_hi:[1,0,0]
	v_exp_f32_e32 v7, v7
	v_cndmask_b32_e32 v13, 1.0, v8, vcc
	s_and_b64 vcc, exec, s[2:3]
	v_fma_f32 v7, v7, v13, 1.0
	v_rcp_f32_e32 v7, v7
	s_cbranch_vccnz .LBB114_2
; %bb.6:                                ;   in Loop: Header=BB114_3 Depth=1
	global_load_dword v13, v[4:5], off
	s_waitcnt vmcnt(0)
	v_add_f32_e32 v7, v7, v13
	s_branch .LBB114_2
.LBB114_7:
	s_or_b64 exec, exec, s[20:21]
	v_lshl_add_u32 v2, s7, 1, v0
	v_cmp_gt_i32_e32 vcc, s16, v2
	s_and_saveexec_b64 s[20:21], vcc
	s_cbranch_execz .LBB114_12
; %bb.8:
	s_lshl_b64 s[2:3], s[18:19], 1
	s_load_dword s19, s[4:5], 0x44
	s_add_u32 s18, s8, s2
	s_addc_u32 s23, s9, s3
	s_cmp_lg_u64 s[10:11], 0
	s_cselect_b64 s[2:3], -1, 0
	s_lshl_b32 s22, s7, 3
	s_waitcnt lgkmcnt(0)
	s_and_b32 s19, s19, 0xffff
	s_add_i32 s22, s22, 0
	v_cndmask_b32_e64 v3, 0, 1, s[2:3]
	s_mov_b64 s[8:9], 0
	v_lshl_add_u32 v1, v0, 2, s22
	s_lshl_b32 s22, s19, 2
	v_mov_b32_e32 v4, s23
	s_mov_b32 s23, 0xbfb8aa3b
	s_mov_b32 s24, 0xc2fc0000
	v_mov_b32_e32 v5, 0x42800000
	v_mov_b32_e32 v6, 0x1f800000
	v_cmp_ne_u32_e64 s[2:3], 1, v3
	s_branch .LBB114_10
.LBB114_9:                              ;   in Loop: Header=BB114_10 Depth=1
	v_add_u32_e32 v2, s19, v2
	v_cmp_le_i32_e32 vcc, s16, v2
	s_or_b64 s[8:9], vcc, s[8:9]
	v_add_u32_e32 v1, s22, v1
	s_andn2_b64 exec, exec, s[8:9]
	s_cbranch_execz .LBB114_12
.LBB114_10:                             ; =>This Inner Loop Header: Depth=1
	v_ashrrev_i32_e32 v3, 31, v2
	v_lshlrev_b64 v[8:9], 1, v[2:3]
	v_add_co_u32_e32 v8, vcc, s18, v8
	v_addc_co_u32_e32 v9, vcc, v4, v9, vcc
	global_load_ushort v7, v[8:9], off
	s_waitcnt vmcnt(0)
	v_cvt_f32_f16_e32 v8, v7
	v_mul_f32_e32 v8, 0xbfb8aa3b, v8
	v_cmp_gt_f32_e32 vcc, s24, v8
	v_cndmask_b32_e32 v8, 0, v5, vcc
	v_fma_mix_f32 v7, v7, s23, v8 op_sel_hi:[1,0,0]
	v_exp_f32_e32 v7, v7
	v_cndmask_b32_e32 v8, 1.0, v6, vcc
	s_and_b64 vcc, exec, s[2:3]
	v_fma_f32 v7, v7, v8, 1.0
	v_rcp_f32_e32 v7, v7
	ds_write_b32 v1, v7
	s_cbranch_vccnz .LBB114_9
; %bb.11:                               ;   in Loop: Header=BB114_10 Depth=1
	v_lshlrev_b64 v[8:9], 2, v[2:3]
	v_mov_b32_e32 v3, s11
	v_add_co_u32_e32 v8, vcc, s10, v8
	v_addc_co_u32_e32 v9, vcc, v3, v9, vcc
	global_load_dword v3, v[8:9], off
	s_waitcnt vmcnt(0)
	v_add_f32_e32 v3, v7, v3
	ds_write_b32 v1, v3
	s_branch .LBB114_9
.LBB114_12:
	s_or_b64 exec, exec, s[20:21]
	s_cmp_lt_i32 s17, 1
	s_waitcnt lgkmcnt(0)
	s_barrier
	s_cbranch_scc1 .LBB114_21
; %bb.13:
	s_add_u32 s2, s4, 56
	s_addc_u32 s3, s5, 0
	v_mbcnt_lo_u32_b32 v5, -1, 0
	s_cmp_lg_u64 s[10:11], 0
	v_mbcnt_hi_u32_b32 v5, -1, v5
	v_bfrev_b32_e32 v6, 0.5
	s_cselect_b64 s[8:9], -1, 0
	v_lshlrev_b32_e32 v3, 1, v0
	s_mov_b32 s16, 0
	v_mov_b32_e32 v1, 0
	v_lshl_add_u32 v4, v0, 3, 0
	v_mov_b32_e32 v2, 0
	v_lshl_or_b32 v5, v5, 2, v6
	v_mov_b32_e32 v6, 0xff800000
	s_branch .LBB114_15
.LBB114_14:                             ;   in Loop: Header=BB114_15 Depth=1
	s_lshl_b32 s19, s18, 2
	s_add_i32 s19, s19, 0
	v_mov_b32_e32 v7, s19
	ds_write_b32 v7, v6
	v_mov_b32_e32 v7, s18
	v_cmp_eq_u32_e32 vcc, s16, v0
	s_add_i32 s16, s16, 1
	v_cndmask_b32_e32 v1, v1, v7, vcc
	s_cmp_eq_u32 s16, s17
	v_cndmask_b32_e32 v2, v2, v9, vcc
	s_cbranch_scc1 .LBB114_22
.LBB114_15:                             ; =>This Loop Header: Depth=1
                                        ;     Child Loop BB114_17 Depth 2
	v_mov_b32_e32 v7, s16
	v_mov_b32_e32 v8, 0xff800000
	s_and_saveexec_b64 s[18:19], s[0:1]
	s_cbranch_execz .LBB114_19
; %bb.16:                               ;   in Loop: Header=BB114_15 Depth=1
	s_load_dword s22, s[2:3], 0xc
	s_mov_b64 s[20:21], 0
	v_mov_b32_e32 v7, s16
	v_mov_b32_e32 v8, 0xff800000
	;; [unrolled: 1-line block ×3, first 2 shown]
	s_waitcnt lgkmcnt(0)
	s_and_b32 s22, s22, 0xffff
	s_lshl_b32 s23, s22, 1
	s_lshl_b32 s24, s22, 3
	v_mov_b32_e32 v10, v3
	v_mov_b32_e32 v11, v0
.LBB114_17:                             ;   Parent Loop BB114_15 Depth=1
                                        ; =>  This Inner Loop Header: Depth=2
	ds_read_b64 v[12:13], v9
	v_add_u32_e32 v11, s22, v11
	v_cmp_le_i32_e32 vcc, s7, v11
	s_or_b64 s[20:21], vcc, s[20:21]
	v_add_u32_e32 v14, 1, v10
	s_waitcnt lgkmcnt(0)
	v_cmp_gt_f32_e32 vcc, v12, v8
	v_cndmask_b32_e32 v8, v8, v12, vcc
	v_cndmask_b32_e32 v7, v7, v10, vcc
	v_cmp_gt_f32_e32 vcc, v13, v8
	v_add_u32_e32 v9, s24, v9
	v_cndmask_b32_e32 v8, v8, v13, vcc
	v_add_u32_e32 v10, s23, v10
	v_cndmask_b32_e32 v7, v7, v14, vcc
	s_andn2_b64 exec, exec, s[20:21]
	s_cbranch_execnz .LBB114_17
; %bb.18:                               ;   in Loop: Header=BB114_15 Depth=1
	s_or_b64 exec, exec, s[20:21]
.LBB114_19:                             ;   in Loop: Header=BB114_15 Depth=1
	s_or_b64 exec, exec, s[18:19]
	;;#ASMSTART
	v_max_f32 v9, v8, v8 quad_perm:[1,0,3,2] row_mask:0xf bank_mask:0xf bound_ctrl:1
	;;#ASMEND
	;;#ASMSTART
	v_max_f32 v10, v9, v9 quad_perm:[2,3,0,1] row_mask:0xf bank_mask:0xf bound_ctrl:1
	;;#ASMEND
	;;#ASMSTART
	v_max_f32 v9, v10, v10 row_half_mirror row_mask:0xf bank_mask:0xf bound_ctrl:1
	;;#ASMEND
	;;#ASMSTART
	v_max_f32 v10, v9, v9 row_mirror row_mask:0xf bank_mask:0xf bound_ctrl:1
	;;#ASMEND
	;;#ASMSTART
	v_max_f32 v9, v10, v10 row_ror:4 row_mask:0xf bank_mask:0xf bound_ctrl:1
	;;#ASMEND
	;;#ASMSTART
	v_max_f32 v10, v9, v9 row_ror:8 row_mask:0xf bank_mask:0xf bound_ctrl:1
	;;#ASMEND
	;;#ASMSTART
	v_max_f32 v9, v10, v10 row_bcast:15 row_mask:0xf bank_mask:0xf bound_ctrl:1
	;;#ASMEND
	;;#ASMSTART
	v_max_f32 v10, v9, v9 row_bcast:31 row_mask:0xf bank_mask:0xf bound_ctrl:1
	;;#ASMEND
	ds_bpermute_b32 v9, v5, v10
	s_waitcnt lgkmcnt(0)
	v_cmp_eq_f32_e32 vcc, v8, v9
	s_ff1_i32_b64 s18, vcc
	s_cmp_lg_u64 vcc, 0
	s_cselect_b32 s18, s18, 0
	s_and_b64 vcc, exec, s[8:9]
	v_readlane_b32 s18, v7, s18
	s_cbranch_vccz .LBB114_14
; %bb.20:                               ;   in Loop: Header=BB114_15 Depth=1
	s_ashr_i32 s19, s18, 31
	s_lshl_b64 s[20:21], s[18:19], 2
	s_add_u32 s20, s10, s20
	s_addc_u32 s21, s11, s21
	s_load_dword s19, s[20:21], 0x0
	s_waitcnt lgkmcnt(0)
	v_subrev_f32_e32 v9, s19, v9
	s_branch .LBB114_14
.LBB114_21:
	v_mov_b32_e32 v2, 0
	v_mov_b32_e32 v1, 0
.LBB114_22:
	v_cmp_gt_i32_e32 vcc, s17, v0
	s_and_saveexec_b64 s[0:1], vcc
	s_cbranch_execz .LBB114_25
; %bb.23:
	s_load_dword s2, s[4:5], 0x34
	s_load_dwordx2 s[0:1], s[4:5], 0x20
	s_ashr_i32 s3, s6, 31
	s_load_dword s4, s[4:5], 0x44
	v_mov_b32_e32 v4, s13
	s_waitcnt lgkmcnt(0)
	v_mul_f32_e32 v2, s2, v2
	s_mul_i32 s1, s6, s1
	s_mul_hi_u32 s2, s6, s0
	s_add_i32 s1, s2, s1
	s_mul_i32 s3, s3, s0
	s_add_i32 s5, s1, s3
	s_mul_i32 s2, s6, s0
	s_and_b32 s3, s4, 0xffff
	s_mov_b64 s[0:1], 0
	v_mov_b32_e32 v3, s5
	v_mov_b32_e32 v5, s15
.LBB114_24:                             ; =>This Inner Loop Header: Depth=1
	v_ashrrev_i32_e32 v7, 31, v0
	v_add_co_u32_e32 v6, vcc, s2, v0
	v_addc_co_u32_e32 v7, vcc, v3, v7, vcc
	v_add_u32_e32 v0, s3, v0
	v_cmp_le_i32_e32 vcc, s17, v0
	v_lshlrev_b64 v[6:7], 2, v[6:7]
	s_or_b64 s[0:1], vcc, s[0:1]
	v_add_co_u32_e32 v8, vcc, s12, v6
	v_addc_co_u32_e32 v9, vcc, v4, v7, vcc
	v_add_co_u32_e32 v6, vcc, s14, v6
	v_addc_co_u32_e32 v7, vcc, v5, v7, vcc
	global_store_dword v[8:9], v2, off
	global_store_dword v[6:7], v1, off
	s_andn2_b64 exec, exec, s[0:1]
	s_cbranch_execnz .LBB114_24
.LBB114_25:
	s_endpgm
	.section	.rodata,"a",@progbits
	.p2align	6, 0x0
	.amdhsa_kernel _ZN5aiter20topk_softplus_kernelI6__halffDv2_fLb0ELi1EEEvPKT_PKT0_PfPimiiif
		.amdhsa_group_segment_fixed_size 0
		.amdhsa_private_segment_fixed_size 0
		.amdhsa_kernarg_size 312
		.amdhsa_user_sgpr_count 6
		.amdhsa_user_sgpr_private_segment_buffer 1
		.amdhsa_user_sgpr_dispatch_ptr 0
		.amdhsa_user_sgpr_queue_ptr 0
		.amdhsa_user_sgpr_kernarg_segment_ptr 1
		.amdhsa_user_sgpr_dispatch_id 0
		.amdhsa_user_sgpr_flat_scratch_init 0
		.amdhsa_user_sgpr_kernarg_preload_length 0
		.amdhsa_user_sgpr_kernarg_preload_offset 0
		.amdhsa_user_sgpr_private_segment_size 0
		.amdhsa_uses_dynamic_stack 0
		.amdhsa_system_sgpr_private_segment_wavefront_offset 0
		.amdhsa_system_sgpr_workgroup_id_x 1
		.amdhsa_system_sgpr_workgroup_id_y 0
		.amdhsa_system_sgpr_workgroup_id_z 0
		.amdhsa_system_sgpr_workgroup_info 0
		.amdhsa_system_vgpr_workitem_id 0
		.amdhsa_next_free_vgpr 15
		.amdhsa_next_free_sgpr 30
		.amdhsa_accum_offset 16
		.amdhsa_reserve_vcc 1
		.amdhsa_reserve_flat_scratch 0
		.amdhsa_float_round_mode_32 0
		.amdhsa_float_round_mode_16_64 0
		.amdhsa_float_denorm_mode_32 3
		.amdhsa_float_denorm_mode_16_64 3
		.amdhsa_dx10_clamp 1
		.amdhsa_ieee_mode 1
		.amdhsa_fp16_overflow 0
		.amdhsa_tg_split 0
		.amdhsa_exception_fp_ieee_invalid_op 0
		.amdhsa_exception_fp_denorm_src 0
		.amdhsa_exception_fp_ieee_div_zero 0
		.amdhsa_exception_fp_ieee_overflow 0
		.amdhsa_exception_fp_ieee_underflow 0
		.amdhsa_exception_fp_ieee_inexact 0
		.amdhsa_exception_int_div_zero 0
	.end_amdhsa_kernel
	.section	.text._ZN5aiter20topk_softplus_kernelI6__halffDv2_fLb0ELi1EEEvPKT_PKT0_PfPimiiif,"axG",@progbits,_ZN5aiter20topk_softplus_kernelI6__halffDv2_fLb0ELi1EEEvPKT_PKT0_PfPimiiif,comdat
.Lfunc_end114:
	.size	_ZN5aiter20topk_softplus_kernelI6__halffDv2_fLb0ELi1EEEvPKT_PKT0_PfPimiiif, .Lfunc_end114-_ZN5aiter20topk_softplus_kernelI6__halffDv2_fLb0ELi1EEEvPKT_PKT0_PfPimiiif
                                        ; -- End function
	.section	.AMDGPU.csdata,"",@progbits
; Kernel info:
; codeLenInByte = 1368
; NumSgprs: 34
; NumVgprs: 15
; NumAgprs: 0
; TotalNumVgprs: 15
; ScratchSize: 0
; MemoryBound: 0
; FloatMode: 240
; IeeeMode: 1
; LDSByteSize: 0 bytes/workgroup (compile time only)
; SGPRBlocks: 4
; VGPRBlocks: 1
; NumSGPRsForWavesPerEU: 34
; NumVGPRsForWavesPerEU: 15
; AccumOffset: 16
; Occupancy: 8
; WaveLimiterHint : 0
; COMPUTE_PGM_RSRC2:SCRATCH_EN: 0
; COMPUTE_PGM_RSRC2:USER_SGPR: 6
; COMPUTE_PGM_RSRC2:TRAP_HANDLER: 0
; COMPUTE_PGM_RSRC2:TGID_X_EN: 1
; COMPUTE_PGM_RSRC2:TGID_Y_EN: 0
; COMPUTE_PGM_RSRC2:TGID_Z_EN: 0
; COMPUTE_PGM_RSRC2:TIDIG_COMP_CNT: 0
; COMPUTE_PGM_RSRC3_GFX90A:ACCUM_OFFSET: 3
; COMPUTE_PGM_RSRC3_GFX90A:TG_SPLIT: 0
	.section	.text._ZN5aiter20topk_softplus_kernelI6__halffDv1_fLb1ELi1EEEvPKT_PKT0_PfPimiiif,"axG",@progbits,_ZN5aiter20topk_softplus_kernelI6__halffDv1_fLb1ELi1EEEvPKT_PKT0_PfPimiiif,comdat
	.protected	_ZN5aiter20topk_softplus_kernelI6__halffDv1_fLb1ELi1EEEvPKT_PKT0_PfPimiiif ; -- Begin function _ZN5aiter20topk_softplus_kernelI6__halffDv1_fLb1ELi1EEEvPKT_PKT0_PfPimiiif
	.globl	_ZN5aiter20topk_softplus_kernelI6__halffDv1_fLb1ELi1EEEvPKT_PKT0_PfPimiiif
	.p2align	8
	.type	_ZN5aiter20topk_softplus_kernelI6__halffDv1_fLb1ELi1EEEvPKT_PKT0_PfPimiiif,@function
_ZN5aiter20topk_softplus_kernelI6__halffDv1_fLb1ELi1EEEvPKT_PKT0_PfPimiiif: ; @_ZN5aiter20topk_softplus_kernelI6__halffDv1_fLb1ELi1EEEvPKT_PKT0_PfPimiiif
; %bb.0:
	s_load_dwordx2 s[16:17], s[4:5], 0x28
	s_load_dwordx8 s[8:15], s[4:5], 0x0
	v_lshl_add_u32 v1, v0, 2, 0
	s_waitcnt lgkmcnt(0)
	s_mul_i32 s2, s6, s16
	s_ashr_i32 s3, s2, 31
	s_lshl_b64 s[2:3], s[2:3], 1
	s_add_u32 s7, s8, s2
	v_cmp_gt_i32_e64 s[0:1], s16, v0
	s_addc_u32 s20, s9, s3
	s_and_saveexec_b64 s[8:9], s[0:1]
	s_cbranch_execz .LBB115_5
; %bb.1:
	s_load_dword s21, s[4:5], 0x44
	s_cmp_lg_u64 s[10:11], 0
	s_cselect_b64 s[2:3], -1, 0
	v_cndmask_b32_e64 v2, 0, 1, s[2:3]
	s_mov_b64 s[18:19], 0
	s_waitcnt lgkmcnt(0)
	s_and_b32 s21, s21, 0xffff
	v_lshl_add_u32 v4, v0, 2, 0
	s_lshl_b32 s22, s21, 2
	v_mov_b32_e32 v5, s20
	s_mov_b32 s23, 0xbfb8aa3b
	s_mov_b32 s24, 0xc2fc0000
	v_mov_b32_e32 v6, 0x42800000
	v_mov_b32_e32 v7, 0x1f800000
	v_cmp_ne_u32_e64 s[2:3], 1, v2
	v_mov_b32_e32 v2, v0
	s_branch .LBB115_3
.LBB115_2:                              ;   in Loop: Header=BB115_3 Depth=1
	v_add_u32_e32 v2, s21, v2
	v_cmp_le_i32_e32 vcc, s16, v2
	ds_write_b32 v4, v8
	s_or_b64 s[18:19], vcc, s[18:19]
	v_add_u32_e32 v4, s22, v4
	s_andn2_b64 exec, exec, s[18:19]
	s_cbranch_execz .LBB115_5
.LBB115_3:                              ; =>This Inner Loop Header: Depth=1
	v_ashrrev_i32_e32 v3, 31, v2
	v_lshlrev_b64 v[8:9], 1, v[2:3]
	v_add_co_u32_e32 v8, vcc, s7, v8
	v_addc_co_u32_e32 v9, vcc, v5, v9, vcc
	global_load_ushort v8, v[8:9], off
	s_waitcnt vmcnt(0)
	v_cvt_f32_f16_e32 v9, v8
	v_mul_f32_e32 v9, 0xbfb8aa3b, v9
	v_cmp_gt_f32_e32 vcc, s24, v9
	v_cndmask_b32_e32 v9, 0, v6, vcc
	v_fma_mix_f32 v8, v8, s23, v9 op_sel_hi:[1,0,0]
	v_exp_f32_e32 v8, v8
	v_cndmask_b32_e32 v9, 1.0, v7, vcc
	s_and_b64 vcc, exec, s[2:3]
	v_fma_f32 v8, v8, v9, 1.0
	v_rcp_f32_e32 v8, v8
	s_cbranch_vccnz .LBB115_2
; %bb.4:                                ;   in Loop: Header=BB115_3 Depth=1
	v_lshlrev_b64 v[10:11], 2, v[2:3]
	v_mov_b32_e32 v3, s11
	v_add_co_u32_e32 v10, vcc, s10, v10
	v_addc_co_u32_e32 v11, vcc, v3, v11, vcc
	global_load_dword v3, v[10:11], off
	s_waitcnt vmcnt(0)
	v_add_f32_e32 v8, v8, v3
	s_branch .LBB115_2
.LBB115_5:
	s_or_b64 exec, exec, s[8:9]
	v_add_u32_e32 v2, s16, v0
	v_cmp_gt_i32_e32 vcc, s16, v2
	s_and_saveexec_b64 s[8:9], vcc
	s_cbranch_execz .LBB115_10
; %bb.6:
	s_load_dword s21, s[4:5], 0x44
	s_cmp_lg_u64 s[10:11], 0
	s_cselect_b64 s[2:3], -1, 0
	v_cndmask_b32_e64 v3, 0, 1, s[2:3]
	s_mov_b64 s[18:19], 0
	s_waitcnt lgkmcnt(0)
	s_and_b32 s21, s21, 0xffff
	v_lshl_add_u32 v4, v2, 2, 0
	s_lshl_b32 s22, s21, 2
	v_mov_b32_e32 v5, s20
	s_mov_b32 s20, 0xbfb8aa3b
	s_mov_b32 s23, 0xc2fc0000
	v_mov_b32_e32 v6, 0x42800000
	v_mov_b32_e32 v7, 0x1f800000
	v_cmp_ne_u32_e64 s[2:3], 1, v3
	s_branch .LBB115_8
.LBB115_7:                              ;   in Loop: Header=BB115_8 Depth=1
	v_add_u32_e32 v2, s21, v2
	v_cmp_le_i32_e32 vcc, s16, v2
	s_or_b64 s[18:19], vcc, s[18:19]
	v_add_u32_e32 v4, s22, v4
	s_andn2_b64 exec, exec, s[18:19]
	s_cbranch_execz .LBB115_10
.LBB115_8:                              ; =>This Inner Loop Header: Depth=1
	v_ashrrev_i32_e32 v3, 31, v2
	v_lshlrev_b64 v[8:9], 1, v[2:3]
	v_add_co_u32_e32 v8, vcc, s7, v8
	v_addc_co_u32_e32 v9, vcc, v5, v9, vcc
	global_load_ushort v8, v[8:9], off
	s_waitcnt vmcnt(0)
	v_cvt_f32_f16_e32 v9, v8
	v_mul_f32_e32 v9, 0xbfb8aa3b, v9
	v_cmp_gt_f32_e32 vcc, s23, v9
	v_cndmask_b32_e32 v9, 0, v6, vcc
	v_fma_mix_f32 v8, v8, s20, v9 op_sel_hi:[1,0,0]
	v_exp_f32_e32 v8, v8
	v_cndmask_b32_e32 v9, 1.0, v7, vcc
	s_and_b64 vcc, exec, s[2:3]
	v_fma_f32 v8, v8, v9, 1.0
	v_rcp_f32_e32 v8, v8
	ds_write_b32 v4, v8
	s_cbranch_vccnz .LBB115_7
; %bb.9:                                ;   in Loop: Header=BB115_8 Depth=1
	v_lshlrev_b64 v[10:11], 2, v[2:3]
	v_mov_b32_e32 v3, s11
	v_add_co_u32_e32 v10, vcc, s10, v10
	v_addc_co_u32_e32 v11, vcc, v3, v11, vcc
	global_load_dword v3, v[10:11], off
	s_waitcnt vmcnt(0)
	v_add_f32_e32 v3, v8, v3
	ds_write_b32 v4, v3
	s_branch .LBB115_7
.LBB115_10:
	s_or_b64 exec, exec, s[8:9]
	s_cmp_lt_i32 s17, 1
	v_mov_b32_e32 v3, 0
	s_waitcnt lgkmcnt(0)
	s_barrier
	s_cbranch_scc1 .LBB115_19
; %bb.11:
	s_add_u32 s2, s4, 56
	s_addc_u32 s3, s5, 0
	v_mbcnt_lo_u32_b32 v2, -1, 0
	s_cmp_lg_u64 s[10:11], 0
	v_mbcnt_hi_u32_b32 v2, -1, v2
	v_bfrev_b32_e32 v4, 0.5
	s_cselect_b64 s[8:9], -1, 0
	s_mov_b32 s7, 0
	v_mov_b32_e32 v3, 0
	v_lshl_or_b32 v5, v2, 2, v4
	v_mov_b32_e32 v6, 0xff800000
	v_mov_b32_e32 v2, 0
	;; [unrolled: 1-line block ×3, first 2 shown]
	s_branch .LBB115_13
.LBB115_12:                             ;   in Loop: Header=BB115_13 Depth=1
	s_lshl_b32 s19, s18, 2
	s_add_i32 s19, s19, 0
	v_mov_b32_e32 v7, s19
	ds_write_b32 v7, v6
	v_mov_b32_e32 v7, s18
	v_cmp_eq_u32_e32 vcc, s7, v0
	s_add_i32 s7, s7, 1
	v_cndmask_b32_e32 v2, v2, v7, vcc
	v_cndmask_b32_e32 v3, v3, v9, vcc
	s_cmp_eq_u32 s7, s17
	v_add_f32_e32 v4, v4, v9
	s_cbranch_scc1 .LBB115_20
.LBB115_13:                             ; =>This Loop Header: Depth=1
                                        ;     Child Loop BB115_15 Depth 2
	v_mov_b32_e32 v7, s7
	v_mov_b32_e32 v8, 0xff800000
	s_and_saveexec_b64 s[18:19], s[0:1]
	s_cbranch_execz .LBB115_17
; %bb.14:                               ;   in Loop: Header=BB115_13 Depth=1
	s_load_dword s22, s[2:3], 0xc
	s_mov_b64 s[20:21], 0
	v_mov_b32_e32 v7, s7
	v_mov_b32_e32 v8, 0xff800000
	;; [unrolled: 1-line block ×3, first 2 shown]
	s_waitcnt lgkmcnt(0)
	s_and_b32 s22, s22, 0xffff
	s_lshl_b32 s23, s22, 2
	v_mov_b32_e32 v10, v0
.LBB115_15:                             ;   Parent Loop BB115_13 Depth=1
                                        ; =>  This Inner Loop Header: Depth=2
	ds_read_b32 v11, v9
	v_add_u32_e32 v9, s23, v9
	s_waitcnt lgkmcnt(0)
	v_cmp_gt_f32_e32 vcc, v11, v8
	v_cndmask_b32_e32 v7, v7, v10, vcc
	v_add_u32_e32 v10, s22, v10
	v_cndmask_b32_e32 v8, v8, v11, vcc
	v_cmp_le_i32_e32 vcc, s16, v10
	s_or_b64 s[20:21], vcc, s[20:21]
	s_andn2_b64 exec, exec, s[20:21]
	s_cbranch_execnz .LBB115_15
; %bb.16:                               ;   in Loop: Header=BB115_13 Depth=1
	s_or_b64 exec, exec, s[20:21]
.LBB115_17:                             ;   in Loop: Header=BB115_13 Depth=1
	s_or_b64 exec, exec, s[18:19]
	;;#ASMSTART
	v_max_f32 v9, v8, v8 quad_perm:[1,0,3,2] row_mask:0xf bank_mask:0xf bound_ctrl:1
	;;#ASMEND
	;;#ASMSTART
	v_max_f32 v10, v9, v9 quad_perm:[2,3,0,1] row_mask:0xf bank_mask:0xf bound_ctrl:1
	;;#ASMEND
	;;#ASMSTART
	v_max_f32 v9, v10, v10 row_half_mirror row_mask:0xf bank_mask:0xf bound_ctrl:1
	;;#ASMEND
	;;#ASMSTART
	v_max_f32 v10, v9, v9 row_mirror row_mask:0xf bank_mask:0xf bound_ctrl:1
	;;#ASMEND
	;;#ASMSTART
	v_max_f32 v9, v10, v10 row_ror:4 row_mask:0xf bank_mask:0xf bound_ctrl:1
	;;#ASMEND
	;;#ASMSTART
	v_max_f32 v10, v9, v9 row_ror:8 row_mask:0xf bank_mask:0xf bound_ctrl:1
	;;#ASMEND
	;;#ASMSTART
	v_max_f32 v9, v10, v10 row_bcast:15 row_mask:0xf bank_mask:0xf bound_ctrl:1
	;;#ASMEND
	;;#ASMSTART
	v_max_f32 v10, v9, v9 row_bcast:31 row_mask:0xf bank_mask:0xf bound_ctrl:1
	;;#ASMEND
	ds_bpermute_b32 v9, v5, v10
	s_waitcnt lgkmcnt(0)
	v_cmp_eq_f32_e32 vcc, v8, v9
	s_ff1_i32_b64 s18, vcc
	s_cmp_lg_u64 vcc, 0
	s_cselect_b32 s18, s18, 0
	s_and_b64 vcc, exec, s[8:9]
	v_readlane_b32 s18, v7, s18
	s_cbranch_vccz .LBB115_12
; %bb.18:                               ;   in Loop: Header=BB115_13 Depth=1
	s_ashr_i32 s19, s18, 31
	s_lshl_b64 s[20:21], s[18:19], 2
	s_add_u32 s20, s10, s20
	s_addc_u32 s21, s11, s21
	s_load_dword s19, s[20:21], 0x0
	s_waitcnt lgkmcnt(0)
	v_subrev_f32_e32 v9, s19, v9
	s_branch .LBB115_12
.LBB115_19:
	v_mov_b32_e32 v2, 0
	v_mov_b32_e32 v4, 0
.LBB115_20:
	v_cmp_gt_i32_e32 vcc, s17, v0
	s_and_saveexec_b64 s[0:1], vcc
	s_cbranch_execz .LBB115_23
; %bb.21:
	s_load_dword s2, s[4:5], 0x34
	v_max_f32_e32 v1, v4, v4
	v_max_f32_e32 v1, 0x1e3ce508, v1
	s_load_dword s3, s[4:5], 0x44
	s_waitcnt lgkmcnt(0)
	v_div_scale_f32 v4, s[0:1], v1, v1, s2
	s_load_dwordx2 s[0:1], s[4:5], 0x20
	v_rcp_f32_e32 v5, v4
	v_div_scale_f32 v6, vcc, s2, v1, s2
	s_and_b32 s3, s3, 0xffff
	v_fma_f32 v7, -v4, v5, 1.0
	v_fmac_f32_e32 v5, v7, v5
	v_mul_f32_e32 v7, v6, v5
	v_fma_f32 v8, -v4, v7, v6
	v_fmac_f32_e32 v7, v8, v5
	v_fma_f32 v4, -v4, v7, v6
	v_div_fmas_f32 v4, v4, v5, v7
	v_div_fixup_f32 v1, v4, v1, s2
	s_ashr_i32 s2, s6, 31
	s_waitcnt lgkmcnt(0)
	s_mul_i32 s1, s6, s1
	s_mul_hi_u32 s4, s6, s0
	s_add_i32 s1, s4, s1
	s_mul_i32 s2, s2, s0
	s_add_i32 s4, s1, s2
	v_mul_f32_e32 v1, v3, v1
	s_mul_i32 s2, s6, s0
	s_mov_b64 s[0:1], 0
	v_mov_b32_e32 v3, s4
	v_mov_b32_e32 v4, s13
	;; [unrolled: 1-line block ×3, first 2 shown]
.LBB115_22:                             ; =>This Inner Loop Header: Depth=1
	v_ashrrev_i32_e32 v7, 31, v0
	v_add_co_u32_e32 v6, vcc, s2, v0
	v_addc_co_u32_e32 v7, vcc, v3, v7, vcc
	v_add_u32_e32 v0, s3, v0
	v_cmp_le_i32_e32 vcc, s17, v0
	v_lshlrev_b64 v[6:7], 2, v[6:7]
	s_or_b64 s[0:1], vcc, s[0:1]
	v_add_co_u32_e32 v8, vcc, s12, v6
	v_addc_co_u32_e32 v9, vcc, v4, v7, vcc
	v_add_co_u32_e32 v6, vcc, s14, v6
	v_addc_co_u32_e32 v7, vcc, v5, v7, vcc
	global_store_dword v[8:9], v1, off
	global_store_dword v[6:7], v2, off
	s_andn2_b64 exec, exec, s[0:1]
	s_cbranch_execnz .LBB115_22
.LBB115_23:
	s_endpgm
	.section	.rodata,"a",@progbits
	.p2align	6, 0x0
	.amdhsa_kernel _ZN5aiter20topk_softplus_kernelI6__halffDv1_fLb1ELi1EEEvPKT_PKT0_PfPimiiif
		.amdhsa_group_segment_fixed_size 0
		.amdhsa_private_segment_fixed_size 0
		.amdhsa_kernarg_size 312
		.amdhsa_user_sgpr_count 6
		.amdhsa_user_sgpr_private_segment_buffer 1
		.amdhsa_user_sgpr_dispatch_ptr 0
		.amdhsa_user_sgpr_queue_ptr 0
		.amdhsa_user_sgpr_kernarg_segment_ptr 1
		.amdhsa_user_sgpr_dispatch_id 0
		.amdhsa_user_sgpr_flat_scratch_init 0
		.amdhsa_user_sgpr_kernarg_preload_length 0
		.amdhsa_user_sgpr_kernarg_preload_offset 0
		.amdhsa_user_sgpr_private_segment_size 0
		.amdhsa_uses_dynamic_stack 0
		.amdhsa_system_sgpr_private_segment_wavefront_offset 0
		.amdhsa_system_sgpr_workgroup_id_x 1
		.amdhsa_system_sgpr_workgroup_id_y 0
		.amdhsa_system_sgpr_workgroup_id_z 0
		.amdhsa_system_sgpr_workgroup_info 0
		.amdhsa_system_vgpr_workitem_id 0
		.amdhsa_next_free_vgpr 12
		.amdhsa_next_free_sgpr 25
		.amdhsa_accum_offset 12
		.amdhsa_reserve_vcc 1
		.amdhsa_reserve_flat_scratch 0
		.amdhsa_float_round_mode_32 0
		.amdhsa_float_round_mode_16_64 0
		.amdhsa_float_denorm_mode_32 3
		.amdhsa_float_denorm_mode_16_64 3
		.amdhsa_dx10_clamp 1
		.amdhsa_ieee_mode 1
		.amdhsa_fp16_overflow 0
		.amdhsa_tg_split 0
		.amdhsa_exception_fp_ieee_invalid_op 0
		.amdhsa_exception_fp_denorm_src 0
		.amdhsa_exception_fp_ieee_div_zero 0
		.amdhsa_exception_fp_ieee_overflow 0
		.amdhsa_exception_fp_ieee_underflow 0
		.amdhsa_exception_fp_ieee_inexact 0
		.amdhsa_exception_int_div_zero 0
	.end_amdhsa_kernel
	.section	.text._ZN5aiter20topk_softplus_kernelI6__halffDv1_fLb1ELi1EEEvPKT_PKT0_PfPimiiif,"axG",@progbits,_ZN5aiter20topk_softplus_kernelI6__halffDv1_fLb1ELi1EEEvPKT_PKT0_PfPimiiif,comdat
.Lfunc_end115:
	.size	_ZN5aiter20topk_softplus_kernelI6__halffDv1_fLb1ELi1EEEvPKT_PKT0_PfPimiiif, .Lfunc_end115-_ZN5aiter20topk_softplus_kernelI6__halffDv1_fLb1ELi1EEEvPKT_PKT0_PfPimiiif
                                        ; -- End function
	.section	.AMDGPU.csdata,"",@progbits
; Kernel info:
; codeLenInByte = 1300
; NumSgprs: 29
; NumVgprs: 12
; NumAgprs: 0
; TotalNumVgprs: 12
; ScratchSize: 0
; MemoryBound: 0
; FloatMode: 240
; IeeeMode: 1
; LDSByteSize: 0 bytes/workgroup (compile time only)
; SGPRBlocks: 3
; VGPRBlocks: 1
; NumSGPRsForWavesPerEU: 29
; NumVGPRsForWavesPerEU: 12
; AccumOffset: 12
; Occupancy: 8
; WaveLimiterHint : 0
; COMPUTE_PGM_RSRC2:SCRATCH_EN: 0
; COMPUTE_PGM_RSRC2:USER_SGPR: 6
; COMPUTE_PGM_RSRC2:TRAP_HANDLER: 0
; COMPUTE_PGM_RSRC2:TGID_X_EN: 1
; COMPUTE_PGM_RSRC2:TGID_Y_EN: 0
; COMPUTE_PGM_RSRC2:TGID_Z_EN: 0
; COMPUTE_PGM_RSRC2:TIDIG_COMP_CNT: 0
; COMPUTE_PGM_RSRC3_GFX90A:ACCUM_OFFSET: 2
; COMPUTE_PGM_RSRC3_GFX90A:TG_SPLIT: 0
	.section	.text._ZN5aiter20topk_softplus_kernelI6__halffDv1_fLb0ELi1EEEvPKT_PKT0_PfPimiiif,"axG",@progbits,_ZN5aiter20topk_softplus_kernelI6__halffDv1_fLb0ELi1EEEvPKT_PKT0_PfPimiiif,comdat
	.protected	_ZN5aiter20topk_softplus_kernelI6__halffDv1_fLb0ELi1EEEvPKT_PKT0_PfPimiiif ; -- Begin function _ZN5aiter20topk_softplus_kernelI6__halffDv1_fLb0ELi1EEEvPKT_PKT0_PfPimiiif
	.globl	_ZN5aiter20topk_softplus_kernelI6__halffDv1_fLb0ELi1EEEvPKT_PKT0_PfPimiiif
	.p2align	8
	.type	_ZN5aiter20topk_softplus_kernelI6__halffDv1_fLb0ELi1EEEvPKT_PKT0_PfPimiiif,@function
_ZN5aiter20topk_softplus_kernelI6__halffDv1_fLb0ELi1EEEvPKT_PKT0_PfPimiiif: ; @_ZN5aiter20topk_softplus_kernelI6__halffDv1_fLb0ELi1EEEvPKT_PKT0_PfPimiiif
; %bb.0:
	s_load_dwordx2 s[16:17], s[4:5], 0x28
	s_load_dwordx8 s[8:15], s[4:5], 0x0
	v_lshl_add_u32 v1, v0, 2, 0
	s_waitcnt lgkmcnt(0)
	s_mul_i32 s2, s6, s16
	s_ashr_i32 s3, s2, 31
	s_lshl_b64 s[2:3], s[2:3], 1
	s_add_u32 s7, s8, s2
	v_cmp_gt_i32_e64 s[0:1], s16, v0
	s_addc_u32 s20, s9, s3
	s_and_saveexec_b64 s[8:9], s[0:1]
	s_cbranch_execz .LBB116_5
; %bb.1:
	s_load_dword s21, s[4:5], 0x44
	s_cmp_lg_u64 s[10:11], 0
	s_cselect_b64 s[2:3], -1, 0
	v_cndmask_b32_e64 v2, 0, 1, s[2:3]
	s_mov_b64 s[18:19], 0
	s_waitcnt lgkmcnt(0)
	s_and_b32 s21, s21, 0xffff
	v_lshl_add_u32 v4, v0, 2, 0
	s_lshl_b32 s22, s21, 2
	v_mov_b32_e32 v5, s20
	s_mov_b32 s23, 0xbfb8aa3b
	s_mov_b32 s24, 0xc2fc0000
	v_mov_b32_e32 v6, 0x42800000
	v_mov_b32_e32 v7, 0x1f800000
	v_cmp_ne_u32_e64 s[2:3], 1, v2
	v_mov_b32_e32 v2, v0
	s_branch .LBB116_3
.LBB116_2:                              ;   in Loop: Header=BB116_3 Depth=1
	v_add_u32_e32 v2, s21, v2
	v_cmp_le_i32_e32 vcc, s16, v2
	ds_write_b32 v4, v8
	s_or_b64 s[18:19], vcc, s[18:19]
	v_add_u32_e32 v4, s22, v4
	s_andn2_b64 exec, exec, s[18:19]
	s_cbranch_execz .LBB116_5
.LBB116_3:                              ; =>This Inner Loop Header: Depth=1
	v_ashrrev_i32_e32 v3, 31, v2
	v_lshlrev_b64 v[8:9], 1, v[2:3]
	v_add_co_u32_e32 v8, vcc, s7, v8
	v_addc_co_u32_e32 v9, vcc, v5, v9, vcc
	global_load_ushort v8, v[8:9], off
	s_waitcnt vmcnt(0)
	v_cvt_f32_f16_e32 v9, v8
	v_mul_f32_e32 v9, 0xbfb8aa3b, v9
	v_cmp_gt_f32_e32 vcc, s24, v9
	v_cndmask_b32_e32 v9, 0, v6, vcc
	v_fma_mix_f32 v8, v8, s23, v9 op_sel_hi:[1,0,0]
	v_exp_f32_e32 v8, v8
	v_cndmask_b32_e32 v9, 1.0, v7, vcc
	s_and_b64 vcc, exec, s[2:3]
	v_fma_f32 v8, v8, v9, 1.0
	v_rcp_f32_e32 v8, v8
	s_cbranch_vccnz .LBB116_2
; %bb.4:                                ;   in Loop: Header=BB116_3 Depth=1
	v_lshlrev_b64 v[10:11], 2, v[2:3]
	v_mov_b32_e32 v3, s11
	v_add_co_u32_e32 v10, vcc, s10, v10
	v_addc_co_u32_e32 v11, vcc, v3, v11, vcc
	global_load_dword v3, v[10:11], off
	s_waitcnt vmcnt(0)
	v_add_f32_e32 v8, v8, v3
	s_branch .LBB116_2
.LBB116_5:
	s_or_b64 exec, exec, s[8:9]
	v_add_u32_e32 v2, s16, v0
	v_cmp_gt_i32_e32 vcc, s16, v2
	s_and_saveexec_b64 s[8:9], vcc
	s_cbranch_execz .LBB116_10
; %bb.6:
	s_load_dword s21, s[4:5], 0x44
	s_cmp_lg_u64 s[10:11], 0
	s_cselect_b64 s[2:3], -1, 0
	v_cndmask_b32_e64 v3, 0, 1, s[2:3]
	s_mov_b64 s[18:19], 0
	s_waitcnt lgkmcnt(0)
	s_and_b32 s21, s21, 0xffff
	v_lshl_add_u32 v4, v2, 2, 0
	s_lshl_b32 s22, s21, 2
	v_mov_b32_e32 v5, s20
	s_mov_b32 s20, 0xbfb8aa3b
	s_mov_b32 s23, 0xc2fc0000
	v_mov_b32_e32 v6, 0x42800000
	v_mov_b32_e32 v7, 0x1f800000
	v_cmp_ne_u32_e64 s[2:3], 1, v3
	s_branch .LBB116_8
.LBB116_7:                              ;   in Loop: Header=BB116_8 Depth=1
	v_add_u32_e32 v2, s21, v2
	v_cmp_le_i32_e32 vcc, s16, v2
	s_or_b64 s[18:19], vcc, s[18:19]
	v_add_u32_e32 v4, s22, v4
	s_andn2_b64 exec, exec, s[18:19]
	s_cbranch_execz .LBB116_10
.LBB116_8:                              ; =>This Inner Loop Header: Depth=1
	v_ashrrev_i32_e32 v3, 31, v2
	v_lshlrev_b64 v[8:9], 1, v[2:3]
	v_add_co_u32_e32 v8, vcc, s7, v8
	v_addc_co_u32_e32 v9, vcc, v5, v9, vcc
	global_load_ushort v8, v[8:9], off
	s_waitcnt vmcnt(0)
	v_cvt_f32_f16_e32 v9, v8
	v_mul_f32_e32 v9, 0xbfb8aa3b, v9
	v_cmp_gt_f32_e32 vcc, s23, v9
	v_cndmask_b32_e32 v9, 0, v6, vcc
	v_fma_mix_f32 v8, v8, s20, v9 op_sel_hi:[1,0,0]
	v_exp_f32_e32 v8, v8
	v_cndmask_b32_e32 v9, 1.0, v7, vcc
	s_and_b64 vcc, exec, s[2:3]
	v_fma_f32 v8, v8, v9, 1.0
	v_rcp_f32_e32 v8, v8
	ds_write_b32 v4, v8
	s_cbranch_vccnz .LBB116_7
; %bb.9:                                ;   in Loop: Header=BB116_8 Depth=1
	v_lshlrev_b64 v[10:11], 2, v[2:3]
	v_mov_b32_e32 v3, s11
	v_add_co_u32_e32 v10, vcc, s10, v10
	v_addc_co_u32_e32 v11, vcc, v3, v11, vcc
	global_load_dword v3, v[10:11], off
	s_waitcnt vmcnt(0)
	v_add_f32_e32 v3, v8, v3
	ds_write_b32 v4, v3
	s_branch .LBB116_7
.LBB116_10:
	s_or_b64 exec, exec, s[8:9]
	s_cmp_lt_i32 s17, 1
	s_waitcnt lgkmcnt(0)
	s_barrier
	s_cbranch_scc1 .LBB116_19
; %bb.11:
	s_add_u32 s2, s4, 56
	s_addc_u32 s3, s5, 0
	v_mbcnt_lo_u32_b32 v4, -1, 0
	s_cmp_lg_u64 s[10:11], 0
	v_mbcnt_hi_u32_b32 v4, -1, v4
	v_bfrev_b32_e32 v5, 0.5
	s_cselect_b64 s[8:9], -1, 0
	s_mov_b32 s7, 0
	v_mov_b32_e32 v2, 0
	v_mov_b32_e32 v3, 0
	v_lshl_or_b32 v4, v4, 2, v5
	v_mov_b32_e32 v5, 0xff800000
	s_branch .LBB116_13
.LBB116_12:                             ;   in Loop: Header=BB116_13 Depth=1
	s_lshl_b32 s19, s18, 2
	s_add_i32 s19, s19, 0
	v_mov_b32_e32 v6, s19
	ds_write_b32 v6, v5
	v_mov_b32_e32 v6, s18
	v_cmp_eq_u32_e32 vcc, s7, v0
	s_add_i32 s7, s7, 1
	v_cndmask_b32_e32 v2, v2, v6, vcc
	s_cmp_eq_u32 s7, s17
	v_cndmask_b32_e32 v3, v3, v8, vcc
	s_cbranch_scc1 .LBB116_20
.LBB116_13:                             ; =>This Loop Header: Depth=1
                                        ;     Child Loop BB116_15 Depth 2
	v_mov_b32_e32 v6, s7
	v_mov_b32_e32 v7, 0xff800000
	s_and_saveexec_b64 s[18:19], s[0:1]
	s_cbranch_execz .LBB116_17
; %bb.14:                               ;   in Loop: Header=BB116_13 Depth=1
	s_load_dword s22, s[2:3], 0xc
	s_mov_b64 s[20:21], 0
	v_mov_b32_e32 v6, s7
	v_mov_b32_e32 v7, 0xff800000
	v_mov_b32_e32 v8, v1
	s_waitcnt lgkmcnt(0)
	s_and_b32 s22, s22, 0xffff
	s_lshl_b32 s23, s22, 2
	v_mov_b32_e32 v9, v0
.LBB116_15:                             ;   Parent Loop BB116_13 Depth=1
                                        ; =>  This Inner Loop Header: Depth=2
	ds_read_b32 v10, v8
	v_add_u32_e32 v8, s23, v8
	s_waitcnt lgkmcnt(0)
	v_cmp_gt_f32_e32 vcc, v10, v7
	v_cndmask_b32_e32 v6, v6, v9, vcc
	v_add_u32_e32 v9, s22, v9
	v_cndmask_b32_e32 v7, v7, v10, vcc
	v_cmp_le_i32_e32 vcc, s16, v9
	s_or_b64 s[20:21], vcc, s[20:21]
	s_andn2_b64 exec, exec, s[20:21]
	s_cbranch_execnz .LBB116_15
; %bb.16:                               ;   in Loop: Header=BB116_13 Depth=1
	s_or_b64 exec, exec, s[20:21]
.LBB116_17:                             ;   in Loop: Header=BB116_13 Depth=1
	s_or_b64 exec, exec, s[18:19]
	;;#ASMSTART
	v_max_f32 v8, v7, v7 quad_perm:[1,0,3,2] row_mask:0xf bank_mask:0xf bound_ctrl:1
	;;#ASMEND
	;;#ASMSTART
	v_max_f32 v9, v8, v8 quad_perm:[2,3,0,1] row_mask:0xf bank_mask:0xf bound_ctrl:1
	;;#ASMEND
	;;#ASMSTART
	v_max_f32 v8, v9, v9 row_half_mirror row_mask:0xf bank_mask:0xf bound_ctrl:1
	;;#ASMEND
	;;#ASMSTART
	v_max_f32 v9, v8, v8 row_mirror row_mask:0xf bank_mask:0xf bound_ctrl:1
	;;#ASMEND
	;;#ASMSTART
	v_max_f32 v8, v9, v9 row_ror:4 row_mask:0xf bank_mask:0xf bound_ctrl:1
	;;#ASMEND
	;;#ASMSTART
	v_max_f32 v9, v8, v8 row_ror:8 row_mask:0xf bank_mask:0xf bound_ctrl:1
	;;#ASMEND
	;;#ASMSTART
	v_max_f32 v8, v9, v9 row_bcast:15 row_mask:0xf bank_mask:0xf bound_ctrl:1
	;;#ASMEND
	;;#ASMSTART
	v_max_f32 v9, v8, v8 row_bcast:31 row_mask:0xf bank_mask:0xf bound_ctrl:1
	;;#ASMEND
	ds_bpermute_b32 v8, v4, v9
	s_waitcnt lgkmcnt(0)
	v_cmp_eq_f32_e32 vcc, v7, v8
	s_ff1_i32_b64 s18, vcc
	s_cmp_lg_u64 vcc, 0
	s_cselect_b32 s18, s18, 0
	s_and_b64 vcc, exec, s[8:9]
	v_readlane_b32 s18, v6, s18
	s_cbranch_vccz .LBB116_12
; %bb.18:                               ;   in Loop: Header=BB116_13 Depth=1
	s_ashr_i32 s19, s18, 31
	s_lshl_b64 s[20:21], s[18:19], 2
	s_add_u32 s20, s10, s20
	s_addc_u32 s21, s11, s21
	s_load_dword s19, s[20:21], 0x0
	s_waitcnt lgkmcnt(0)
	v_subrev_f32_e32 v8, s19, v8
	s_branch .LBB116_12
.LBB116_19:
	v_mov_b32_e32 v3, 0
	v_mov_b32_e32 v2, 0
.LBB116_20:
	v_cmp_gt_i32_e32 vcc, s17, v0
	s_and_saveexec_b64 s[0:1], vcc
	s_cbranch_execz .LBB116_23
; %bb.21:
	s_load_dword s2, s[4:5], 0x34
	s_load_dwordx2 s[0:1], s[4:5], 0x20
	s_ashr_i32 s3, s6, 31
	s_load_dword s4, s[4:5], 0x44
	v_mov_b32_e32 v4, s13
	s_waitcnt lgkmcnt(0)
	v_mul_f32_e32 v1, s2, v3
	s_mul_i32 s1, s6, s1
	s_mul_hi_u32 s2, s6, s0
	s_add_i32 s1, s2, s1
	s_mul_i32 s3, s3, s0
	s_add_i32 s5, s1, s3
	s_mul_i32 s2, s6, s0
	s_and_b32 s3, s4, 0xffff
	s_mov_b64 s[0:1], 0
	v_mov_b32_e32 v3, s5
	v_mov_b32_e32 v5, s15
.LBB116_22:                             ; =>This Inner Loop Header: Depth=1
	v_ashrrev_i32_e32 v7, 31, v0
	v_add_co_u32_e32 v6, vcc, s2, v0
	v_addc_co_u32_e32 v7, vcc, v3, v7, vcc
	v_add_u32_e32 v0, s3, v0
	v_cmp_le_i32_e32 vcc, s17, v0
	v_lshlrev_b64 v[6:7], 2, v[6:7]
	s_or_b64 s[0:1], vcc, s[0:1]
	v_add_co_u32_e32 v8, vcc, s12, v6
	v_addc_co_u32_e32 v9, vcc, v4, v7, vcc
	v_add_co_u32_e32 v6, vcc, s14, v6
	v_addc_co_u32_e32 v7, vcc, v5, v7, vcc
	global_store_dword v[8:9], v1, off
	global_store_dword v[6:7], v2, off
	s_andn2_b64 exec, exec, s[0:1]
	s_cbranch_execnz .LBB116_22
.LBB116_23:
	s_endpgm
	.section	.rodata,"a",@progbits
	.p2align	6, 0x0
	.amdhsa_kernel _ZN5aiter20topk_softplus_kernelI6__halffDv1_fLb0ELi1EEEvPKT_PKT0_PfPimiiif
		.amdhsa_group_segment_fixed_size 0
		.amdhsa_private_segment_fixed_size 0
		.amdhsa_kernarg_size 312
		.amdhsa_user_sgpr_count 6
		.amdhsa_user_sgpr_private_segment_buffer 1
		.amdhsa_user_sgpr_dispatch_ptr 0
		.amdhsa_user_sgpr_queue_ptr 0
		.amdhsa_user_sgpr_kernarg_segment_ptr 1
		.amdhsa_user_sgpr_dispatch_id 0
		.amdhsa_user_sgpr_flat_scratch_init 0
		.amdhsa_user_sgpr_kernarg_preload_length 0
		.amdhsa_user_sgpr_kernarg_preload_offset 0
		.amdhsa_user_sgpr_private_segment_size 0
		.amdhsa_uses_dynamic_stack 0
		.amdhsa_system_sgpr_private_segment_wavefront_offset 0
		.amdhsa_system_sgpr_workgroup_id_x 1
		.amdhsa_system_sgpr_workgroup_id_y 0
		.amdhsa_system_sgpr_workgroup_id_z 0
		.amdhsa_system_sgpr_workgroup_info 0
		.amdhsa_system_vgpr_workitem_id 0
		.amdhsa_next_free_vgpr 12
		.amdhsa_next_free_sgpr 25
		.amdhsa_accum_offset 12
		.amdhsa_reserve_vcc 1
		.amdhsa_reserve_flat_scratch 0
		.amdhsa_float_round_mode_32 0
		.amdhsa_float_round_mode_16_64 0
		.amdhsa_float_denorm_mode_32 3
		.amdhsa_float_denorm_mode_16_64 3
		.amdhsa_dx10_clamp 1
		.amdhsa_ieee_mode 1
		.amdhsa_fp16_overflow 0
		.amdhsa_tg_split 0
		.amdhsa_exception_fp_ieee_invalid_op 0
		.amdhsa_exception_fp_denorm_src 0
		.amdhsa_exception_fp_ieee_div_zero 0
		.amdhsa_exception_fp_ieee_overflow 0
		.amdhsa_exception_fp_ieee_underflow 0
		.amdhsa_exception_fp_ieee_inexact 0
		.amdhsa_exception_int_div_zero 0
	.end_amdhsa_kernel
	.section	.text._ZN5aiter20topk_softplus_kernelI6__halffDv1_fLb0ELi1EEEvPKT_PKT0_PfPimiiif,"axG",@progbits,_ZN5aiter20topk_softplus_kernelI6__halffDv1_fLb0ELi1EEEvPKT_PKT0_PfPimiiif,comdat
.Lfunc_end116:
	.size	_ZN5aiter20topk_softplus_kernelI6__halffDv1_fLb0ELi1EEEvPKT_PKT0_PfPimiiif, .Lfunc_end116-_ZN5aiter20topk_softplus_kernelI6__halffDv1_fLb0ELi1EEEvPKT_PKT0_PfPimiiif
                                        ; -- End function
	.section	.AMDGPU.csdata,"",@progbits
; Kernel info:
; codeLenInByte = 1200
; NumSgprs: 29
; NumVgprs: 12
; NumAgprs: 0
; TotalNumVgprs: 12
; ScratchSize: 0
; MemoryBound: 0
; FloatMode: 240
; IeeeMode: 1
; LDSByteSize: 0 bytes/workgroup (compile time only)
; SGPRBlocks: 3
; VGPRBlocks: 1
; NumSGPRsForWavesPerEU: 29
; NumVGPRsForWavesPerEU: 12
; AccumOffset: 12
; Occupancy: 8
; WaveLimiterHint : 0
; COMPUTE_PGM_RSRC2:SCRATCH_EN: 0
; COMPUTE_PGM_RSRC2:USER_SGPR: 6
; COMPUTE_PGM_RSRC2:TRAP_HANDLER: 0
; COMPUTE_PGM_RSRC2:TGID_X_EN: 1
; COMPUTE_PGM_RSRC2:TGID_Y_EN: 0
; COMPUTE_PGM_RSRC2:TGID_Z_EN: 0
; COMPUTE_PGM_RSRC2:TIDIG_COMP_CNT: 0
; COMPUTE_PGM_RSRC3_GFX90A:ACCUM_OFFSET: 2
; COMPUTE_PGM_RSRC3_GFX90A:TG_SPLIT: 0
	.section	.text._ZN5aiter20topk_softplus_kernelI6__halffDv4_fLb1ELi2EEEvPKT_PKT0_PfPimiiif,"axG",@progbits,_ZN5aiter20topk_softplus_kernelI6__halffDv4_fLb1ELi2EEEvPKT_PKT0_PfPimiiif,comdat
	.protected	_ZN5aiter20topk_softplus_kernelI6__halffDv4_fLb1ELi2EEEvPKT_PKT0_PfPimiiif ; -- Begin function _ZN5aiter20topk_softplus_kernelI6__halffDv4_fLb1ELi2EEEvPKT_PKT0_PfPimiiif
	.globl	_ZN5aiter20topk_softplus_kernelI6__halffDv4_fLb1ELi2EEEvPKT_PKT0_PfPimiiif
	.p2align	8
	.type	_ZN5aiter20topk_softplus_kernelI6__halffDv4_fLb1ELi2EEEvPKT_PKT0_PfPimiiif,@function
_ZN5aiter20topk_softplus_kernelI6__halffDv4_fLb1ELi2EEEvPKT_PKT0_PfPimiiif: ; @_ZN5aiter20topk_softplus_kernelI6__halffDv4_fLb1ELi2EEEvPKT_PKT0_PfPimiiif
; %bb.0:
	s_load_dwordx2 s[16:17], s[4:5], 0x28
	s_load_dwordx8 s[8:15], s[4:5], 0x0
	v_lshl_add_u32 v1, v0, 4, 0
	s_waitcnt lgkmcnt(0)
	s_ashr_i32 s0, s16, 31
	s_lshr_b32 s0, s0, 30
	s_add_i32 s0, s16, s0
	s_mul_i32 s2, s6, s16
	s_ashr_i32 s7, s0, 2
	s_ashr_i32 s3, s2, 31
	v_cmp_gt_i32_e64 s[0:1], s7, v0
	s_and_saveexec_b64 s[18:19], s[0:1]
	s_cbranch_execz .LBB117_3
; %bb.1:
	s_load_dword s22, s[4:5], 0x44
	s_lshl_b64 s[20:21], s[2:3], 1
	v_lshlrev_b32_e32 v2, 3, v0
	s_mov_b32 s25, 0
	v_lshl_add_u32 v4, v0, 4, 0
	s_waitcnt lgkmcnt(0)
	s_and_b32 s22, s22, 0xffff
	s_add_u32 s20, s8, s20
	s_addc_u32 s21, s9, s21
	v_mov_b32_e32 v3, s21
	v_add_co_u32_e32 v2, vcc, s20, v2
	v_addc_co_u32_e32 v3, vcc, 0, v3, vcc
	s_lshl_b32 s23, s22, 3
	s_lshl_b32 s24, s22, 4
	s_mov_b64 s[20:21], 0
	v_mov_b32_e32 v5, s25
	v_mov_b32_e32 v6, v0
.LBB117_2:                              ; =>This Inner Loop Header: Depth=1
	global_load_dwordx2 v[12:13], v[2:3], off
	v_add_co_u32_e32 v2, vcc, s23, v2
	v_add_u32_e32 v6, s22, v6
	v_addc_co_u32_e32 v3, vcc, v3, v5, vcc
	v_cmp_le_i32_e32 vcc, s7, v6
	s_or_b64 s[20:21], vcc, s[20:21]
	s_waitcnt vmcnt(0)
	v_cvt_f32_f16_sdwa v9, v12 dst_sel:DWORD dst_unused:UNUSED_PAD src0_sel:WORD_1
	v_cvt_f32_f16_e32 v8, v12
	v_cvt_f32_f16_sdwa v11, v13 dst_sel:DWORD dst_unused:UNUSED_PAD src0_sel:WORD_1
	v_cvt_f32_f16_e32 v10, v13
	ds_write_b128 v4, v[8:11]
	v_add_u32_e32 v4, s24, v4
	s_andn2_b64 exec, exec, s[20:21]
	s_cbranch_execnz .LBB117_2
.LBB117_3:
	s_or_b64 exec, exec, s[18:19]
	v_lshl_add_u32 v2, s7, 2, v0
	v_cmp_gt_i32_e32 vcc, s16, v2
	s_and_saveexec_b64 s[18:19], vcc
	s_cbranch_execz .LBB117_6
; %bb.4:
	s_load_dword s20, s[4:5], 0x44
	s_lshl_b64 s[2:3], s[2:3], 1
	s_add_u32 s8, s8, s2
	s_addc_u32 s21, s9, s3
	s_lshl_b32 s2, s7, 4
	s_waitcnt lgkmcnt(0)
	s_and_b32 s9, s20, 0xffff
	s_add_i32 s2, s2, 0
	v_lshl_add_u32 v4, v0, 2, s2
	s_lshl_b32 s20, s9, 2
	s_mov_b64 s[2:3], 0
	v_mov_b32_e32 v5, s21
.LBB117_5:                              ; =>This Inner Loop Header: Depth=1
	v_ashrrev_i32_e32 v3, 31, v2
	v_lshlrev_b64 v[6:7], 1, v[2:3]
	v_add_co_u32_e32 v6, vcc, s8, v6
	v_addc_co_u32_e32 v7, vcc, v5, v7, vcc
	global_load_ushort v3, v[6:7], off
	v_add_u32_e32 v2, s9, v2
	v_cmp_le_i32_e32 vcc, s16, v2
	s_or_b64 s[2:3], vcc, s[2:3]
	s_waitcnt vmcnt(0)
	v_cvt_f32_f16_e32 v3, v3
	ds_write_b32 v4, v3
	v_add_u32_e32 v4, s20, v4
	s_andn2_b64 exec, exec, s[2:3]
	s_cbranch_execnz .LBB117_5
.LBB117_6:
	s_or_b64 exec, exec, s[18:19]
	v_cmp_gt_i32_e32 vcc, s16, v0
	v_mov_b32_e32 v2, 0xff800000
	s_waitcnt lgkmcnt(0)
	s_barrier
	s_and_saveexec_b64 s[8:9], vcc
	s_cbranch_execz .LBB117_10
; %bb.7:
	s_load_dword s2, s[4:5], 0x44
	v_lshl_add_u32 v3, v0, 2, 0
	s_mov_b64 s[18:19], 0
	v_mov_b32_e32 v2, 0xff800000
	v_mov_b32_e32 v4, v0
	s_waitcnt lgkmcnt(0)
	s_and_b32 s20, s2, 0xffff
	s_lshl_b32 s21, s20, 2
.LBB117_8:                              ; =>This Inner Loop Header: Depth=1
	ds_read_b32 v5, v3
	v_add_u32_e32 v4, s20, v4
	v_max_f32_e32 v2, v2, v2
	v_cmp_le_i32_e64 s[2:3], s16, v4
	v_add_u32_e32 v3, s21, v3
	s_waitcnt lgkmcnt(0)
	v_max_f32_e32 v5, v5, v5
	s_or_b64 s[18:19], s[2:3], s[18:19]
	v_max_f32_e32 v2, v2, v5
	s_andn2_b64 exec, exec, s[18:19]
	s_cbranch_execnz .LBB117_8
; %bb.9:
	s_or_b64 exec, exec, s[18:19]
.LBB117_10:
	s_or_b64 exec, exec, s[8:9]
	;;#ASMSTART
	v_max_f32 v3, v2, v2 quad_perm:[1,0,3,2] row_mask:0xf bank_mask:0xf bound_ctrl:1
	;;#ASMEND
	;;#ASMSTART
	v_max_f32 v2, v3, v3 quad_perm:[2,3,0,1] row_mask:0xf bank_mask:0xf bound_ctrl:1
	;;#ASMEND
	;;#ASMSTART
	v_max_f32 v3, v2, v2 row_half_mirror row_mask:0xf bank_mask:0xf bound_ctrl:1
	;;#ASMEND
	;;#ASMSTART
	v_max_f32 v2, v3, v3 row_mirror row_mask:0xf bank_mask:0xf bound_ctrl:1
	;;#ASMEND
	;;#ASMSTART
	v_max_f32 v3, v2, v2 row_ror:4 row_mask:0xf bank_mask:0xf bound_ctrl:1
	;;#ASMEND
	;;#ASMSTART
	v_max_f32 v2, v3, v3 row_ror:8 row_mask:0xf bank_mask:0xf bound_ctrl:1
	;;#ASMEND
	;;#ASMSTART
	v_max_f32 v3, v2, v2 row_bcast:15 row_mask:0xf bank_mask:0xf bound_ctrl:1
	;;#ASMEND
	;;#ASMSTART
	v_max_f32 v2, v3, v3 row_bcast:31 row_mask:0xf bank_mask:0xf bound_ctrl:1
	;;#ASMEND
	v_mbcnt_lo_u32_b32 v3, -1, 0
	v_mbcnt_hi_u32_b32 v3, -1, v3
	v_bfrev_b32_e32 v4, 0.5
	v_lshl_or_b32 v4, v3, 2, v4
	ds_bpermute_b32 v3, v4, v2
	v_mov_b32_e32 v2, 0
	s_and_saveexec_b64 s[18:19], vcc
	s_cbranch_execz .LBB117_14
; %bb.11:
	s_load_dword s2, s[4:5], 0x44
	v_lshl_add_u32 v5, v0, 2, 0
	s_mov_b64 s[20:21], 0
	v_mov_b32_e32 v2, 0
	s_mov_b32 s22, 0xc2fc0000
	s_waitcnt lgkmcnt(0)
	s_and_b32 s23, s2, 0xffff
	s_lshl_b32 s24, s23, 2
	v_mov_b32_e32 v6, 0x42800000
	v_mov_b32_e32 v7, 0x1f800000
	;; [unrolled: 1-line block ×3, first 2 shown]
.LBB117_12:                             ; =>This Inner Loop Header: Depth=1
	ds_read_b32 v9, v5
	v_add_u32_e32 v8, s23, v8
	v_cmp_le_i32_e64 s[8:9], s16, v8
	s_or_b64 s[20:21], s[8:9], s[20:21]
	s_waitcnt lgkmcnt(0)
	v_sub_f32_e32 v9, v9, v3
	v_mul_f32_e32 v10, 0x3fb8aa3b, v9
	v_cmp_gt_f32_e64 s[2:3], s22, v10
	v_cndmask_b32_e64 v10, 0, v6, s[2:3]
	v_fmac_f32_e32 v10, 0x3fb8aa3b, v9
	v_exp_f32_e32 v9, v10
	v_cndmask_b32_e64 v10, 1.0, v7, s[2:3]
	v_mul_f32_e32 v11, v9, v10
	v_fmac_f32_e32 v2, v9, v10
	ds_write_b32 v5, v11
	v_add_u32_e32 v5, s24, v5
	s_andn2_b64 exec, exec, s[20:21]
	s_cbranch_execnz .LBB117_12
; %bb.13:
	s_or_b64 exec, exec, s[20:21]
.LBB117_14:
	s_or_b64 exec, exec, s[18:19]
	s_waitcnt lgkmcnt(0)
	v_mov_b32_dpp v3, v2 quad_perm:[1,0,3,2] row_mask:0xf bank_mask:0xf
	v_add_f32_e32 v2, v2, v3
	s_nop 1
	v_mov_b32_dpp v3, v2 quad_perm:[2,3,0,1] row_mask:0xf bank_mask:0xf
	v_add_f32_e32 v2, v2, v3
	s_nop 1
	v_mov_b32_dpp v3, v2 row_half_mirror row_mask:0xf bank_mask:0xf
	v_add_f32_e32 v2, v2, v3
	s_nop 1
	v_mov_b32_dpp v3, v2 row_mirror row_mask:0xf bank_mask:0xf
	v_add_f32_e32 v2, v2, v3
	s_nop 1
	v_mov_b32_dpp v3, v2 row_bcast:15 row_mask:0xf bank_mask:0xf
	v_add_f32_e32 v2, v2, v3
	s_nop 1
	v_mov_b32_dpp v3, v2 row_bcast:31 row_mask:0xf bank_mask:0xf
	v_add_f32_e32 v2, v2, v3
	ds_bpermute_b32 v2, v4, v2
	s_and_saveexec_b64 s[8:9], vcc
	s_cbranch_execz .LBB117_19
; %bb.15:
	s_load_dword s20, s[4:5], 0x44
	s_waitcnt lgkmcnt(0)
	v_rcp_f32_e32 v5, v2
	s_cmp_lg_u64 s[10:11], 0
	s_cselect_b64 s[2:3], -1, 0
	v_cndmask_b32_e64 v2, 0, 1, s[2:3]
	s_and_b32 s20, s20, 0xffff
	s_mov_b64 s[18:19], 0
	v_lshl_add_u32 v6, v0, 2, 0
	s_lshl_b32 s21, s20, 2
	v_cmp_ne_u32_e64 s[2:3], 1, v2
	v_mov_b32_e32 v2, v0
	s_branch .LBB117_17
.LBB117_16:                             ;   in Loop: Header=BB117_17 Depth=1
	v_add_u32_e32 v2, s20, v2
	v_cmp_le_i32_e32 vcc, s16, v2
	s_or_b64 s[18:19], vcc, s[18:19]
	v_add_u32_e32 v6, s21, v6
	s_andn2_b64 exec, exec, s[18:19]
	s_cbranch_execz .LBB117_19
.LBB117_17:                             ; =>This Inner Loop Header: Depth=1
	ds_read_b32 v3, v6
	s_and_b64 vcc, exec, s[2:3]
	s_waitcnt lgkmcnt(0)
	v_mul_f32_e32 v7, v5, v3
	ds_write_b32 v6, v7
	s_cbranch_vccnz .LBB117_16
; %bb.18:                               ;   in Loop: Header=BB117_17 Depth=1
	v_ashrrev_i32_e32 v3, 31, v2
	v_lshlrev_b64 v[8:9], 2, v[2:3]
	v_mov_b32_e32 v3, s11
	v_add_co_u32_e32 v8, vcc, s10, v8
	v_addc_co_u32_e32 v9, vcc, v3, v9, vcc
	global_load_dword v3, v[8:9], off
	s_waitcnt vmcnt(0)
	v_add_f32_e32 v3, v7, v3
	ds_write_b32 v6, v3
	s_branch .LBB117_16
.LBB117_19:
	s_or_b64 exec, exec, s[8:9]
	s_cmp_lt_i32 s17, 1
	v_mov_b32_e32 v3, 0
	s_waitcnt lgkmcnt(0)
	s_barrier
	s_cbranch_scc1 .LBB117_28
; %bb.20:
	s_add_u32 s2, s4, 56
	s_addc_u32 s3, s5, 0
	s_cmp_lg_u64 s[10:11], 0
	s_cselect_b64 s[8:9], -1, 0
	v_lshlrev_b32_e32 v6, 2, v0
	s_mov_b32 s16, 0
	v_mov_b32_e32 v3, 0
	v_mov_b32_e32 v7, 0xff800000
	;; [unrolled: 1-line block ×4, first 2 shown]
	s_branch .LBB117_22
.LBB117_21:                             ;   in Loop: Header=BB117_22 Depth=1
	s_lshl_b32 s19, s18, 2
	s_add_i32 s19, s19, 0
	v_mov_b32_e32 v8, s19
	ds_write_b32 v8, v7
	v_mov_b32_e32 v8, s18
	v_cmp_eq_u32_e32 vcc, s16, v0
	s_add_i32 s16, s16, 1
	v_cndmask_b32_e32 v2, v2, v8, vcc
	v_cndmask_b32_e32 v3, v3, v10, vcc
	s_cmp_eq_u32 s16, s17
	v_add_f32_e32 v5, v5, v10
	s_cbranch_scc1 .LBB117_29
.LBB117_22:                             ; =>This Loop Header: Depth=1
                                        ;     Child Loop BB117_24 Depth 2
	v_mov_b32_e32 v8, s16
	v_mov_b32_e32 v9, 0xff800000
	s_and_saveexec_b64 s[18:19], s[0:1]
	s_cbranch_execz .LBB117_26
; %bb.23:                               ;   in Loop: Header=BB117_22 Depth=1
	s_load_dword s22, s[2:3], 0xc
	s_mov_b64 s[20:21], 0
	v_mov_b32_e32 v8, s16
	v_mov_b32_e32 v9, 0xff800000
	;; [unrolled: 1-line block ×3, first 2 shown]
	s_waitcnt lgkmcnt(0)
	s_and_b32 s22, s22, 0xffff
	s_lshl_b32 s23, s22, 2
	s_lshl_b32 s24, s22, 4
	v_mov_b32_e32 v11, v6
	v_mov_b32_e32 v12, v0
.LBB117_24:                             ;   Parent Loop BB117_22 Depth=1
                                        ; =>  This Inner Loop Header: Depth=2
	ds_read_b128 v[14:17], v10
	v_add_u32_e32 v12, s22, v12
	v_cmp_le_i32_e32 vcc, s7, v12
	s_or_b64 s[20:21], vcc, s[20:21]
	v_add_u32_e32 v13, 1, v11
	s_waitcnt lgkmcnt(0)
	v_cmp_gt_f32_e32 vcc, v14, v9
	v_cndmask_b32_e32 v9, v9, v14, vcc
	v_cndmask_b32_e32 v8, v8, v11, vcc
	v_cmp_gt_f32_e32 vcc, v15, v9
	v_cndmask_b32_e32 v9, v9, v15, vcc
	v_cndmask_b32_e32 v8, v8, v13, vcc
	v_cmp_gt_f32_e32 vcc, v16, v9
	v_add_u32_e32 v18, 2, v11
	v_cndmask_b32_e32 v9, v9, v16, vcc
	v_add_u32_e32 v19, 3, v11
	v_cndmask_b32_e32 v8, v8, v18, vcc
	v_cmp_gt_f32_e32 vcc, v17, v9
	v_add_u32_e32 v10, s24, v10
	v_add_u32_e32 v11, s23, v11
	v_cndmask_b32_e32 v9, v9, v17, vcc
	v_cndmask_b32_e32 v8, v8, v19, vcc
	s_andn2_b64 exec, exec, s[20:21]
	s_cbranch_execnz .LBB117_24
; %bb.25:                               ;   in Loop: Header=BB117_22 Depth=1
	s_or_b64 exec, exec, s[20:21]
.LBB117_26:                             ;   in Loop: Header=BB117_22 Depth=1
	s_or_b64 exec, exec, s[18:19]
	;;#ASMSTART
	v_max_f32 v10, v9, v9 quad_perm:[1,0,3,2] row_mask:0xf bank_mask:0xf bound_ctrl:1
	;;#ASMEND
	;;#ASMSTART
	v_max_f32 v11, v10, v10 quad_perm:[2,3,0,1] row_mask:0xf bank_mask:0xf bound_ctrl:1
	;;#ASMEND
	;;#ASMSTART
	v_max_f32 v10, v11, v11 row_half_mirror row_mask:0xf bank_mask:0xf bound_ctrl:1
	;;#ASMEND
	;;#ASMSTART
	v_max_f32 v11, v10, v10 row_mirror row_mask:0xf bank_mask:0xf bound_ctrl:1
	;;#ASMEND
	;;#ASMSTART
	v_max_f32 v10, v11, v11 row_ror:4 row_mask:0xf bank_mask:0xf bound_ctrl:1
	;;#ASMEND
	;;#ASMSTART
	v_max_f32 v11, v10, v10 row_ror:8 row_mask:0xf bank_mask:0xf bound_ctrl:1
	;;#ASMEND
	;;#ASMSTART
	v_max_f32 v10, v11, v11 row_bcast:15 row_mask:0xf bank_mask:0xf bound_ctrl:1
	;;#ASMEND
	;;#ASMSTART
	v_max_f32 v11, v10, v10 row_bcast:31 row_mask:0xf bank_mask:0xf bound_ctrl:1
	;;#ASMEND
	ds_bpermute_b32 v10, v4, v11
	s_waitcnt lgkmcnt(0)
	v_cmp_eq_f32_e32 vcc, v9, v10
	s_ff1_i32_b64 s18, vcc
	s_cmp_lg_u64 vcc, 0
	s_cselect_b32 s18, s18, 0
	s_and_b64 vcc, exec, s[8:9]
	v_readlane_b32 s18, v8, s18
	s_cbranch_vccz .LBB117_21
; %bb.27:                               ;   in Loop: Header=BB117_22 Depth=1
	s_ashr_i32 s19, s18, 31
	s_lshl_b64 s[20:21], s[18:19], 2
	s_add_u32 s20, s10, s20
	s_addc_u32 s21, s11, s21
	s_load_dword s19, s[20:21], 0x0
	s_waitcnt lgkmcnt(0)
	v_subrev_f32_e32 v10, s19, v10
	s_branch .LBB117_21
.LBB117_28:
	v_mov_b32_e32 v2, 0
	v_mov_b32_e32 v5, 0
.LBB117_29:
	v_cmp_gt_i32_e32 vcc, s17, v0
	s_and_saveexec_b64 s[0:1], vcc
	s_cbranch_execz .LBB117_32
; %bb.30:
	s_load_dword s2, s[4:5], 0x34
	v_max_f32_e32 v1, v5, v5
	v_max_f32_e32 v1, 0x1e3ce508, v1
	s_load_dword s3, s[4:5], 0x44
	s_waitcnt lgkmcnt(0)
	v_div_scale_f32 v4, s[0:1], v1, v1, s2
	s_load_dwordx2 s[0:1], s[4:5], 0x20
	v_rcp_f32_e32 v5, v4
	v_div_scale_f32 v6, vcc, s2, v1, s2
	s_and_b32 s3, s3, 0xffff
	v_fma_f32 v7, -v4, v5, 1.0
	v_fmac_f32_e32 v5, v7, v5
	v_mul_f32_e32 v7, v6, v5
	v_fma_f32 v8, -v4, v7, v6
	v_fmac_f32_e32 v7, v8, v5
	v_fma_f32 v4, -v4, v7, v6
	v_div_fmas_f32 v4, v4, v5, v7
	v_div_fixup_f32 v1, v4, v1, s2
	s_ashr_i32 s2, s6, 31
	s_waitcnt lgkmcnt(0)
	s_mul_i32 s1, s6, s1
	s_mul_hi_u32 s4, s6, s0
	s_add_i32 s1, s4, s1
	s_mul_i32 s2, s2, s0
	s_add_i32 s4, s1, s2
	v_mul_f32_e32 v1, v3, v1
	s_mul_i32 s2, s6, s0
	s_mov_b64 s[0:1], 0
	v_mov_b32_e32 v3, s4
	v_mov_b32_e32 v4, s13
	;; [unrolled: 1-line block ×3, first 2 shown]
.LBB117_31:                             ; =>This Inner Loop Header: Depth=1
	v_ashrrev_i32_e32 v7, 31, v0
	v_add_co_u32_e32 v6, vcc, s2, v0
	v_addc_co_u32_e32 v7, vcc, v3, v7, vcc
	v_add_u32_e32 v0, s3, v0
	v_cmp_le_i32_e32 vcc, s17, v0
	v_lshlrev_b64 v[6:7], 2, v[6:7]
	s_or_b64 s[0:1], vcc, s[0:1]
	v_add_co_u32_e32 v8, vcc, s12, v6
	v_addc_co_u32_e32 v9, vcc, v4, v7, vcc
	v_add_co_u32_e32 v6, vcc, s14, v6
	v_addc_co_u32_e32 v7, vcc, v5, v7, vcc
	global_store_dword v[8:9], v1, off
	global_store_dword v[6:7], v2, off
	s_andn2_b64 exec, exec, s[0:1]
	s_cbranch_execnz .LBB117_31
.LBB117_32:
	s_endpgm
	.section	.rodata,"a",@progbits
	.p2align	6, 0x0
	.amdhsa_kernel _ZN5aiter20topk_softplus_kernelI6__halffDv4_fLb1ELi2EEEvPKT_PKT0_PfPimiiif
		.amdhsa_group_segment_fixed_size 0
		.amdhsa_private_segment_fixed_size 0
		.amdhsa_kernarg_size 312
		.amdhsa_user_sgpr_count 6
		.amdhsa_user_sgpr_private_segment_buffer 1
		.amdhsa_user_sgpr_dispatch_ptr 0
		.amdhsa_user_sgpr_queue_ptr 0
		.amdhsa_user_sgpr_kernarg_segment_ptr 1
		.amdhsa_user_sgpr_dispatch_id 0
		.amdhsa_user_sgpr_flat_scratch_init 0
		.amdhsa_user_sgpr_kernarg_preload_length 0
		.amdhsa_user_sgpr_kernarg_preload_offset 0
		.amdhsa_user_sgpr_private_segment_size 0
		.amdhsa_uses_dynamic_stack 0
		.amdhsa_system_sgpr_private_segment_wavefront_offset 0
		.amdhsa_system_sgpr_workgroup_id_x 1
		.amdhsa_system_sgpr_workgroup_id_y 0
		.amdhsa_system_sgpr_workgroup_id_z 0
		.amdhsa_system_sgpr_workgroup_info 0
		.amdhsa_system_vgpr_workitem_id 0
		.amdhsa_next_free_vgpr 20
		.amdhsa_next_free_sgpr 26
		.amdhsa_accum_offset 20
		.amdhsa_reserve_vcc 1
		.amdhsa_reserve_flat_scratch 0
		.amdhsa_float_round_mode_32 0
		.amdhsa_float_round_mode_16_64 0
		.amdhsa_float_denorm_mode_32 3
		.amdhsa_float_denorm_mode_16_64 3
		.amdhsa_dx10_clamp 1
		.amdhsa_ieee_mode 1
		.amdhsa_fp16_overflow 0
		.amdhsa_tg_split 0
		.amdhsa_exception_fp_ieee_invalid_op 0
		.amdhsa_exception_fp_denorm_src 0
		.amdhsa_exception_fp_ieee_div_zero 0
		.amdhsa_exception_fp_ieee_overflow 0
		.amdhsa_exception_fp_ieee_underflow 0
		.amdhsa_exception_fp_ieee_inexact 0
		.amdhsa_exception_int_div_zero 0
	.end_amdhsa_kernel
	.section	.text._ZN5aiter20topk_softplus_kernelI6__halffDv4_fLb1ELi2EEEvPKT_PKT0_PfPimiiif,"axG",@progbits,_ZN5aiter20topk_softplus_kernelI6__halffDv4_fLb1ELi2EEEvPKT_PKT0_PfPimiiif,comdat
.Lfunc_end117:
	.size	_ZN5aiter20topk_softplus_kernelI6__halffDv4_fLb1ELi2EEEvPKT_PKT0_PfPimiiif, .Lfunc_end117-_ZN5aiter20topk_softplus_kernelI6__halffDv4_fLb1ELi2EEEvPKT_PKT0_PfPimiiif
                                        ; -- End function
	.section	.AMDGPU.csdata,"",@progbits
; Kernel info:
; codeLenInByte = 1820
; NumSgprs: 30
; NumVgprs: 20
; NumAgprs: 0
; TotalNumVgprs: 20
; ScratchSize: 0
; MemoryBound: 0
; FloatMode: 240
; IeeeMode: 1
; LDSByteSize: 0 bytes/workgroup (compile time only)
; SGPRBlocks: 3
; VGPRBlocks: 2
; NumSGPRsForWavesPerEU: 30
; NumVGPRsForWavesPerEU: 20
; AccumOffset: 20
; Occupancy: 8
; WaveLimiterHint : 0
; COMPUTE_PGM_RSRC2:SCRATCH_EN: 0
; COMPUTE_PGM_RSRC2:USER_SGPR: 6
; COMPUTE_PGM_RSRC2:TRAP_HANDLER: 0
; COMPUTE_PGM_RSRC2:TGID_X_EN: 1
; COMPUTE_PGM_RSRC2:TGID_Y_EN: 0
; COMPUTE_PGM_RSRC2:TGID_Z_EN: 0
; COMPUTE_PGM_RSRC2:TIDIG_COMP_CNT: 0
; COMPUTE_PGM_RSRC3_GFX90A:ACCUM_OFFSET: 4
; COMPUTE_PGM_RSRC3_GFX90A:TG_SPLIT: 0
	.section	.text._ZN5aiter20topk_softplus_kernelI6__halffDv4_fLb0ELi2EEEvPKT_PKT0_PfPimiiif,"axG",@progbits,_ZN5aiter20topk_softplus_kernelI6__halffDv4_fLb0ELi2EEEvPKT_PKT0_PfPimiiif,comdat
	.protected	_ZN5aiter20topk_softplus_kernelI6__halffDv4_fLb0ELi2EEEvPKT_PKT0_PfPimiiif ; -- Begin function _ZN5aiter20topk_softplus_kernelI6__halffDv4_fLb0ELi2EEEvPKT_PKT0_PfPimiiif
	.globl	_ZN5aiter20topk_softplus_kernelI6__halffDv4_fLb0ELi2EEEvPKT_PKT0_PfPimiiif
	.p2align	8
	.type	_ZN5aiter20topk_softplus_kernelI6__halffDv4_fLb0ELi2EEEvPKT_PKT0_PfPimiiif,@function
_ZN5aiter20topk_softplus_kernelI6__halffDv4_fLb0ELi2EEEvPKT_PKT0_PfPimiiif: ; @_ZN5aiter20topk_softplus_kernelI6__halffDv4_fLb0ELi2EEEvPKT_PKT0_PfPimiiif
; %bb.0:
	s_load_dwordx2 s[16:17], s[4:5], 0x28
	s_load_dwordx8 s[8:15], s[4:5], 0x0
	v_lshl_add_u32 v1, v0, 4, 0
	s_waitcnt lgkmcnt(0)
	s_ashr_i32 s0, s16, 31
	s_lshr_b32 s0, s0, 30
	s_add_i32 s0, s16, s0
	s_mul_i32 s2, s6, s16
	s_ashr_i32 s7, s0, 2
	s_ashr_i32 s3, s2, 31
	v_cmp_gt_i32_e64 s[0:1], s7, v0
	s_and_saveexec_b64 s[18:19], s[0:1]
	s_cbranch_execz .LBB118_3
; %bb.1:
	s_load_dword s22, s[4:5], 0x44
	s_lshl_b64 s[20:21], s[2:3], 1
	v_lshlrev_b32_e32 v2, 3, v0
	s_mov_b32 s25, 0
	v_lshl_add_u32 v4, v0, 4, 0
	s_waitcnt lgkmcnt(0)
	s_and_b32 s22, s22, 0xffff
	s_add_u32 s20, s8, s20
	s_addc_u32 s21, s9, s21
	v_mov_b32_e32 v3, s21
	v_add_co_u32_e32 v2, vcc, s20, v2
	v_addc_co_u32_e32 v3, vcc, 0, v3, vcc
	s_lshl_b32 s23, s22, 3
	s_lshl_b32 s24, s22, 4
	s_mov_b64 s[20:21], 0
	v_mov_b32_e32 v5, s25
	v_mov_b32_e32 v6, v0
.LBB118_2:                              ; =>This Inner Loop Header: Depth=1
	global_load_dwordx2 v[12:13], v[2:3], off
	v_add_co_u32_e32 v2, vcc, s23, v2
	v_add_u32_e32 v6, s22, v6
	v_addc_co_u32_e32 v3, vcc, v3, v5, vcc
	v_cmp_le_i32_e32 vcc, s7, v6
	s_or_b64 s[20:21], vcc, s[20:21]
	s_waitcnt vmcnt(0)
	v_cvt_f32_f16_sdwa v9, v12 dst_sel:DWORD dst_unused:UNUSED_PAD src0_sel:WORD_1
	v_cvt_f32_f16_e32 v8, v12
	v_cvt_f32_f16_sdwa v11, v13 dst_sel:DWORD dst_unused:UNUSED_PAD src0_sel:WORD_1
	v_cvt_f32_f16_e32 v10, v13
	ds_write_b128 v4, v[8:11]
	v_add_u32_e32 v4, s24, v4
	s_andn2_b64 exec, exec, s[20:21]
	s_cbranch_execnz .LBB118_2
.LBB118_3:
	s_or_b64 exec, exec, s[18:19]
	v_lshl_add_u32 v2, s7, 2, v0
	v_cmp_gt_i32_e32 vcc, s16, v2
	s_and_saveexec_b64 s[18:19], vcc
	s_cbranch_execz .LBB118_6
; %bb.4:
	s_load_dword s20, s[4:5], 0x44
	s_lshl_b64 s[2:3], s[2:3], 1
	s_add_u32 s8, s8, s2
	s_addc_u32 s21, s9, s3
	s_lshl_b32 s2, s7, 4
	s_waitcnt lgkmcnt(0)
	s_and_b32 s9, s20, 0xffff
	s_add_i32 s2, s2, 0
	v_lshl_add_u32 v4, v0, 2, s2
	s_lshl_b32 s20, s9, 2
	s_mov_b64 s[2:3], 0
	v_mov_b32_e32 v5, s21
.LBB118_5:                              ; =>This Inner Loop Header: Depth=1
	v_ashrrev_i32_e32 v3, 31, v2
	v_lshlrev_b64 v[6:7], 1, v[2:3]
	v_add_co_u32_e32 v6, vcc, s8, v6
	v_addc_co_u32_e32 v7, vcc, v5, v7, vcc
	global_load_ushort v3, v[6:7], off
	v_add_u32_e32 v2, s9, v2
	v_cmp_le_i32_e32 vcc, s16, v2
	s_or_b64 s[2:3], vcc, s[2:3]
	s_waitcnt vmcnt(0)
	v_cvt_f32_f16_e32 v3, v3
	ds_write_b32 v4, v3
	v_add_u32_e32 v4, s20, v4
	s_andn2_b64 exec, exec, s[2:3]
	s_cbranch_execnz .LBB118_5
.LBB118_6:
	s_or_b64 exec, exec, s[18:19]
	v_cmp_gt_i32_e32 vcc, s16, v0
	v_mov_b32_e32 v2, 0xff800000
	s_waitcnt lgkmcnt(0)
	s_barrier
	s_and_saveexec_b64 s[8:9], vcc
	s_cbranch_execz .LBB118_10
; %bb.7:
	s_load_dword s2, s[4:5], 0x44
	v_lshl_add_u32 v3, v0, 2, 0
	s_mov_b64 s[18:19], 0
	v_mov_b32_e32 v2, 0xff800000
	v_mov_b32_e32 v4, v0
	s_waitcnt lgkmcnt(0)
	s_and_b32 s20, s2, 0xffff
	s_lshl_b32 s21, s20, 2
.LBB118_8:                              ; =>This Inner Loop Header: Depth=1
	ds_read_b32 v5, v3
	v_add_u32_e32 v4, s20, v4
	v_max_f32_e32 v2, v2, v2
	v_cmp_le_i32_e64 s[2:3], s16, v4
	v_add_u32_e32 v3, s21, v3
	s_waitcnt lgkmcnt(0)
	v_max_f32_e32 v5, v5, v5
	s_or_b64 s[18:19], s[2:3], s[18:19]
	v_max_f32_e32 v2, v2, v5
	s_andn2_b64 exec, exec, s[18:19]
	s_cbranch_execnz .LBB118_8
; %bb.9:
	s_or_b64 exec, exec, s[18:19]
.LBB118_10:
	s_or_b64 exec, exec, s[8:9]
	;;#ASMSTART
	v_max_f32 v3, v2, v2 quad_perm:[1,0,3,2] row_mask:0xf bank_mask:0xf bound_ctrl:1
	;;#ASMEND
	;;#ASMSTART
	v_max_f32 v2, v3, v3 quad_perm:[2,3,0,1] row_mask:0xf bank_mask:0xf bound_ctrl:1
	;;#ASMEND
	;;#ASMSTART
	v_max_f32 v3, v2, v2 row_half_mirror row_mask:0xf bank_mask:0xf bound_ctrl:1
	;;#ASMEND
	;;#ASMSTART
	v_max_f32 v2, v3, v3 row_mirror row_mask:0xf bank_mask:0xf bound_ctrl:1
	;;#ASMEND
	;;#ASMSTART
	v_max_f32 v3, v2, v2 row_ror:4 row_mask:0xf bank_mask:0xf bound_ctrl:1
	;;#ASMEND
	;;#ASMSTART
	v_max_f32 v2, v3, v3 row_ror:8 row_mask:0xf bank_mask:0xf bound_ctrl:1
	;;#ASMEND
	;;#ASMSTART
	v_max_f32 v3, v2, v2 row_bcast:15 row_mask:0xf bank_mask:0xf bound_ctrl:1
	;;#ASMEND
	;;#ASMSTART
	v_max_f32 v2, v3, v3 row_bcast:31 row_mask:0xf bank_mask:0xf bound_ctrl:1
	;;#ASMEND
	v_mbcnt_lo_u32_b32 v3, -1, 0
	v_mbcnt_hi_u32_b32 v3, -1, v3
	v_bfrev_b32_e32 v4, 0.5
	v_lshl_or_b32 v4, v3, 2, v4
	ds_bpermute_b32 v3, v4, v2
	v_mov_b32_e32 v2, 0
	s_and_saveexec_b64 s[18:19], vcc
	s_cbranch_execz .LBB118_14
; %bb.11:
	s_load_dword s2, s[4:5], 0x44
	v_lshl_add_u32 v5, v0, 2, 0
	s_mov_b64 s[20:21], 0
	v_mov_b32_e32 v2, 0
	s_mov_b32 s22, 0xc2fc0000
	s_waitcnt lgkmcnt(0)
	s_and_b32 s23, s2, 0xffff
	s_lshl_b32 s24, s23, 2
	v_mov_b32_e32 v6, 0x42800000
	v_mov_b32_e32 v7, 0x1f800000
	;; [unrolled: 1-line block ×3, first 2 shown]
.LBB118_12:                             ; =>This Inner Loop Header: Depth=1
	ds_read_b32 v9, v5
	v_add_u32_e32 v8, s23, v8
	v_cmp_le_i32_e64 s[8:9], s16, v8
	s_or_b64 s[20:21], s[8:9], s[20:21]
	s_waitcnt lgkmcnt(0)
	v_sub_f32_e32 v9, v9, v3
	v_mul_f32_e32 v10, 0x3fb8aa3b, v9
	v_cmp_gt_f32_e64 s[2:3], s22, v10
	v_cndmask_b32_e64 v10, 0, v6, s[2:3]
	v_fmac_f32_e32 v10, 0x3fb8aa3b, v9
	v_exp_f32_e32 v9, v10
	v_cndmask_b32_e64 v10, 1.0, v7, s[2:3]
	v_mul_f32_e32 v11, v9, v10
	v_fmac_f32_e32 v2, v9, v10
	ds_write_b32 v5, v11
	v_add_u32_e32 v5, s24, v5
	s_andn2_b64 exec, exec, s[20:21]
	s_cbranch_execnz .LBB118_12
; %bb.13:
	s_or_b64 exec, exec, s[20:21]
.LBB118_14:
	s_or_b64 exec, exec, s[18:19]
	s_waitcnt lgkmcnt(0)
	v_mov_b32_dpp v3, v2 quad_perm:[1,0,3,2] row_mask:0xf bank_mask:0xf
	v_add_f32_e32 v2, v2, v3
	s_nop 1
	v_mov_b32_dpp v3, v2 quad_perm:[2,3,0,1] row_mask:0xf bank_mask:0xf
	v_add_f32_e32 v2, v2, v3
	s_nop 1
	v_mov_b32_dpp v3, v2 row_half_mirror row_mask:0xf bank_mask:0xf
	v_add_f32_e32 v2, v2, v3
	s_nop 1
	v_mov_b32_dpp v3, v2 row_mirror row_mask:0xf bank_mask:0xf
	v_add_f32_e32 v2, v2, v3
	s_nop 1
	v_mov_b32_dpp v3, v2 row_bcast:15 row_mask:0xf bank_mask:0xf
	v_add_f32_e32 v2, v2, v3
	s_nop 1
	v_mov_b32_dpp v3, v2 row_bcast:31 row_mask:0xf bank_mask:0xf
	v_add_f32_e32 v2, v2, v3
	ds_bpermute_b32 v2, v4, v2
	s_and_saveexec_b64 s[8:9], vcc
	s_cbranch_execz .LBB118_19
; %bb.15:
	s_load_dword s20, s[4:5], 0x44
	s_waitcnt lgkmcnt(0)
	v_rcp_f32_e32 v5, v2
	s_cmp_lg_u64 s[10:11], 0
	s_cselect_b64 s[2:3], -1, 0
	v_cndmask_b32_e64 v2, 0, 1, s[2:3]
	s_and_b32 s20, s20, 0xffff
	s_mov_b64 s[18:19], 0
	v_lshl_add_u32 v6, v0, 2, 0
	s_lshl_b32 s21, s20, 2
	v_cmp_ne_u32_e64 s[2:3], 1, v2
	v_mov_b32_e32 v2, v0
	s_branch .LBB118_17
.LBB118_16:                             ;   in Loop: Header=BB118_17 Depth=1
	v_add_u32_e32 v2, s20, v2
	v_cmp_le_i32_e32 vcc, s16, v2
	s_or_b64 s[18:19], vcc, s[18:19]
	v_add_u32_e32 v6, s21, v6
	s_andn2_b64 exec, exec, s[18:19]
	s_cbranch_execz .LBB118_19
.LBB118_17:                             ; =>This Inner Loop Header: Depth=1
	ds_read_b32 v3, v6
	s_and_b64 vcc, exec, s[2:3]
	s_waitcnt lgkmcnt(0)
	v_mul_f32_e32 v7, v5, v3
	ds_write_b32 v6, v7
	s_cbranch_vccnz .LBB118_16
; %bb.18:                               ;   in Loop: Header=BB118_17 Depth=1
	v_ashrrev_i32_e32 v3, 31, v2
	v_lshlrev_b64 v[8:9], 2, v[2:3]
	v_mov_b32_e32 v3, s11
	v_add_co_u32_e32 v8, vcc, s10, v8
	v_addc_co_u32_e32 v9, vcc, v3, v9, vcc
	global_load_dword v3, v[8:9], off
	s_waitcnt vmcnt(0)
	v_add_f32_e32 v3, v7, v3
	ds_write_b32 v6, v3
	s_branch .LBB118_16
.LBB118_19:
	s_or_b64 exec, exec, s[8:9]
	s_cmp_lt_i32 s17, 1
	s_waitcnt lgkmcnt(0)
	s_barrier
	s_cbranch_scc1 .LBB118_28
; %bb.20:
	s_add_u32 s2, s4, 56
	s_addc_u32 s3, s5, 0
	s_cmp_lg_u64 s[10:11], 0
	s_cselect_b64 s[8:9], -1, 0
	v_lshlrev_b32_e32 v5, 2, v0
	s_mov_b32 s16, 0
	v_mov_b32_e32 v2, 0
	v_mov_b32_e32 v3, 0
	;; [unrolled: 1-line block ×3, first 2 shown]
	s_branch .LBB118_22
.LBB118_21:                             ;   in Loop: Header=BB118_22 Depth=1
	s_lshl_b32 s19, s18, 2
	s_add_i32 s19, s19, 0
	v_mov_b32_e32 v7, s19
	ds_write_b32 v7, v6
	v_mov_b32_e32 v7, s18
	v_cmp_eq_u32_e32 vcc, s16, v0
	s_add_i32 s16, s16, 1
	v_cndmask_b32_e32 v2, v2, v7, vcc
	s_cmp_eq_u32 s16, s17
	v_cndmask_b32_e32 v3, v3, v9, vcc
	s_cbranch_scc1 .LBB118_29
.LBB118_22:                             ; =>This Loop Header: Depth=1
                                        ;     Child Loop BB118_24 Depth 2
	v_mov_b32_e32 v7, s16
	v_mov_b32_e32 v8, 0xff800000
	s_and_saveexec_b64 s[18:19], s[0:1]
	s_cbranch_execz .LBB118_26
; %bb.23:                               ;   in Loop: Header=BB118_22 Depth=1
	s_load_dword s22, s[2:3], 0xc
	s_mov_b64 s[20:21], 0
	v_mov_b32_e32 v7, s16
	v_mov_b32_e32 v8, 0xff800000
	;; [unrolled: 1-line block ×3, first 2 shown]
	s_waitcnt lgkmcnt(0)
	s_and_b32 s22, s22, 0xffff
	s_lshl_b32 s23, s22, 2
	s_lshl_b32 s24, s22, 4
	v_mov_b32_e32 v10, v5
	v_mov_b32_e32 v11, v0
.LBB118_24:                             ;   Parent Loop BB118_22 Depth=1
                                        ; =>  This Inner Loop Header: Depth=2
	ds_read_b128 v[12:15], v9
	v_add_u32_e32 v11, s22, v11
	v_cmp_le_i32_e32 vcc, s7, v11
	s_or_b64 s[20:21], vcc, s[20:21]
	v_add_u32_e32 v16, 1, v10
	s_waitcnt lgkmcnt(0)
	v_cmp_gt_f32_e32 vcc, v12, v8
	v_cndmask_b32_e32 v8, v8, v12, vcc
	v_cndmask_b32_e32 v7, v7, v10, vcc
	v_cmp_gt_f32_e32 vcc, v13, v8
	v_cndmask_b32_e32 v8, v8, v13, vcc
	v_cndmask_b32_e32 v7, v7, v16, vcc
	v_cmp_gt_f32_e32 vcc, v14, v8
	v_add_u32_e32 v17, 2, v10
	v_cndmask_b32_e32 v8, v8, v14, vcc
	v_add_u32_e32 v18, 3, v10
	v_cndmask_b32_e32 v7, v7, v17, vcc
	v_cmp_gt_f32_e32 vcc, v15, v8
	v_add_u32_e32 v9, s24, v9
	v_add_u32_e32 v10, s23, v10
	v_cndmask_b32_e32 v8, v8, v15, vcc
	v_cndmask_b32_e32 v7, v7, v18, vcc
	s_andn2_b64 exec, exec, s[20:21]
	s_cbranch_execnz .LBB118_24
; %bb.25:                               ;   in Loop: Header=BB118_22 Depth=1
	s_or_b64 exec, exec, s[20:21]
.LBB118_26:                             ;   in Loop: Header=BB118_22 Depth=1
	s_or_b64 exec, exec, s[18:19]
	;;#ASMSTART
	v_max_f32 v9, v8, v8 quad_perm:[1,0,3,2] row_mask:0xf bank_mask:0xf bound_ctrl:1
	;;#ASMEND
	;;#ASMSTART
	v_max_f32 v10, v9, v9 quad_perm:[2,3,0,1] row_mask:0xf bank_mask:0xf bound_ctrl:1
	;;#ASMEND
	;;#ASMSTART
	v_max_f32 v9, v10, v10 row_half_mirror row_mask:0xf bank_mask:0xf bound_ctrl:1
	;;#ASMEND
	;;#ASMSTART
	v_max_f32 v10, v9, v9 row_mirror row_mask:0xf bank_mask:0xf bound_ctrl:1
	;;#ASMEND
	;;#ASMSTART
	v_max_f32 v9, v10, v10 row_ror:4 row_mask:0xf bank_mask:0xf bound_ctrl:1
	;;#ASMEND
	;;#ASMSTART
	v_max_f32 v10, v9, v9 row_ror:8 row_mask:0xf bank_mask:0xf bound_ctrl:1
	;;#ASMEND
	;;#ASMSTART
	v_max_f32 v9, v10, v10 row_bcast:15 row_mask:0xf bank_mask:0xf bound_ctrl:1
	;;#ASMEND
	;;#ASMSTART
	v_max_f32 v10, v9, v9 row_bcast:31 row_mask:0xf bank_mask:0xf bound_ctrl:1
	;;#ASMEND
	ds_bpermute_b32 v9, v4, v10
	s_waitcnt lgkmcnt(0)
	v_cmp_eq_f32_e32 vcc, v8, v9
	s_ff1_i32_b64 s18, vcc
	s_cmp_lg_u64 vcc, 0
	s_cselect_b32 s18, s18, 0
	s_and_b64 vcc, exec, s[8:9]
	v_readlane_b32 s18, v7, s18
	s_cbranch_vccz .LBB118_21
; %bb.27:                               ;   in Loop: Header=BB118_22 Depth=1
	s_ashr_i32 s19, s18, 31
	s_lshl_b64 s[20:21], s[18:19], 2
	s_add_u32 s20, s10, s20
	s_addc_u32 s21, s11, s21
	s_load_dword s19, s[20:21], 0x0
	s_waitcnt lgkmcnt(0)
	v_subrev_f32_e32 v9, s19, v9
	s_branch .LBB118_21
.LBB118_28:
	v_mov_b32_e32 v3, 0
	v_mov_b32_e32 v2, 0
.LBB118_29:
	v_cmp_gt_i32_e32 vcc, s17, v0
	s_and_saveexec_b64 s[0:1], vcc
	s_cbranch_execz .LBB118_32
; %bb.30:
	s_load_dword s2, s[4:5], 0x34
	s_load_dwordx2 s[0:1], s[4:5], 0x20
	s_ashr_i32 s3, s6, 31
	s_load_dword s4, s[4:5], 0x44
	v_mov_b32_e32 v4, s13
	s_waitcnt lgkmcnt(0)
	v_mul_f32_e32 v1, s2, v3
	s_mul_i32 s1, s6, s1
	s_mul_hi_u32 s2, s6, s0
	s_add_i32 s1, s2, s1
	s_mul_i32 s3, s3, s0
	s_add_i32 s5, s1, s3
	s_mul_i32 s2, s6, s0
	s_and_b32 s3, s4, 0xffff
	s_mov_b64 s[0:1], 0
	v_mov_b32_e32 v3, s5
	v_mov_b32_e32 v5, s15
.LBB118_31:                             ; =>This Inner Loop Header: Depth=1
	v_ashrrev_i32_e32 v7, 31, v0
	v_add_co_u32_e32 v6, vcc, s2, v0
	v_addc_co_u32_e32 v7, vcc, v3, v7, vcc
	v_add_u32_e32 v0, s3, v0
	v_cmp_le_i32_e32 vcc, s17, v0
	v_lshlrev_b64 v[6:7], 2, v[6:7]
	s_or_b64 s[0:1], vcc, s[0:1]
	v_add_co_u32_e32 v8, vcc, s12, v6
	v_addc_co_u32_e32 v9, vcc, v4, v7, vcc
	v_add_co_u32_e32 v6, vcc, s14, v6
	v_addc_co_u32_e32 v7, vcc, v5, v7, vcc
	global_store_dword v[8:9], v1, off
	global_store_dword v[6:7], v2, off
	s_andn2_b64 exec, exec, s[0:1]
	s_cbranch_execnz .LBB118_31
.LBB118_32:
	s_endpgm
	.section	.rodata,"a",@progbits
	.p2align	6, 0x0
	.amdhsa_kernel _ZN5aiter20topk_softplus_kernelI6__halffDv4_fLb0ELi2EEEvPKT_PKT0_PfPimiiif
		.amdhsa_group_segment_fixed_size 0
		.amdhsa_private_segment_fixed_size 0
		.amdhsa_kernarg_size 312
		.amdhsa_user_sgpr_count 6
		.amdhsa_user_sgpr_private_segment_buffer 1
		.amdhsa_user_sgpr_dispatch_ptr 0
		.amdhsa_user_sgpr_queue_ptr 0
		.amdhsa_user_sgpr_kernarg_segment_ptr 1
		.amdhsa_user_sgpr_dispatch_id 0
		.amdhsa_user_sgpr_flat_scratch_init 0
		.amdhsa_user_sgpr_kernarg_preload_length 0
		.amdhsa_user_sgpr_kernarg_preload_offset 0
		.amdhsa_user_sgpr_private_segment_size 0
		.amdhsa_uses_dynamic_stack 0
		.amdhsa_system_sgpr_private_segment_wavefront_offset 0
		.amdhsa_system_sgpr_workgroup_id_x 1
		.amdhsa_system_sgpr_workgroup_id_y 0
		.amdhsa_system_sgpr_workgroup_id_z 0
		.amdhsa_system_sgpr_workgroup_info 0
		.amdhsa_system_vgpr_workitem_id 0
		.amdhsa_next_free_vgpr 19
		.amdhsa_next_free_sgpr 26
		.amdhsa_accum_offset 20
		.amdhsa_reserve_vcc 1
		.amdhsa_reserve_flat_scratch 0
		.amdhsa_float_round_mode_32 0
		.amdhsa_float_round_mode_16_64 0
		.amdhsa_float_denorm_mode_32 3
		.amdhsa_float_denorm_mode_16_64 3
		.amdhsa_dx10_clamp 1
		.amdhsa_ieee_mode 1
		.amdhsa_fp16_overflow 0
		.amdhsa_tg_split 0
		.amdhsa_exception_fp_ieee_invalid_op 0
		.amdhsa_exception_fp_denorm_src 0
		.amdhsa_exception_fp_ieee_div_zero 0
		.amdhsa_exception_fp_ieee_overflow 0
		.amdhsa_exception_fp_ieee_underflow 0
		.amdhsa_exception_fp_ieee_inexact 0
		.amdhsa_exception_int_div_zero 0
	.end_amdhsa_kernel
	.section	.text._ZN5aiter20topk_softplus_kernelI6__halffDv4_fLb0ELi2EEEvPKT_PKT0_PfPimiiif,"axG",@progbits,_ZN5aiter20topk_softplus_kernelI6__halffDv4_fLb0ELi2EEEvPKT_PKT0_PfPimiiif,comdat
.Lfunc_end118:
	.size	_ZN5aiter20topk_softplus_kernelI6__halffDv4_fLb0ELi2EEEvPKT_PKT0_PfPimiiif, .Lfunc_end118-_ZN5aiter20topk_softplus_kernelI6__halffDv4_fLb0ELi2EEEvPKT_PKT0_PfPimiiif
                                        ; -- End function
	.section	.AMDGPU.csdata,"",@progbits
; Kernel info:
; codeLenInByte = 1720
; NumSgprs: 30
; NumVgprs: 19
; NumAgprs: 0
; TotalNumVgprs: 19
; ScratchSize: 0
; MemoryBound: 0
; FloatMode: 240
; IeeeMode: 1
; LDSByteSize: 0 bytes/workgroup (compile time only)
; SGPRBlocks: 3
; VGPRBlocks: 2
; NumSGPRsForWavesPerEU: 30
; NumVGPRsForWavesPerEU: 19
; AccumOffset: 20
; Occupancy: 8
; WaveLimiterHint : 0
; COMPUTE_PGM_RSRC2:SCRATCH_EN: 0
; COMPUTE_PGM_RSRC2:USER_SGPR: 6
; COMPUTE_PGM_RSRC2:TRAP_HANDLER: 0
; COMPUTE_PGM_RSRC2:TGID_X_EN: 1
; COMPUTE_PGM_RSRC2:TGID_Y_EN: 0
; COMPUTE_PGM_RSRC2:TGID_Z_EN: 0
; COMPUTE_PGM_RSRC2:TIDIG_COMP_CNT: 0
; COMPUTE_PGM_RSRC3_GFX90A:ACCUM_OFFSET: 4
; COMPUTE_PGM_RSRC3_GFX90A:TG_SPLIT: 0
	.section	.text._ZN5aiter20topk_softplus_kernelI6__halffDv2_fLb1ELi2EEEvPKT_PKT0_PfPimiiif,"axG",@progbits,_ZN5aiter20topk_softplus_kernelI6__halffDv2_fLb1ELi2EEEvPKT_PKT0_PfPimiiif,comdat
	.protected	_ZN5aiter20topk_softplus_kernelI6__halffDv2_fLb1ELi2EEEvPKT_PKT0_PfPimiiif ; -- Begin function _ZN5aiter20topk_softplus_kernelI6__halffDv2_fLb1ELi2EEEvPKT_PKT0_PfPimiiif
	.globl	_ZN5aiter20topk_softplus_kernelI6__halffDv2_fLb1ELi2EEEvPKT_PKT0_PfPimiiif
	.p2align	8
	.type	_ZN5aiter20topk_softplus_kernelI6__halffDv2_fLb1ELi2EEEvPKT_PKT0_PfPimiiif,@function
_ZN5aiter20topk_softplus_kernelI6__halffDv2_fLb1ELi2EEEvPKT_PKT0_PfPimiiif: ; @_ZN5aiter20topk_softplus_kernelI6__halffDv2_fLb1ELi2EEEvPKT_PKT0_PfPimiiif
; %bb.0:
	s_load_dwordx2 s[16:17], s[4:5], 0x28
	s_load_dwordx8 s[8:15], s[4:5], 0x0
	v_lshl_add_u32 v1, v0, 3, 0
	s_waitcnt lgkmcnt(0)
	s_lshr_b32 s0, s16, 31
	s_add_i32 s0, s16, s0
	s_mul_i32 s2, s6, s16
	s_ashr_i32 s7, s0, 1
	s_ashr_i32 s3, s2, 31
	v_cmp_gt_i32_e64 s[0:1], s7, v0
	s_and_saveexec_b64 s[18:19], s[0:1]
	s_cbranch_execz .LBB119_3
; %bb.1:
	s_load_dword s22, s[4:5], 0x44
	s_lshl_b64 s[20:21], s[2:3], 1
	v_lshlrev_b32_e32 v2, 2, v0
	s_mov_b32 s25, 0
	v_lshl_add_u32 v4, v0, 3, 0
	s_waitcnt lgkmcnt(0)
	s_and_b32 s22, s22, 0xffff
	s_add_u32 s20, s8, s20
	s_addc_u32 s21, s9, s21
	v_mov_b32_e32 v3, s21
	v_add_co_u32_e32 v2, vcc, s20, v2
	v_addc_co_u32_e32 v3, vcc, 0, v3, vcc
	s_lshl_b32 s23, s22, 2
	s_lshl_b32 s24, s22, 3
	s_mov_b64 s[20:21], 0
	v_mov_b32_e32 v5, s25
	v_mov_b32_e32 v6, v0
.LBB119_2:                              ; =>This Inner Loop Header: Depth=1
	global_load_dword v7, v[2:3], off
	v_add_co_u32_e32 v2, vcc, s23, v2
	v_add_u32_e32 v6, s22, v6
	v_addc_co_u32_e32 v3, vcc, v3, v5, vcc
	v_cmp_le_i32_e32 vcc, s7, v6
	s_or_b64 s[20:21], vcc, s[20:21]
	s_waitcnt vmcnt(0)
	v_cvt_f32_f16_sdwa v9, v7 dst_sel:DWORD dst_unused:UNUSED_PAD src0_sel:WORD_1
	v_cvt_f32_f16_e32 v8, v7
	ds_write_b64 v4, v[8:9]
	v_add_u32_e32 v4, s24, v4
	s_andn2_b64 exec, exec, s[20:21]
	s_cbranch_execnz .LBB119_2
.LBB119_3:
	s_or_b64 exec, exec, s[18:19]
	v_lshl_add_u32 v2, s7, 1, v0
	v_cmp_gt_i32_e32 vcc, s16, v2
	s_and_saveexec_b64 s[18:19], vcc
	s_cbranch_execz .LBB119_6
; %bb.4:
	s_load_dword s20, s[4:5], 0x44
	s_lshl_b64 s[2:3], s[2:3], 1
	s_add_u32 s8, s8, s2
	s_addc_u32 s21, s9, s3
	s_lshl_b32 s2, s7, 3
	s_waitcnt lgkmcnt(0)
	s_and_b32 s9, s20, 0xffff
	s_add_i32 s2, s2, 0
	v_lshl_add_u32 v4, v0, 2, s2
	s_lshl_b32 s20, s9, 2
	s_mov_b64 s[2:3], 0
	v_mov_b32_e32 v5, s21
.LBB119_5:                              ; =>This Inner Loop Header: Depth=1
	v_ashrrev_i32_e32 v3, 31, v2
	v_lshlrev_b64 v[6:7], 1, v[2:3]
	v_add_co_u32_e32 v6, vcc, s8, v6
	v_addc_co_u32_e32 v7, vcc, v5, v7, vcc
	global_load_ushort v3, v[6:7], off
	v_add_u32_e32 v2, s9, v2
	v_cmp_le_i32_e32 vcc, s16, v2
	s_or_b64 s[2:3], vcc, s[2:3]
	s_waitcnt vmcnt(0)
	v_cvt_f32_f16_e32 v3, v3
	ds_write_b32 v4, v3
	v_add_u32_e32 v4, s20, v4
	s_andn2_b64 exec, exec, s[2:3]
	s_cbranch_execnz .LBB119_5
.LBB119_6:
	s_or_b64 exec, exec, s[18:19]
	v_cmp_gt_i32_e32 vcc, s16, v0
	v_mov_b32_e32 v2, 0xff800000
	s_waitcnt lgkmcnt(0)
	s_barrier
	s_and_saveexec_b64 s[8:9], vcc
	s_cbranch_execz .LBB119_10
; %bb.7:
	s_load_dword s2, s[4:5], 0x44
	v_lshl_add_u32 v3, v0, 2, 0
	s_mov_b64 s[18:19], 0
	v_mov_b32_e32 v2, 0xff800000
	v_mov_b32_e32 v4, v0
	s_waitcnt lgkmcnt(0)
	s_and_b32 s20, s2, 0xffff
	s_lshl_b32 s21, s20, 2
.LBB119_8:                              ; =>This Inner Loop Header: Depth=1
	ds_read_b32 v5, v3
	v_add_u32_e32 v4, s20, v4
	v_max_f32_e32 v2, v2, v2
	v_cmp_le_i32_e64 s[2:3], s16, v4
	v_add_u32_e32 v3, s21, v3
	s_waitcnt lgkmcnt(0)
	v_max_f32_e32 v5, v5, v5
	s_or_b64 s[18:19], s[2:3], s[18:19]
	v_max_f32_e32 v2, v2, v5
	s_andn2_b64 exec, exec, s[18:19]
	s_cbranch_execnz .LBB119_8
; %bb.9:
	s_or_b64 exec, exec, s[18:19]
.LBB119_10:
	s_or_b64 exec, exec, s[8:9]
	;;#ASMSTART
	v_max_f32 v3, v2, v2 quad_perm:[1,0,3,2] row_mask:0xf bank_mask:0xf bound_ctrl:1
	;;#ASMEND
	;;#ASMSTART
	v_max_f32 v2, v3, v3 quad_perm:[2,3,0,1] row_mask:0xf bank_mask:0xf bound_ctrl:1
	;;#ASMEND
	;;#ASMSTART
	v_max_f32 v3, v2, v2 row_half_mirror row_mask:0xf bank_mask:0xf bound_ctrl:1
	;;#ASMEND
	;;#ASMSTART
	v_max_f32 v2, v3, v3 row_mirror row_mask:0xf bank_mask:0xf bound_ctrl:1
	;;#ASMEND
	;;#ASMSTART
	v_max_f32 v3, v2, v2 row_ror:4 row_mask:0xf bank_mask:0xf bound_ctrl:1
	;;#ASMEND
	;;#ASMSTART
	v_max_f32 v2, v3, v3 row_ror:8 row_mask:0xf bank_mask:0xf bound_ctrl:1
	;;#ASMEND
	;;#ASMSTART
	v_max_f32 v3, v2, v2 row_bcast:15 row_mask:0xf bank_mask:0xf bound_ctrl:1
	;;#ASMEND
	;;#ASMSTART
	v_max_f32 v2, v3, v3 row_bcast:31 row_mask:0xf bank_mask:0xf bound_ctrl:1
	;;#ASMEND
	v_mbcnt_lo_u32_b32 v3, -1, 0
	v_mbcnt_hi_u32_b32 v3, -1, v3
	v_bfrev_b32_e32 v4, 0.5
	v_lshl_or_b32 v4, v3, 2, v4
	ds_bpermute_b32 v3, v4, v2
	v_mov_b32_e32 v2, 0
	s_and_saveexec_b64 s[18:19], vcc
	s_cbranch_execz .LBB119_14
; %bb.11:
	s_load_dword s2, s[4:5], 0x44
	v_lshl_add_u32 v5, v0, 2, 0
	s_mov_b64 s[20:21], 0
	v_mov_b32_e32 v2, 0
	s_mov_b32 s22, 0xc2fc0000
	s_waitcnt lgkmcnt(0)
	s_and_b32 s23, s2, 0xffff
	s_lshl_b32 s24, s23, 2
	v_mov_b32_e32 v6, 0x42800000
	v_mov_b32_e32 v7, 0x1f800000
	;; [unrolled: 1-line block ×3, first 2 shown]
.LBB119_12:                             ; =>This Inner Loop Header: Depth=1
	ds_read_b32 v9, v5
	v_add_u32_e32 v8, s23, v8
	v_cmp_le_i32_e64 s[8:9], s16, v8
	s_or_b64 s[20:21], s[8:9], s[20:21]
	s_waitcnt lgkmcnt(0)
	v_sub_f32_e32 v9, v9, v3
	v_mul_f32_e32 v10, 0x3fb8aa3b, v9
	v_cmp_gt_f32_e64 s[2:3], s22, v10
	v_cndmask_b32_e64 v10, 0, v6, s[2:3]
	v_fmac_f32_e32 v10, 0x3fb8aa3b, v9
	v_exp_f32_e32 v9, v10
	v_cndmask_b32_e64 v10, 1.0, v7, s[2:3]
	v_mul_f32_e32 v11, v9, v10
	v_fmac_f32_e32 v2, v9, v10
	ds_write_b32 v5, v11
	v_add_u32_e32 v5, s24, v5
	s_andn2_b64 exec, exec, s[20:21]
	s_cbranch_execnz .LBB119_12
; %bb.13:
	s_or_b64 exec, exec, s[20:21]
.LBB119_14:
	s_or_b64 exec, exec, s[18:19]
	s_waitcnt lgkmcnt(0)
	v_mov_b32_dpp v3, v2 quad_perm:[1,0,3,2] row_mask:0xf bank_mask:0xf
	v_add_f32_e32 v2, v2, v3
	s_nop 1
	v_mov_b32_dpp v3, v2 quad_perm:[2,3,0,1] row_mask:0xf bank_mask:0xf
	v_add_f32_e32 v2, v2, v3
	s_nop 1
	v_mov_b32_dpp v3, v2 row_half_mirror row_mask:0xf bank_mask:0xf
	v_add_f32_e32 v2, v2, v3
	s_nop 1
	v_mov_b32_dpp v3, v2 row_mirror row_mask:0xf bank_mask:0xf
	v_add_f32_e32 v2, v2, v3
	s_nop 1
	v_mov_b32_dpp v3, v2 row_bcast:15 row_mask:0xf bank_mask:0xf
	v_add_f32_e32 v2, v2, v3
	s_nop 1
	v_mov_b32_dpp v3, v2 row_bcast:31 row_mask:0xf bank_mask:0xf
	v_add_f32_e32 v2, v2, v3
	ds_bpermute_b32 v2, v4, v2
	s_and_saveexec_b64 s[8:9], vcc
	s_cbranch_execz .LBB119_19
; %bb.15:
	s_load_dword s20, s[4:5], 0x44
	s_waitcnt lgkmcnt(0)
	v_rcp_f32_e32 v5, v2
	s_cmp_lg_u64 s[10:11], 0
	s_cselect_b64 s[2:3], -1, 0
	v_cndmask_b32_e64 v2, 0, 1, s[2:3]
	s_and_b32 s20, s20, 0xffff
	s_mov_b64 s[18:19], 0
	v_lshl_add_u32 v6, v0, 2, 0
	s_lshl_b32 s21, s20, 2
	v_cmp_ne_u32_e64 s[2:3], 1, v2
	v_mov_b32_e32 v2, v0
	s_branch .LBB119_17
.LBB119_16:                             ;   in Loop: Header=BB119_17 Depth=1
	v_add_u32_e32 v2, s20, v2
	v_cmp_le_i32_e32 vcc, s16, v2
	s_or_b64 s[18:19], vcc, s[18:19]
	v_add_u32_e32 v6, s21, v6
	s_andn2_b64 exec, exec, s[18:19]
	s_cbranch_execz .LBB119_19
.LBB119_17:                             ; =>This Inner Loop Header: Depth=1
	ds_read_b32 v3, v6
	s_and_b64 vcc, exec, s[2:3]
	s_waitcnt lgkmcnt(0)
	v_mul_f32_e32 v7, v5, v3
	ds_write_b32 v6, v7
	s_cbranch_vccnz .LBB119_16
; %bb.18:                               ;   in Loop: Header=BB119_17 Depth=1
	v_ashrrev_i32_e32 v3, 31, v2
	v_lshlrev_b64 v[8:9], 2, v[2:3]
	v_mov_b32_e32 v3, s11
	v_add_co_u32_e32 v8, vcc, s10, v8
	v_addc_co_u32_e32 v9, vcc, v3, v9, vcc
	global_load_dword v3, v[8:9], off
	s_waitcnt vmcnt(0)
	v_add_f32_e32 v3, v7, v3
	ds_write_b32 v6, v3
	s_branch .LBB119_16
.LBB119_19:
	s_or_b64 exec, exec, s[8:9]
	s_cmp_lt_i32 s17, 1
	v_mov_b32_e32 v3, 0
	s_waitcnt lgkmcnt(0)
	s_barrier
	s_cbranch_scc1 .LBB119_28
; %bb.20:
	s_add_u32 s2, s4, 56
	s_addc_u32 s3, s5, 0
	s_cmp_lg_u64 s[10:11], 0
	s_cselect_b64 s[8:9], -1, 0
	v_lshlrev_b32_e32 v6, 1, v0
	s_mov_b32 s16, 0
	v_mov_b32_e32 v3, 0
	v_mov_b32_e32 v7, 0xff800000
	;; [unrolled: 1-line block ×4, first 2 shown]
	s_branch .LBB119_22
.LBB119_21:                             ;   in Loop: Header=BB119_22 Depth=1
	s_lshl_b32 s19, s18, 2
	s_add_i32 s19, s19, 0
	v_mov_b32_e32 v8, s19
	ds_write_b32 v8, v7
	v_mov_b32_e32 v8, s18
	v_cmp_eq_u32_e32 vcc, s16, v0
	s_add_i32 s16, s16, 1
	v_cndmask_b32_e32 v2, v2, v8, vcc
	v_cndmask_b32_e32 v3, v3, v10, vcc
	s_cmp_eq_u32 s16, s17
	v_add_f32_e32 v5, v5, v10
	s_cbranch_scc1 .LBB119_29
.LBB119_22:                             ; =>This Loop Header: Depth=1
                                        ;     Child Loop BB119_24 Depth 2
	v_mov_b32_e32 v8, s16
	v_mov_b32_e32 v9, 0xff800000
	s_and_saveexec_b64 s[18:19], s[0:1]
	s_cbranch_execz .LBB119_26
; %bb.23:                               ;   in Loop: Header=BB119_22 Depth=1
	s_load_dword s22, s[2:3], 0xc
	s_mov_b64 s[20:21], 0
	v_mov_b32_e32 v8, s16
	v_mov_b32_e32 v9, 0xff800000
	;; [unrolled: 1-line block ×3, first 2 shown]
	s_waitcnt lgkmcnt(0)
	s_and_b32 s22, s22, 0xffff
	s_lshl_b32 s23, s22, 1
	s_lshl_b32 s24, s22, 3
	v_mov_b32_e32 v11, v6
	v_mov_b32_e32 v12, v0
.LBB119_24:                             ;   Parent Loop BB119_22 Depth=1
                                        ; =>  This Inner Loop Header: Depth=2
	ds_read_b64 v[14:15], v10
	v_add_u32_e32 v12, s22, v12
	v_cmp_le_i32_e32 vcc, s7, v12
	s_or_b64 s[20:21], vcc, s[20:21]
	v_add_u32_e32 v13, 1, v11
	s_waitcnt lgkmcnt(0)
	v_cmp_gt_f32_e32 vcc, v14, v9
	v_cndmask_b32_e32 v9, v9, v14, vcc
	v_cndmask_b32_e32 v8, v8, v11, vcc
	v_cmp_gt_f32_e32 vcc, v15, v9
	v_add_u32_e32 v10, s24, v10
	v_cndmask_b32_e32 v9, v9, v15, vcc
	v_add_u32_e32 v11, s23, v11
	v_cndmask_b32_e32 v8, v8, v13, vcc
	s_andn2_b64 exec, exec, s[20:21]
	s_cbranch_execnz .LBB119_24
; %bb.25:                               ;   in Loop: Header=BB119_22 Depth=1
	s_or_b64 exec, exec, s[20:21]
.LBB119_26:                             ;   in Loop: Header=BB119_22 Depth=1
	s_or_b64 exec, exec, s[18:19]
	;;#ASMSTART
	v_max_f32 v10, v9, v9 quad_perm:[1,0,3,2] row_mask:0xf bank_mask:0xf bound_ctrl:1
	;;#ASMEND
	;;#ASMSTART
	v_max_f32 v11, v10, v10 quad_perm:[2,3,0,1] row_mask:0xf bank_mask:0xf bound_ctrl:1
	;;#ASMEND
	;;#ASMSTART
	v_max_f32 v10, v11, v11 row_half_mirror row_mask:0xf bank_mask:0xf bound_ctrl:1
	;;#ASMEND
	;;#ASMSTART
	v_max_f32 v11, v10, v10 row_mirror row_mask:0xf bank_mask:0xf bound_ctrl:1
	;;#ASMEND
	;;#ASMSTART
	v_max_f32 v10, v11, v11 row_ror:4 row_mask:0xf bank_mask:0xf bound_ctrl:1
	;;#ASMEND
	;;#ASMSTART
	v_max_f32 v11, v10, v10 row_ror:8 row_mask:0xf bank_mask:0xf bound_ctrl:1
	;;#ASMEND
	;;#ASMSTART
	v_max_f32 v10, v11, v11 row_bcast:15 row_mask:0xf bank_mask:0xf bound_ctrl:1
	;;#ASMEND
	;;#ASMSTART
	v_max_f32 v11, v10, v10 row_bcast:31 row_mask:0xf bank_mask:0xf bound_ctrl:1
	;;#ASMEND
	ds_bpermute_b32 v10, v4, v11
	s_waitcnt lgkmcnt(0)
	v_cmp_eq_f32_e32 vcc, v9, v10
	s_ff1_i32_b64 s18, vcc
	s_cmp_lg_u64 vcc, 0
	s_cselect_b32 s18, s18, 0
	s_and_b64 vcc, exec, s[8:9]
	v_readlane_b32 s18, v8, s18
	s_cbranch_vccz .LBB119_21
; %bb.27:                               ;   in Loop: Header=BB119_22 Depth=1
	s_ashr_i32 s19, s18, 31
	s_lshl_b64 s[20:21], s[18:19], 2
	s_add_u32 s20, s10, s20
	s_addc_u32 s21, s11, s21
	s_load_dword s19, s[20:21], 0x0
	s_waitcnt lgkmcnt(0)
	v_subrev_f32_e32 v10, s19, v10
	s_branch .LBB119_21
.LBB119_28:
	v_mov_b32_e32 v2, 0
	v_mov_b32_e32 v5, 0
.LBB119_29:
	v_cmp_gt_i32_e32 vcc, s17, v0
	s_and_saveexec_b64 s[0:1], vcc
	s_cbranch_execz .LBB119_32
; %bb.30:
	s_load_dword s2, s[4:5], 0x34
	v_max_f32_e32 v1, v5, v5
	v_max_f32_e32 v1, 0x1e3ce508, v1
	s_load_dword s3, s[4:5], 0x44
	s_waitcnt lgkmcnt(0)
	v_div_scale_f32 v4, s[0:1], v1, v1, s2
	s_load_dwordx2 s[0:1], s[4:5], 0x20
	v_rcp_f32_e32 v5, v4
	v_div_scale_f32 v6, vcc, s2, v1, s2
	s_and_b32 s3, s3, 0xffff
	v_fma_f32 v7, -v4, v5, 1.0
	v_fmac_f32_e32 v5, v7, v5
	v_mul_f32_e32 v7, v6, v5
	v_fma_f32 v8, -v4, v7, v6
	v_fmac_f32_e32 v7, v8, v5
	v_fma_f32 v4, -v4, v7, v6
	v_div_fmas_f32 v4, v4, v5, v7
	v_div_fixup_f32 v1, v4, v1, s2
	s_ashr_i32 s2, s6, 31
	s_waitcnt lgkmcnt(0)
	s_mul_i32 s1, s6, s1
	s_mul_hi_u32 s4, s6, s0
	s_add_i32 s1, s4, s1
	s_mul_i32 s2, s2, s0
	s_add_i32 s4, s1, s2
	v_mul_f32_e32 v1, v3, v1
	s_mul_i32 s2, s6, s0
	s_mov_b64 s[0:1], 0
	v_mov_b32_e32 v3, s4
	v_mov_b32_e32 v4, s13
	;; [unrolled: 1-line block ×3, first 2 shown]
.LBB119_31:                             ; =>This Inner Loop Header: Depth=1
	v_ashrrev_i32_e32 v7, 31, v0
	v_add_co_u32_e32 v6, vcc, s2, v0
	v_addc_co_u32_e32 v7, vcc, v3, v7, vcc
	v_add_u32_e32 v0, s3, v0
	v_cmp_le_i32_e32 vcc, s17, v0
	v_lshlrev_b64 v[6:7], 2, v[6:7]
	s_or_b64 s[0:1], vcc, s[0:1]
	v_add_co_u32_e32 v8, vcc, s12, v6
	v_addc_co_u32_e32 v9, vcc, v4, v7, vcc
	v_add_co_u32_e32 v6, vcc, s14, v6
	v_addc_co_u32_e32 v7, vcc, v5, v7, vcc
	global_store_dword v[8:9], v1, off
	global_store_dword v[6:7], v2, off
	s_andn2_b64 exec, exec, s[0:1]
	s_cbranch_execnz .LBB119_31
.LBB119_32:
	s_endpgm
	.section	.rodata,"a",@progbits
	.p2align	6, 0x0
	.amdhsa_kernel _ZN5aiter20topk_softplus_kernelI6__halffDv2_fLb1ELi2EEEvPKT_PKT0_PfPimiiif
		.amdhsa_group_segment_fixed_size 0
		.amdhsa_private_segment_fixed_size 0
		.amdhsa_kernarg_size 312
		.amdhsa_user_sgpr_count 6
		.amdhsa_user_sgpr_private_segment_buffer 1
		.amdhsa_user_sgpr_dispatch_ptr 0
		.amdhsa_user_sgpr_queue_ptr 0
		.amdhsa_user_sgpr_kernarg_segment_ptr 1
		.amdhsa_user_sgpr_dispatch_id 0
		.amdhsa_user_sgpr_flat_scratch_init 0
		.amdhsa_user_sgpr_kernarg_preload_length 0
		.amdhsa_user_sgpr_kernarg_preload_offset 0
		.amdhsa_user_sgpr_private_segment_size 0
		.amdhsa_uses_dynamic_stack 0
		.amdhsa_system_sgpr_private_segment_wavefront_offset 0
		.amdhsa_system_sgpr_workgroup_id_x 1
		.amdhsa_system_sgpr_workgroup_id_y 0
		.amdhsa_system_sgpr_workgroup_id_z 0
		.amdhsa_system_sgpr_workgroup_info 0
		.amdhsa_system_vgpr_workitem_id 0
		.amdhsa_next_free_vgpr 16
		.amdhsa_next_free_sgpr 26
		.amdhsa_accum_offset 16
		.amdhsa_reserve_vcc 1
		.amdhsa_reserve_flat_scratch 0
		.amdhsa_float_round_mode_32 0
		.amdhsa_float_round_mode_16_64 0
		.amdhsa_float_denorm_mode_32 3
		.amdhsa_float_denorm_mode_16_64 3
		.amdhsa_dx10_clamp 1
		.amdhsa_ieee_mode 1
		.amdhsa_fp16_overflow 0
		.amdhsa_tg_split 0
		.amdhsa_exception_fp_ieee_invalid_op 0
		.amdhsa_exception_fp_denorm_src 0
		.amdhsa_exception_fp_ieee_div_zero 0
		.amdhsa_exception_fp_ieee_overflow 0
		.amdhsa_exception_fp_ieee_underflow 0
		.amdhsa_exception_fp_ieee_inexact 0
		.amdhsa_exception_int_div_zero 0
	.end_amdhsa_kernel
	.section	.text._ZN5aiter20topk_softplus_kernelI6__halffDv2_fLb1ELi2EEEvPKT_PKT0_PfPimiiif,"axG",@progbits,_ZN5aiter20topk_softplus_kernelI6__halffDv2_fLb1ELi2EEEvPKT_PKT0_PfPimiiif,comdat
.Lfunc_end119:
	.size	_ZN5aiter20topk_softplus_kernelI6__halffDv2_fLb1ELi2EEEvPKT_PKT0_PfPimiiif, .Lfunc_end119-_ZN5aiter20topk_softplus_kernelI6__halffDv2_fLb1ELi2EEEvPKT_PKT0_PfPimiiif
                                        ; -- End function
	.section	.AMDGPU.csdata,"",@progbits
; Kernel info:
; codeLenInByte = 1772
; NumSgprs: 30
; NumVgprs: 16
; NumAgprs: 0
; TotalNumVgprs: 16
; ScratchSize: 0
; MemoryBound: 0
; FloatMode: 240
; IeeeMode: 1
; LDSByteSize: 0 bytes/workgroup (compile time only)
; SGPRBlocks: 3
; VGPRBlocks: 1
; NumSGPRsForWavesPerEU: 30
; NumVGPRsForWavesPerEU: 16
; AccumOffset: 16
; Occupancy: 8
; WaveLimiterHint : 0
; COMPUTE_PGM_RSRC2:SCRATCH_EN: 0
; COMPUTE_PGM_RSRC2:USER_SGPR: 6
; COMPUTE_PGM_RSRC2:TRAP_HANDLER: 0
; COMPUTE_PGM_RSRC2:TGID_X_EN: 1
; COMPUTE_PGM_RSRC2:TGID_Y_EN: 0
; COMPUTE_PGM_RSRC2:TGID_Z_EN: 0
; COMPUTE_PGM_RSRC2:TIDIG_COMP_CNT: 0
; COMPUTE_PGM_RSRC3_GFX90A:ACCUM_OFFSET: 3
; COMPUTE_PGM_RSRC3_GFX90A:TG_SPLIT: 0
	.section	.text._ZN5aiter20topk_softplus_kernelI6__halffDv2_fLb0ELi2EEEvPKT_PKT0_PfPimiiif,"axG",@progbits,_ZN5aiter20topk_softplus_kernelI6__halffDv2_fLb0ELi2EEEvPKT_PKT0_PfPimiiif,comdat
	.protected	_ZN5aiter20topk_softplus_kernelI6__halffDv2_fLb0ELi2EEEvPKT_PKT0_PfPimiiif ; -- Begin function _ZN5aiter20topk_softplus_kernelI6__halffDv2_fLb0ELi2EEEvPKT_PKT0_PfPimiiif
	.globl	_ZN5aiter20topk_softplus_kernelI6__halffDv2_fLb0ELi2EEEvPKT_PKT0_PfPimiiif
	.p2align	8
	.type	_ZN5aiter20topk_softplus_kernelI6__halffDv2_fLb0ELi2EEEvPKT_PKT0_PfPimiiif,@function
_ZN5aiter20topk_softplus_kernelI6__halffDv2_fLb0ELi2EEEvPKT_PKT0_PfPimiiif: ; @_ZN5aiter20topk_softplus_kernelI6__halffDv2_fLb0ELi2EEEvPKT_PKT0_PfPimiiif
; %bb.0:
	s_load_dwordx2 s[16:17], s[4:5], 0x28
	s_load_dwordx8 s[8:15], s[4:5], 0x0
	v_lshl_add_u32 v1, v0, 3, 0
	s_waitcnt lgkmcnt(0)
	s_lshr_b32 s0, s16, 31
	s_add_i32 s0, s16, s0
	s_mul_i32 s2, s6, s16
	s_ashr_i32 s7, s0, 1
	s_ashr_i32 s3, s2, 31
	v_cmp_gt_i32_e64 s[0:1], s7, v0
	s_and_saveexec_b64 s[18:19], s[0:1]
	s_cbranch_execz .LBB120_3
; %bb.1:
	s_load_dword s22, s[4:5], 0x44
	s_lshl_b64 s[20:21], s[2:3], 1
	v_lshlrev_b32_e32 v2, 2, v0
	s_mov_b32 s25, 0
	v_lshl_add_u32 v4, v0, 3, 0
	s_waitcnt lgkmcnt(0)
	s_and_b32 s22, s22, 0xffff
	s_add_u32 s20, s8, s20
	s_addc_u32 s21, s9, s21
	v_mov_b32_e32 v3, s21
	v_add_co_u32_e32 v2, vcc, s20, v2
	v_addc_co_u32_e32 v3, vcc, 0, v3, vcc
	s_lshl_b32 s23, s22, 2
	s_lshl_b32 s24, s22, 3
	s_mov_b64 s[20:21], 0
	v_mov_b32_e32 v5, s25
	v_mov_b32_e32 v6, v0
.LBB120_2:                              ; =>This Inner Loop Header: Depth=1
	global_load_dword v7, v[2:3], off
	v_add_co_u32_e32 v2, vcc, s23, v2
	v_add_u32_e32 v6, s22, v6
	v_addc_co_u32_e32 v3, vcc, v3, v5, vcc
	v_cmp_le_i32_e32 vcc, s7, v6
	s_or_b64 s[20:21], vcc, s[20:21]
	s_waitcnt vmcnt(0)
	v_cvt_f32_f16_sdwa v9, v7 dst_sel:DWORD dst_unused:UNUSED_PAD src0_sel:WORD_1
	v_cvt_f32_f16_e32 v8, v7
	ds_write_b64 v4, v[8:9]
	v_add_u32_e32 v4, s24, v4
	s_andn2_b64 exec, exec, s[20:21]
	s_cbranch_execnz .LBB120_2
.LBB120_3:
	s_or_b64 exec, exec, s[18:19]
	v_lshl_add_u32 v2, s7, 1, v0
	v_cmp_gt_i32_e32 vcc, s16, v2
	s_and_saveexec_b64 s[18:19], vcc
	s_cbranch_execz .LBB120_6
; %bb.4:
	s_load_dword s20, s[4:5], 0x44
	s_lshl_b64 s[2:3], s[2:3], 1
	s_add_u32 s8, s8, s2
	s_addc_u32 s21, s9, s3
	s_lshl_b32 s2, s7, 3
	s_waitcnt lgkmcnt(0)
	s_and_b32 s9, s20, 0xffff
	s_add_i32 s2, s2, 0
	v_lshl_add_u32 v4, v0, 2, s2
	s_lshl_b32 s20, s9, 2
	s_mov_b64 s[2:3], 0
	v_mov_b32_e32 v5, s21
.LBB120_5:                              ; =>This Inner Loop Header: Depth=1
	v_ashrrev_i32_e32 v3, 31, v2
	v_lshlrev_b64 v[6:7], 1, v[2:3]
	v_add_co_u32_e32 v6, vcc, s8, v6
	v_addc_co_u32_e32 v7, vcc, v5, v7, vcc
	global_load_ushort v3, v[6:7], off
	v_add_u32_e32 v2, s9, v2
	v_cmp_le_i32_e32 vcc, s16, v2
	s_or_b64 s[2:3], vcc, s[2:3]
	s_waitcnt vmcnt(0)
	v_cvt_f32_f16_e32 v3, v3
	ds_write_b32 v4, v3
	v_add_u32_e32 v4, s20, v4
	s_andn2_b64 exec, exec, s[2:3]
	s_cbranch_execnz .LBB120_5
.LBB120_6:
	s_or_b64 exec, exec, s[18:19]
	v_cmp_gt_i32_e32 vcc, s16, v0
	v_mov_b32_e32 v2, 0xff800000
	s_waitcnt lgkmcnt(0)
	s_barrier
	s_and_saveexec_b64 s[8:9], vcc
	s_cbranch_execz .LBB120_10
; %bb.7:
	s_load_dword s2, s[4:5], 0x44
	v_lshl_add_u32 v3, v0, 2, 0
	s_mov_b64 s[18:19], 0
	v_mov_b32_e32 v2, 0xff800000
	v_mov_b32_e32 v4, v0
	s_waitcnt lgkmcnt(0)
	s_and_b32 s20, s2, 0xffff
	s_lshl_b32 s21, s20, 2
.LBB120_8:                              ; =>This Inner Loop Header: Depth=1
	ds_read_b32 v5, v3
	v_add_u32_e32 v4, s20, v4
	v_max_f32_e32 v2, v2, v2
	v_cmp_le_i32_e64 s[2:3], s16, v4
	v_add_u32_e32 v3, s21, v3
	s_waitcnt lgkmcnt(0)
	v_max_f32_e32 v5, v5, v5
	s_or_b64 s[18:19], s[2:3], s[18:19]
	v_max_f32_e32 v2, v2, v5
	s_andn2_b64 exec, exec, s[18:19]
	s_cbranch_execnz .LBB120_8
; %bb.9:
	s_or_b64 exec, exec, s[18:19]
.LBB120_10:
	s_or_b64 exec, exec, s[8:9]
	;;#ASMSTART
	v_max_f32 v3, v2, v2 quad_perm:[1,0,3,2] row_mask:0xf bank_mask:0xf bound_ctrl:1
	;;#ASMEND
	;;#ASMSTART
	v_max_f32 v2, v3, v3 quad_perm:[2,3,0,1] row_mask:0xf bank_mask:0xf bound_ctrl:1
	;;#ASMEND
	;;#ASMSTART
	v_max_f32 v3, v2, v2 row_half_mirror row_mask:0xf bank_mask:0xf bound_ctrl:1
	;;#ASMEND
	;;#ASMSTART
	v_max_f32 v2, v3, v3 row_mirror row_mask:0xf bank_mask:0xf bound_ctrl:1
	;;#ASMEND
	;;#ASMSTART
	v_max_f32 v3, v2, v2 row_ror:4 row_mask:0xf bank_mask:0xf bound_ctrl:1
	;;#ASMEND
	;;#ASMSTART
	v_max_f32 v2, v3, v3 row_ror:8 row_mask:0xf bank_mask:0xf bound_ctrl:1
	;;#ASMEND
	;;#ASMSTART
	v_max_f32 v3, v2, v2 row_bcast:15 row_mask:0xf bank_mask:0xf bound_ctrl:1
	;;#ASMEND
	;;#ASMSTART
	v_max_f32 v2, v3, v3 row_bcast:31 row_mask:0xf bank_mask:0xf bound_ctrl:1
	;;#ASMEND
	v_mbcnt_lo_u32_b32 v3, -1, 0
	v_mbcnt_hi_u32_b32 v3, -1, v3
	v_bfrev_b32_e32 v4, 0.5
	v_lshl_or_b32 v4, v3, 2, v4
	ds_bpermute_b32 v3, v4, v2
	v_mov_b32_e32 v2, 0
	s_and_saveexec_b64 s[18:19], vcc
	s_cbranch_execz .LBB120_14
; %bb.11:
	s_load_dword s2, s[4:5], 0x44
	v_lshl_add_u32 v5, v0, 2, 0
	s_mov_b64 s[20:21], 0
	v_mov_b32_e32 v2, 0
	s_mov_b32 s22, 0xc2fc0000
	s_waitcnt lgkmcnt(0)
	s_and_b32 s23, s2, 0xffff
	s_lshl_b32 s24, s23, 2
	v_mov_b32_e32 v6, 0x42800000
	v_mov_b32_e32 v7, 0x1f800000
	;; [unrolled: 1-line block ×3, first 2 shown]
.LBB120_12:                             ; =>This Inner Loop Header: Depth=1
	ds_read_b32 v9, v5
	v_add_u32_e32 v8, s23, v8
	v_cmp_le_i32_e64 s[8:9], s16, v8
	s_or_b64 s[20:21], s[8:9], s[20:21]
	s_waitcnt lgkmcnt(0)
	v_sub_f32_e32 v9, v9, v3
	v_mul_f32_e32 v10, 0x3fb8aa3b, v9
	v_cmp_gt_f32_e64 s[2:3], s22, v10
	v_cndmask_b32_e64 v10, 0, v6, s[2:3]
	v_fmac_f32_e32 v10, 0x3fb8aa3b, v9
	v_exp_f32_e32 v9, v10
	v_cndmask_b32_e64 v10, 1.0, v7, s[2:3]
	v_mul_f32_e32 v11, v9, v10
	v_fmac_f32_e32 v2, v9, v10
	ds_write_b32 v5, v11
	v_add_u32_e32 v5, s24, v5
	s_andn2_b64 exec, exec, s[20:21]
	s_cbranch_execnz .LBB120_12
; %bb.13:
	s_or_b64 exec, exec, s[20:21]
.LBB120_14:
	s_or_b64 exec, exec, s[18:19]
	s_waitcnt lgkmcnt(0)
	v_mov_b32_dpp v3, v2 quad_perm:[1,0,3,2] row_mask:0xf bank_mask:0xf
	v_add_f32_e32 v2, v2, v3
	s_nop 1
	v_mov_b32_dpp v3, v2 quad_perm:[2,3,0,1] row_mask:0xf bank_mask:0xf
	v_add_f32_e32 v2, v2, v3
	s_nop 1
	v_mov_b32_dpp v3, v2 row_half_mirror row_mask:0xf bank_mask:0xf
	v_add_f32_e32 v2, v2, v3
	s_nop 1
	v_mov_b32_dpp v3, v2 row_mirror row_mask:0xf bank_mask:0xf
	v_add_f32_e32 v2, v2, v3
	s_nop 1
	v_mov_b32_dpp v3, v2 row_bcast:15 row_mask:0xf bank_mask:0xf
	v_add_f32_e32 v2, v2, v3
	s_nop 1
	v_mov_b32_dpp v3, v2 row_bcast:31 row_mask:0xf bank_mask:0xf
	v_add_f32_e32 v2, v2, v3
	ds_bpermute_b32 v2, v4, v2
	s_and_saveexec_b64 s[8:9], vcc
	s_cbranch_execz .LBB120_19
; %bb.15:
	s_load_dword s20, s[4:5], 0x44
	s_waitcnt lgkmcnt(0)
	v_rcp_f32_e32 v5, v2
	s_cmp_lg_u64 s[10:11], 0
	s_cselect_b64 s[2:3], -1, 0
	v_cndmask_b32_e64 v2, 0, 1, s[2:3]
	s_and_b32 s20, s20, 0xffff
	s_mov_b64 s[18:19], 0
	v_lshl_add_u32 v6, v0, 2, 0
	s_lshl_b32 s21, s20, 2
	v_cmp_ne_u32_e64 s[2:3], 1, v2
	v_mov_b32_e32 v2, v0
	s_branch .LBB120_17
.LBB120_16:                             ;   in Loop: Header=BB120_17 Depth=1
	v_add_u32_e32 v2, s20, v2
	v_cmp_le_i32_e32 vcc, s16, v2
	s_or_b64 s[18:19], vcc, s[18:19]
	v_add_u32_e32 v6, s21, v6
	s_andn2_b64 exec, exec, s[18:19]
	s_cbranch_execz .LBB120_19
.LBB120_17:                             ; =>This Inner Loop Header: Depth=1
	ds_read_b32 v3, v6
	s_and_b64 vcc, exec, s[2:3]
	s_waitcnt lgkmcnt(0)
	v_mul_f32_e32 v7, v5, v3
	ds_write_b32 v6, v7
	s_cbranch_vccnz .LBB120_16
; %bb.18:                               ;   in Loop: Header=BB120_17 Depth=1
	v_ashrrev_i32_e32 v3, 31, v2
	v_lshlrev_b64 v[8:9], 2, v[2:3]
	v_mov_b32_e32 v3, s11
	v_add_co_u32_e32 v8, vcc, s10, v8
	v_addc_co_u32_e32 v9, vcc, v3, v9, vcc
	global_load_dword v3, v[8:9], off
	s_waitcnt vmcnt(0)
	v_add_f32_e32 v3, v7, v3
	ds_write_b32 v6, v3
	s_branch .LBB120_16
.LBB120_19:
	s_or_b64 exec, exec, s[8:9]
	s_cmp_lt_i32 s17, 1
	s_waitcnt lgkmcnt(0)
	s_barrier
	s_cbranch_scc1 .LBB120_28
; %bb.20:
	s_add_u32 s2, s4, 56
	s_addc_u32 s3, s5, 0
	s_cmp_lg_u64 s[10:11], 0
	s_cselect_b64 s[8:9], -1, 0
	v_lshlrev_b32_e32 v5, 1, v0
	s_mov_b32 s16, 0
	v_mov_b32_e32 v2, 0
	v_mov_b32_e32 v3, 0
	;; [unrolled: 1-line block ×3, first 2 shown]
	s_branch .LBB120_22
.LBB120_21:                             ;   in Loop: Header=BB120_22 Depth=1
	s_lshl_b32 s19, s18, 2
	s_add_i32 s19, s19, 0
	v_mov_b32_e32 v7, s19
	ds_write_b32 v7, v6
	v_mov_b32_e32 v7, s18
	v_cmp_eq_u32_e32 vcc, s16, v0
	s_add_i32 s16, s16, 1
	v_cndmask_b32_e32 v2, v2, v7, vcc
	s_cmp_eq_u32 s16, s17
	v_cndmask_b32_e32 v3, v3, v9, vcc
	s_cbranch_scc1 .LBB120_29
.LBB120_22:                             ; =>This Loop Header: Depth=1
                                        ;     Child Loop BB120_24 Depth 2
	v_mov_b32_e32 v7, s16
	v_mov_b32_e32 v8, 0xff800000
	s_and_saveexec_b64 s[18:19], s[0:1]
	s_cbranch_execz .LBB120_26
; %bb.23:                               ;   in Loop: Header=BB120_22 Depth=1
	s_load_dword s22, s[2:3], 0xc
	s_mov_b64 s[20:21], 0
	v_mov_b32_e32 v7, s16
	v_mov_b32_e32 v8, 0xff800000
	v_mov_b32_e32 v9, v1
	s_waitcnt lgkmcnt(0)
	s_and_b32 s22, s22, 0xffff
	s_lshl_b32 s23, s22, 1
	s_lshl_b32 s24, s22, 3
	v_mov_b32_e32 v10, v5
	v_mov_b32_e32 v11, v0
.LBB120_24:                             ;   Parent Loop BB120_22 Depth=1
                                        ; =>  This Inner Loop Header: Depth=2
	ds_read_b64 v[12:13], v9
	v_add_u32_e32 v11, s22, v11
	v_cmp_le_i32_e32 vcc, s7, v11
	s_or_b64 s[20:21], vcc, s[20:21]
	v_add_u32_e32 v14, 1, v10
	s_waitcnt lgkmcnt(0)
	v_cmp_gt_f32_e32 vcc, v12, v8
	v_cndmask_b32_e32 v8, v8, v12, vcc
	v_cndmask_b32_e32 v7, v7, v10, vcc
	v_cmp_gt_f32_e32 vcc, v13, v8
	v_add_u32_e32 v9, s24, v9
	v_cndmask_b32_e32 v8, v8, v13, vcc
	v_add_u32_e32 v10, s23, v10
	v_cndmask_b32_e32 v7, v7, v14, vcc
	s_andn2_b64 exec, exec, s[20:21]
	s_cbranch_execnz .LBB120_24
; %bb.25:                               ;   in Loop: Header=BB120_22 Depth=1
	s_or_b64 exec, exec, s[20:21]
.LBB120_26:                             ;   in Loop: Header=BB120_22 Depth=1
	s_or_b64 exec, exec, s[18:19]
	;;#ASMSTART
	v_max_f32 v9, v8, v8 quad_perm:[1,0,3,2] row_mask:0xf bank_mask:0xf bound_ctrl:1
	;;#ASMEND
	;;#ASMSTART
	v_max_f32 v10, v9, v9 quad_perm:[2,3,0,1] row_mask:0xf bank_mask:0xf bound_ctrl:1
	;;#ASMEND
	;;#ASMSTART
	v_max_f32 v9, v10, v10 row_half_mirror row_mask:0xf bank_mask:0xf bound_ctrl:1
	;;#ASMEND
	;;#ASMSTART
	v_max_f32 v10, v9, v9 row_mirror row_mask:0xf bank_mask:0xf bound_ctrl:1
	;;#ASMEND
	;;#ASMSTART
	v_max_f32 v9, v10, v10 row_ror:4 row_mask:0xf bank_mask:0xf bound_ctrl:1
	;;#ASMEND
	;;#ASMSTART
	v_max_f32 v10, v9, v9 row_ror:8 row_mask:0xf bank_mask:0xf bound_ctrl:1
	;;#ASMEND
	;;#ASMSTART
	v_max_f32 v9, v10, v10 row_bcast:15 row_mask:0xf bank_mask:0xf bound_ctrl:1
	;;#ASMEND
	;;#ASMSTART
	v_max_f32 v10, v9, v9 row_bcast:31 row_mask:0xf bank_mask:0xf bound_ctrl:1
	;;#ASMEND
	ds_bpermute_b32 v9, v4, v10
	s_waitcnt lgkmcnt(0)
	v_cmp_eq_f32_e32 vcc, v8, v9
	s_ff1_i32_b64 s18, vcc
	s_cmp_lg_u64 vcc, 0
	s_cselect_b32 s18, s18, 0
	s_and_b64 vcc, exec, s[8:9]
	v_readlane_b32 s18, v7, s18
	s_cbranch_vccz .LBB120_21
; %bb.27:                               ;   in Loop: Header=BB120_22 Depth=1
	s_ashr_i32 s19, s18, 31
	s_lshl_b64 s[20:21], s[18:19], 2
	s_add_u32 s20, s10, s20
	s_addc_u32 s21, s11, s21
	s_load_dword s19, s[20:21], 0x0
	s_waitcnt lgkmcnt(0)
	v_subrev_f32_e32 v9, s19, v9
	s_branch .LBB120_21
.LBB120_28:
	v_mov_b32_e32 v3, 0
	v_mov_b32_e32 v2, 0
.LBB120_29:
	v_cmp_gt_i32_e32 vcc, s17, v0
	s_and_saveexec_b64 s[0:1], vcc
	s_cbranch_execz .LBB120_32
; %bb.30:
	s_load_dword s2, s[4:5], 0x34
	s_load_dwordx2 s[0:1], s[4:5], 0x20
	s_ashr_i32 s3, s6, 31
	s_load_dword s4, s[4:5], 0x44
	v_mov_b32_e32 v4, s13
	s_waitcnt lgkmcnt(0)
	v_mul_f32_e32 v1, s2, v3
	s_mul_i32 s1, s6, s1
	s_mul_hi_u32 s2, s6, s0
	s_add_i32 s1, s2, s1
	s_mul_i32 s3, s3, s0
	s_add_i32 s5, s1, s3
	s_mul_i32 s2, s6, s0
	s_and_b32 s3, s4, 0xffff
	s_mov_b64 s[0:1], 0
	v_mov_b32_e32 v3, s5
	v_mov_b32_e32 v5, s15
.LBB120_31:                             ; =>This Inner Loop Header: Depth=1
	v_ashrrev_i32_e32 v7, 31, v0
	v_add_co_u32_e32 v6, vcc, s2, v0
	v_addc_co_u32_e32 v7, vcc, v3, v7, vcc
	v_add_u32_e32 v0, s3, v0
	v_cmp_le_i32_e32 vcc, s17, v0
	v_lshlrev_b64 v[6:7], 2, v[6:7]
	s_or_b64 s[0:1], vcc, s[0:1]
	v_add_co_u32_e32 v8, vcc, s12, v6
	v_addc_co_u32_e32 v9, vcc, v4, v7, vcc
	v_add_co_u32_e32 v6, vcc, s14, v6
	v_addc_co_u32_e32 v7, vcc, v5, v7, vcc
	global_store_dword v[8:9], v1, off
	global_store_dword v[6:7], v2, off
	s_andn2_b64 exec, exec, s[0:1]
	s_cbranch_execnz .LBB120_31
.LBB120_32:
	s_endpgm
	.section	.rodata,"a",@progbits
	.p2align	6, 0x0
	.amdhsa_kernel _ZN5aiter20topk_softplus_kernelI6__halffDv2_fLb0ELi2EEEvPKT_PKT0_PfPimiiif
		.amdhsa_group_segment_fixed_size 0
		.amdhsa_private_segment_fixed_size 0
		.amdhsa_kernarg_size 312
		.amdhsa_user_sgpr_count 6
		.amdhsa_user_sgpr_private_segment_buffer 1
		.amdhsa_user_sgpr_dispatch_ptr 0
		.amdhsa_user_sgpr_queue_ptr 0
		.amdhsa_user_sgpr_kernarg_segment_ptr 1
		.amdhsa_user_sgpr_dispatch_id 0
		.amdhsa_user_sgpr_flat_scratch_init 0
		.amdhsa_user_sgpr_kernarg_preload_length 0
		.amdhsa_user_sgpr_kernarg_preload_offset 0
		.amdhsa_user_sgpr_private_segment_size 0
		.amdhsa_uses_dynamic_stack 0
		.amdhsa_system_sgpr_private_segment_wavefront_offset 0
		.amdhsa_system_sgpr_workgroup_id_x 1
		.amdhsa_system_sgpr_workgroup_id_y 0
		.amdhsa_system_sgpr_workgroup_id_z 0
		.amdhsa_system_sgpr_workgroup_info 0
		.amdhsa_system_vgpr_workitem_id 0
		.amdhsa_next_free_vgpr 15
		.amdhsa_next_free_sgpr 26
		.amdhsa_accum_offset 16
		.amdhsa_reserve_vcc 1
		.amdhsa_reserve_flat_scratch 0
		.amdhsa_float_round_mode_32 0
		.amdhsa_float_round_mode_16_64 0
		.amdhsa_float_denorm_mode_32 3
		.amdhsa_float_denorm_mode_16_64 3
		.amdhsa_dx10_clamp 1
		.amdhsa_ieee_mode 1
		.amdhsa_fp16_overflow 0
		.amdhsa_tg_split 0
		.amdhsa_exception_fp_ieee_invalid_op 0
		.amdhsa_exception_fp_denorm_src 0
		.amdhsa_exception_fp_ieee_div_zero 0
		.amdhsa_exception_fp_ieee_overflow 0
		.amdhsa_exception_fp_ieee_underflow 0
		.amdhsa_exception_fp_ieee_inexact 0
		.amdhsa_exception_int_div_zero 0
	.end_amdhsa_kernel
	.section	.text._ZN5aiter20topk_softplus_kernelI6__halffDv2_fLb0ELi2EEEvPKT_PKT0_PfPimiiif,"axG",@progbits,_ZN5aiter20topk_softplus_kernelI6__halffDv2_fLb0ELi2EEEvPKT_PKT0_PfPimiiif,comdat
.Lfunc_end120:
	.size	_ZN5aiter20topk_softplus_kernelI6__halffDv2_fLb0ELi2EEEvPKT_PKT0_PfPimiiif, .Lfunc_end120-_ZN5aiter20topk_softplus_kernelI6__halffDv2_fLb0ELi2EEEvPKT_PKT0_PfPimiiif
                                        ; -- End function
	.section	.AMDGPU.csdata,"",@progbits
; Kernel info:
; codeLenInByte = 1672
; NumSgprs: 30
; NumVgprs: 15
; NumAgprs: 0
; TotalNumVgprs: 15
; ScratchSize: 0
; MemoryBound: 0
; FloatMode: 240
; IeeeMode: 1
; LDSByteSize: 0 bytes/workgroup (compile time only)
; SGPRBlocks: 3
; VGPRBlocks: 1
; NumSGPRsForWavesPerEU: 30
; NumVGPRsForWavesPerEU: 15
; AccumOffset: 16
; Occupancy: 8
; WaveLimiterHint : 0
; COMPUTE_PGM_RSRC2:SCRATCH_EN: 0
; COMPUTE_PGM_RSRC2:USER_SGPR: 6
; COMPUTE_PGM_RSRC2:TRAP_HANDLER: 0
; COMPUTE_PGM_RSRC2:TGID_X_EN: 1
; COMPUTE_PGM_RSRC2:TGID_Y_EN: 0
; COMPUTE_PGM_RSRC2:TGID_Z_EN: 0
; COMPUTE_PGM_RSRC2:TIDIG_COMP_CNT: 0
; COMPUTE_PGM_RSRC3_GFX90A:ACCUM_OFFSET: 3
; COMPUTE_PGM_RSRC3_GFX90A:TG_SPLIT: 0
	.section	.text._ZN5aiter20topk_softplus_kernelI6__halffDv1_fLb1ELi2EEEvPKT_PKT0_PfPimiiif,"axG",@progbits,_ZN5aiter20topk_softplus_kernelI6__halffDv1_fLb1ELi2EEEvPKT_PKT0_PfPimiiif,comdat
	.protected	_ZN5aiter20topk_softplus_kernelI6__halffDv1_fLb1ELi2EEEvPKT_PKT0_PfPimiiif ; -- Begin function _ZN5aiter20topk_softplus_kernelI6__halffDv1_fLb1ELi2EEEvPKT_PKT0_PfPimiiif
	.globl	_ZN5aiter20topk_softplus_kernelI6__halffDv1_fLb1ELi2EEEvPKT_PKT0_PfPimiiif
	.p2align	8
	.type	_ZN5aiter20topk_softplus_kernelI6__halffDv1_fLb1ELi2EEEvPKT_PKT0_PfPimiiif,@function
_ZN5aiter20topk_softplus_kernelI6__halffDv1_fLb1ELi2EEEvPKT_PKT0_PfPimiiif: ; @_ZN5aiter20topk_softplus_kernelI6__halffDv1_fLb1ELi2EEEvPKT_PKT0_PfPimiiif
; %bb.0:
	s_load_dwordx2 s[16:17], s[4:5], 0x28
	s_load_dwordx8 s[8:15], s[4:5], 0x0
	v_lshl_add_u32 v1, v0, 2, 0
	s_waitcnt lgkmcnt(0)
	s_mul_i32 s2, s6, s16
	s_ashr_i32 s3, s2, 31
	s_lshl_b64 s[2:3], s[2:3], 1
	s_add_u32 s7, s8, s2
	v_cmp_gt_i32_e64 s[0:1], s16, v0
	s_addc_u32 s18, s9, s3
	s_and_saveexec_b64 s[2:3], s[0:1]
	s_cbranch_execz .LBB121_3
; %bb.1:
	s_load_dword s19, s[4:5], 0x44
	v_lshl_add_u32 v4, v0, 2, 0
	s_mov_b64 s[8:9], 0
	v_mov_b32_e32 v5, s18
	v_mov_b32_e32 v2, v0
	s_waitcnt lgkmcnt(0)
	s_and_b32 s19, s19, 0xffff
	s_lshl_b32 s20, s19, 2
.LBB121_2:                              ; =>This Inner Loop Header: Depth=1
	v_ashrrev_i32_e32 v3, 31, v2
	v_lshlrev_b64 v[6:7], 1, v[2:3]
	v_add_co_u32_e32 v6, vcc, s7, v6
	v_addc_co_u32_e32 v7, vcc, v5, v7, vcc
	global_load_ushort v3, v[6:7], off
	v_add_u32_e32 v2, s19, v2
	v_cmp_le_i32_e32 vcc, s16, v2
	s_or_b64 s[8:9], vcc, s[8:9]
	s_waitcnt vmcnt(0)
	v_cvt_f32_f16_e32 v3, v3
	ds_write_b32 v4, v3
	v_add_u32_e32 v4, s20, v4
	s_andn2_b64 exec, exec, s[8:9]
	s_cbranch_execnz .LBB121_2
.LBB121_3:
	s_or_b64 exec, exec, s[2:3]
	v_add_u32_e32 v2, s16, v0
	v_cmp_gt_i32_e32 vcc, s16, v2
	s_and_saveexec_b64 s[2:3], vcc
	s_cbranch_execz .LBB121_6
; %bb.4:
	s_load_dword s19, s[4:5], 0x44
	v_lshl_add_u32 v4, v2, 2, 0
	s_mov_b64 s[8:9], 0
	v_mov_b32_e32 v5, s18
	s_waitcnt lgkmcnt(0)
	s_and_b32 s19, s19, 0xffff
	s_lshl_b32 s20, s19, 2
.LBB121_5:                              ; =>This Inner Loop Header: Depth=1
	v_ashrrev_i32_e32 v3, 31, v2
	v_lshlrev_b64 v[6:7], 1, v[2:3]
	v_add_co_u32_e32 v6, vcc, s7, v6
	v_addc_co_u32_e32 v7, vcc, v5, v7, vcc
	global_load_ushort v3, v[6:7], off
	v_add_u32_e32 v2, s19, v2
	v_cmp_le_i32_e32 vcc, s16, v2
	s_or_b64 s[8:9], vcc, s[8:9]
	s_waitcnt vmcnt(0)
	v_cvt_f32_f16_e32 v3, v3
	ds_write_b32 v4, v3
	v_add_u32_e32 v4, s20, v4
	s_andn2_b64 exec, exec, s[8:9]
	s_cbranch_execnz .LBB121_5
.LBB121_6:
	s_or_b64 exec, exec, s[2:3]
	v_mov_b32_e32 v2, 0xff800000
	s_waitcnt lgkmcnt(0)
	s_barrier
	s_and_saveexec_b64 s[2:3], s[0:1]
	s_cbranch_execz .LBB121_10
; %bb.7:
	s_load_dword s7, s[4:5], 0x44
	v_lshl_add_u32 v3, v0, 2, 0
	s_mov_b64 s[8:9], 0
	v_mov_b32_e32 v2, 0xff800000
	v_mov_b32_e32 v4, v0
	s_waitcnt lgkmcnt(0)
	s_and_b32 s7, s7, 0xffff
	s_lshl_b32 s18, s7, 2
.LBB121_8:                              ; =>This Inner Loop Header: Depth=1
	ds_read_b32 v5, v3
	v_add_u32_e32 v4, s7, v4
	v_max_f32_e32 v2, v2, v2
	v_cmp_le_i32_e32 vcc, s16, v4
	v_add_u32_e32 v3, s18, v3
	s_waitcnt lgkmcnt(0)
	v_max_f32_e32 v5, v5, v5
	s_or_b64 s[8:9], vcc, s[8:9]
	v_max_f32_e32 v2, v2, v5
	s_andn2_b64 exec, exec, s[8:9]
	s_cbranch_execnz .LBB121_8
; %bb.9:
	s_or_b64 exec, exec, s[8:9]
.LBB121_10:
	s_or_b64 exec, exec, s[2:3]
	;;#ASMSTART
	v_max_f32 v3, v2, v2 quad_perm:[1,0,3,2] row_mask:0xf bank_mask:0xf bound_ctrl:1
	;;#ASMEND
	;;#ASMSTART
	v_max_f32 v2, v3, v3 quad_perm:[2,3,0,1] row_mask:0xf bank_mask:0xf bound_ctrl:1
	;;#ASMEND
	;;#ASMSTART
	v_max_f32 v3, v2, v2 row_half_mirror row_mask:0xf bank_mask:0xf bound_ctrl:1
	;;#ASMEND
	;;#ASMSTART
	v_max_f32 v2, v3, v3 row_mirror row_mask:0xf bank_mask:0xf bound_ctrl:1
	;;#ASMEND
	;;#ASMSTART
	v_max_f32 v3, v2, v2 row_ror:4 row_mask:0xf bank_mask:0xf bound_ctrl:1
	;;#ASMEND
	;;#ASMSTART
	v_max_f32 v2, v3, v3 row_ror:8 row_mask:0xf bank_mask:0xf bound_ctrl:1
	;;#ASMEND
	;;#ASMSTART
	v_max_f32 v3, v2, v2 row_bcast:15 row_mask:0xf bank_mask:0xf bound_ctrl:1
	;;#ASMEND
	;;#ASMSTART
	v_max_f32 v2, v3, v3 row_bcast:31 row_mask:0xf bank_mask:0xf bound_ctrl:1
	;;#ASMEND
	v_mbcnt_lo_u32_b32 v3, -1, 0
	v_mbcnt_hi_u32_b32 v3, -1, v3
	v_bfrev_b32_e32 v4, 0.5
	v_lshl_or_b32 v4, v3, 2, v4
	ds_bpermute_b32 v3, v4, v2
	v_mov_b32_e32 v2, 0
	s_and_saveexec_b64 s[8:9], s[0:1]
	s_cbranch_execz .LBB121_14
; %bb.11:
	s_load_dword s2, s[4:5], 0x44
	v_lshl_add_u32 v5, v0, 2, 0
	s_mov_b64 s[18:19], 0
	v_mov_b32_e32 v2, 0
	s_mov_b32 s7, 0xc2fc0000
	s_waitcnt lgkmcnt(0)
	s_and_b32 s20, s2, 0xffff
	s_lshl_b32 s21, s20, 2
	v_mov_b32_e32 v6, 0x42800000
	v_mov_b32_e32 v7, 0x1f800000
	;; [unrolled: 1-line block ×3, first 2 shown]
.LBB121_12:                             ; =>This Inner Loop Header: Depth=1
	ds_read_b32 v9, v5
	v_add_u32_e32 v8, s20, v8
	v_cmp_le_i32_e64 s[2:3], s16, v8
	s_or_b64 s[18:19], s[2:3], s[18:19]
	s_waitcnt lgkmcnt(0)
	v_sub_f32_e32 v9, v9, v3
	v_mul_f32_e32 v10, 0x3fb8aa3b, v9
	v_cmp_gt_f32_e32 vcc, s7, v10
	v_cndmask_b32_e32 v10, 0, v6, vcc
	v_fmac_f32_e32 v10, 0x3fb8aa3b, v9
	v_exp_f32_e32 v9, v10
	v_cndmask_b32_e32 v10, 1.0, v7, vcc
	v_mul_f32_e32 v11, v9, v10
	v_fmac_f32_e32 v2, v9, v10
	ds_write_b32 v5, v11
	v_add_u32_e32 v5, s21, v5
	s_andn2_b64 exec, exec, s[18:19]
	s_cbranch_execnz .LBB121_12
; %bb.13:
	s_or_b64 exec, exec, s[18:19]
.LBB121_14:
	s_or_b64 exec, exec, s[8:9]
	s_waitcnt lgkmcnt(0)
	v_mov_b32_dpp v3, v2 quad_perm:[1,0,3,2] row_mask:0xf bank_mask:0xf
	v_add_f32_e32 v2, v2, v3
	s_nop 1
	v_mov_b32_dpp v3, v2 quad_perm:[2,3,0,1] row_mask:0xf bank_mask:0xf
	v_add_f32_e32 v2, v2, v3
	s_nop 1
	v_mov_b32_dpp v3, v2 row_half_mirror row_mask:0xf bank_mask:0xf
	v_add_f32_e32 v2, v2, v3
	s_nop 1
	v_mov_b32_dpp v3, v2 row_mirror row_mask:0xf bank_mask:0xf
	v_add_f32_e32 v2, v2, v3
	s_nop 1
	v_mov_b32_dpp v3, v2 row_bcast:15 row_mask:0xf bank_mask:0xf
	v_add_f32_e32 v2, v2, v3
	s_nop 1
	v_mov_b32_dpp v3, v2 row_bcast:31 row_mask:0xf bank_mask:0xf
	v_add_f32_e32 v2, v2, v3
	ds_bpermute_b32 v2, v4, v2
	s_and_saveexec_b64 s[8:9], s[0:1]
	s_cbranch_execz .LBB121_19
; %bb.15:
	s_load_dword s7, s[4:5], 0x44
	s_waitcnt lgkmcnt(0)
	v_rcp_f32_e32 v5, v2
	s_cmp_lg_u64 s[10:11], 0
	s_cselect_b64 s[2:3], -1, 0
	v_cndmask_b32_e64 v2, 0, 1, s[2:3]
	s_and_b32 s7, s7, 0xffff
	s_mov_b64 s[18:19], 0
	v_lshl_add_u32 v6, v0, 2, 0
	s_lshl_b32 s20, s7, 2
	v_cmp_ne_u32_e64 s[2:3], 1, v2
	v_mov_b32_e32 v2, v0
	s_branch .LBB121_17
.LBB121_16:                             ;   in Loop: Header=BB121_17 Depth=1
	v_add_u32_e32 v2, s7, v2
	v_cmp_le_i32_e32 vcc, s16, v2
	s_or_b64 s[18:19], vcc, s[18:19]
	v_add_u32_e32 v6, s20, v6
	s_andn2_b64 exec, exec, s[18:19]
	s_cbranch_execz .LBB121_19
.LBB121_17:                             ; =>This Inner Loop Header: Depth=1
	ds_read_b32 v3, v6
	s_and_b64 vcc, exec, s[2:3]
	s_waitcnt lgkmcnt(0)
	v_mul_f32_e32 v7, v5, v3
	ds_write_b32 v6, v7
	s_cbranch_vccnz .LBB121_16
; %bb.18:                               ;   in Loop: Header=BB121_17 Depth=1
	v_ashrrev_i32_e32 v3, 31, v2
	v_lshlrev_b64 v[8:9], 2, v[2:3]
	v_mov_b32_e32 v3, s11
	v_add_co_u32_e32 v8, vcc, s10, v8
	v_addc_co_u32_e32 v9, vcc, v3, v9, vcc
	global_load_dword v3, v[8:9], off
	s_waitcnt vmcnt(0)
	v_add_f32_e32 v3, v7, v3
	ds_write_b32 v6, v3
	s_branch .LBB121_16
.LBB121_19:
	s_or_b64 exec, exec, s[8:9]
	s_cmp_lt_i32 s17, 1
	v_mov_b32_e32 v3, 0
	s_waitcnt lgkmcnt(0)
	s_barrier
	s_cbranch_scc1 .LBB121_28
; %bb.20:
	s_add_u32 s2, s4, 56
	s_addc_u32 s3, s5, 0
	s_cmp_lg_u64 s[10:11], 0
	s_cselect_b64 s[8:9], -1, 0
	s_mov_b32 s7, 0
	v_mov_b32_e32 v3, 0
	v_mov_b32_e32 v6, 0xff800000
	;; [unrolled: 1-line block ×4, first 2 shown]
	s_branch .LBB121_22
.LBB121_21:                             ;   in Loop: Header=BB121_22 Depth=1
	s_lshl_b32 s19, s18, 2
	s_add_i32 s19, s19, 0
	v_mov_b32_e32 v7, s19
	ds_write_b32 v7, v6
	v_mov_b32_e32 v7, s18
	v_cmp_eq_u32_e32 vcc, s7, v0
	s_add_i32 s7, s7, 1
	v_cndmask_b32_e32 v2, v2, v7, vcc
	v_cndmask_b32_e32 v3, v3, v9, vcc
	s_cmp_eq_u32 s7, s17
	v_add_f32_e32 v5, v5, v9
	s_cbranch_scc1 .LBB121_29
.LBB121_22:                             ; =>This Loop Header: Depth=1
                                        ;     Child Loop BB121_24 Depth 2
	v_mov_b32_e32 v7, s7
	v_mov_b32_e32 v8, 0xff800000
	s_and_saveexec_b64 s[18:19], s[0:1]
	s_cbranch_execz .LBB121_26
; %bb.23:                               ;   in Loop: Header=BB121_22 Depth=1
	s_load_dword s22, s[2:3], 0xc
	s_mov_b64 s[20:21], 0
	v_mov_b32_e32 v7, s7
	v_mov_b32_e32 v8, 0xff800000
	;; [unrolled: 1-line block ×3, first 2 shown]
	s_waitcnt lgkmcnt(0)
	s_and_b32 s22, s22, 0xffff
	s_lshl_b32 s23, s22, 2
	v_mov_b32_e32 v10, v0
.LBB121_24:                             ;   Parent Loop BB121_22 Depth=1
                                        ; =>  This Inner Loop Header: Depth=2
	ds_read_b32 v11, v9
	v_add_u32_e32 v9, s23, v9
	s_waitcnt lgkmcnt(0)
	v_cmp_gt_f32_e32 vcc, v11, v8
	v_cndmask_b32_e32 v7, v7, v10, vcc
	v_add_u32_e32 v10, s22, v10
	v_cndmask_b32_e32 v8, v8, v11, vcc
	v_cmp_le_i32_e32 vcc, s16, v10
	s_or_b64 s[20:21], vcc, s[20:21]
	s_andn2_b64 exec, exec, s[20:21]
	s_cbranch_execnz .LBB121_24
; %bb.25:                               ;   in Loop: Header=BB121_22 Depth=1
	s_or_b64 exec, exec, s[20:21]
.LBB121_26:                             ;   in Loop: Header=BB121_22 Depth=1
	s_or_b64 exec, exec, s[18:19]
	;;#ASMSTART
	v_max_f32 v9, v8, v8 quad_perm:[1,0,3,2] row_mask:0xf bank_mask:0xf bound_ctrl:1
	;;#ASMEND
	;;#ASMSTART
	v_max_f32 v10, v9, v9 quad_perm:[2,3,0,1] row_mask:0xf bank_mask:0xf bound_ctrl:1
	;;#ASMEND
	;;#ASMSTART
	v_max_f32 v9, v10, v10 row_half_mirror row_mask:0xf bank_mask:0xf bound_ctrl:1
	;;#ASMEND
	;;#ASMSTART
	v_max_f32 v10, v9, v9 row_mirror row_mask:0xf bank_mask:0xf bound_ctrl:1
	;;#ASMEND
	;;#ASMSTART
	v_max_f32 v9, v10, v10 row_ror:4 row_mask:0xf bank_mask:0xf bound_ctrl:1
	;;#ASMEND
	;;#ASMSTART
	v_max_f32 v10, v9, v9 row_ror:8 row_mask:0xf bank_mask:0xf bound_ctrl:1
	;;#ASMEND
	;;#ASMSTART
	v_max_f32 v9, v10, v10 row_bcast:15 row_mask:0xf bank_mask:0xf bound_ctrl:1
	;;#ASMEND
	;;#ASMSTART
	v_max_f32 v10, v9, v9 row_bcast:31 row_mask:0xf bank_mask:0xf bound_ctrl:1
	;;#ASMEND
	ds_bpermute_b32 v9, v4, v10
	s_waitcnt lgkmcnt(0)
	v_cmp_eq_f32_e32 vcc, v8, v9
	s_ff1_i32_b64 s18, vcc
	s_cmp_lg_u64 vcc, 0
	s_cselect_b32 s18, s18, 0
	s_and_b64 vcc, exec, s[8:9]
	v_readlane_b32 s18, v7, s18
	s_cbranch_vccz .LBB121_21
; %bb.27:                               ;   in Loop: Header=BB121_22 Depth=1
	s_ashr_i32 s19, s18, 31
	s_lshl_b64 s[20:21], s[18:19], 2
	s_add_u32 s20, s10, s20
	s_addc_u32 s21, s11, s21
	s_load_dword s19, s[20:21], 0x0
	s_waitcnt lgkmcnt(0)
	v_subrev_f32_e32 v9, s19, v9
	s_branch .LBB121_21
.LBB121_28:
	v_mov_b32_e32 v2, 0
	v_mov_b32_e32 v5, 0
.LBB121_29:
	v_cmp_gt_i32_e32 vcc, s17, v0
	s_and_saveexec_b64 s[0:1], vcc
	s_cbranch_execz .LBB121_32
; %bb.30:
	s_load_dword s2, s[4:5], 0x34
	v_max_f32_e32 v1, v5, v5
	v_max_f32_e32 v1, 0x1e3ce508, v1
	s_load_dword s3, s[4:5], 0x44
	s_waitcnt lgkmcnt(0)
	v_div_scale_f32 v4, s[0:1], v1, v1, s2
	s_load_dwordx2 s[0:1], s[4:5], 0x20
	v_rcp_f32_e32 v5, v4
	v_div_scale_f32 v6, vcc, s2, v1, s2
	s_and_b32 s3, s3, 0xffff
	v_fma_f32 v7, -v4, v5, 1.0
	v_fmac_f32_e32 v5, v7, v5
	v_mul_f32_e32 v7, v6, v5
	v_fma_f32 v8, -v4, v7, v6
	v_fmac_f32_e32 v7, v8, v5
	v_fma_f32 v4, -v4, v7, v6
	v_div_fmas_f32 v4, v4, v5, v7
	v_div_fixup_f32 v1, v4, v1, s2
	s_ashr_i32 s2, s6, 31
	s_waitcnt lgkmcnt(0)
	s_mul_i32 s1, s6, s1
	s_mul_hi_u32 s4, s6, s0
	s_add_i32 s1, s4, s1
	s_mul_i32 s2, s2, s0
	s_add_i32 s4, s1, s2
	v_mul_f32_e32 v1, v3, v1
	s_mul_i32 s2, s6, s0
	s_mov_b64 s[0:1], 0
	v_mov_b32_e32 v3, s4
	v_mov_b32_e32 v4, s13
	;; [unrolled: 1-line block ×3, first 2 shown]
.LBB121_31:                             ; =>This Inner Loop Header: Depth=1
	v_ashrrev_i32_e32 v7, 31, v0
	v_add_co_u32_e32 v6, vcc, s2, v0
	v_addc_co_u32_e32 v7, vcc, v3, v7, vcc
	v_add_u32_e32 v0, s3, v0
	v_cmp_le_i32_e32 vcc, s17, v0
	v_lshlrev_b64 v[6:7], 2, v[6:7]
	s_or_b64 s[0:1], vcc, s[0:1]
	v_add_co_u32_e32 v8, vcc, s12, v6
	v_addc_co_u32_e32 v9, vcc, v4, v7, vcc
	v_add_co_u32_e32 v6, vcc, s14, v6
	v_addc_co_u32_e32 v7, vcc, v5, v7, vcc
	global_store_dword v[8:9], v1, off
	global_store_dword v[6:7], v2, off
	s_andn2_b64 exec, exec, s[0:1]
	s_cbranch_execnz .LBB121_31
.LBB121_32:
	s_endpgm
	.section	.rodata,"a",@progbits
	.p2align	6, 0x0
	.amdhsa_kernel _ZN5aiter20topk_softplus_kernelI6__halffDv1_fLb1ELi2EEEvPKT_PKT0_PfPimiiif
		.amdhsa_group_segment_fixed_size 0
		.amdhsa_private_segment_fixed_size 0
		.amdhsa_kernarg_size 312
		.amdhsa_user_sgpr_count 6
		.amdhsa_user_sgpr_private_segment_buffer 1
		.amdhsa_user_sgpr_dispatch_ptr 0
		.amdhsa_user_sgpr_queue_ptr 0
		.amdhsa_user_sgpr_kernarg_segment_ptr 1
		.amdhsa_user_sgpr_dispatch_id 0
		.amdhsa_user_sgpr_flat_scratch_init 0
		.amdhsa_user_sgpr_kernarg_preload_length 0
		.amdhsa_user_sgpr_kernarg_preload_offset 0
		.amdhsa_user_sgpr_private_segment_size 0
		.amdhsa_uses_dynamic_stack 0
		.amdhsa_system_sgpr_private_segment_wavefront_offset 0
		.amdhsa_system_sgpr_workgroup_id_x 1
		.amdhsa_system_sgpr_workgroup_id_y 0
		.amdhsa_system_sgpr_workgroup_id_z 0
		.amdhsa_system_sgpr_workgroup_info 0
		.amdhsa_system_vgpr_workitem_id 0
		.amdhsa_next_free_vgpr 12
		.amdhsa_next_free_sgpr 24
		.amdhsa_accum_offset 12
		.amdhsa_reserve_vcc 1
		.amdhsa_reserve_flat_scratch 0
		.amdhsa_float_round_mode_32 0
		.amdhsa_float_round_mode_16_64 0
		.amdhsa_float_denorm_mode_32 3
		.amdhsa_float_denorm_mode_16_64 3
		.amdhsa_dx10_clamp 1
		.amdhsa_ieee_mode 1
		.amdhsa_fp16_overflow 0
		.amdhsa_tg_split 0
		.amdhsa_exception_fp_ieee_invalid_op 0
		.amdhsa_exception_fp_denorm_src 0
		.amdhsa_exception_fp_ieee_div_zero 0
		.amdhsa_exception_fp_ieee_overflow 0
		.amdhsa_exception_fp_ieee_underflow 0
		.amdhsa_exception_fp_ieee_inexact 0
		.amdhsa_exception_int_div_zero 0
	.end_amdhsa_kernel
	.section	.text._ZN5aiter20topk_softplus_kernelI6__halffDv1_fLb1ELi2EEEvPKT_PKT0_PfPimiiif,"axG",@progbits,_ZN5aiter20topk_softplus_kernelI6__halffDv1_fLb1ELi2EEEvPKT_PKT0_PfPimiiif,comdat
.Lfunc_end121:
	.size	_ZN5aiter20topk_softplus_kernelI6__halffDv1_fLb1ELi2EEEvPKT_PKT0_PfPimiiif, .Lfunc_end121-_ZN5aiter20topk_softplus_kernelI6__halffDv1_fLb1ELi2EEEvPKT_PKT0_PfPimiiif
                                        ; -- End function
	.section	.AMDGPU.csdata,"",@progbits
; Kernel info:
; codeLenInByte = 1664
; NumSgprs: 28
; NumVgprs: 12
; NumAgprs: 0
; TotalNumVgprs: 12
; ScratchSize: 0
; MemoryBound: 0
; FloatMode: 240
; IeeeMode: 1
; LDSByteSize: 0 bytes/workgroup (compile time only)
; SGPRBlocks: 3
; VGPRBlocks: 1
; NumSGPRsForWavesPerEU: 28
; NumVGPRsForWavesPerEU: 12
; AccumOffset: 12
; Occupancy: 8
; WaveLimiterHint : 0
; COMPUTE_PGM_RSRC2:SCRATCH_EN: 0
; COMPUTE_PGM_RSRC2:USER_SGPR: 6
; COMPUTE_PGM_RSRC2:TRAP_HANDLER: 0
; COMPUTE_PGM_RSRC2:TGID_X_EN: 1
; COMPUTE_PGM_RSRC2:TGID_Y_EN: 0
; COMPUTE_PGM_RSRC2:TGID_Z_EN: 0
; COMPUTE_PGM_RSRC2:TIDIG_COMP_CNT: 0
; COMPUTE_PGM_RSRC3_GFX90A:ACCUM_OFFSET: 2
; COMPUTE_PGM_RSRC3_GFX90A:TG_SPLIT: 0
	.section	.text._ZN5aiter20topk_softplus_kernelI6__halffDv1_fLb0ELi2EEEvPKT_PKT0_PfPimiiif,"axG",@progbits,_ZN5aiter20topk_softplus_kernelI6__halffDv1_fLb0ELi2EEEvPKT_PKT0_PfPimiiif,comdat
	.protected	_ZN5aiter20topk_softplus_kernelI6__halffDv1_fLb0ELi2EEEvPKT_PKT0_PfPimiiif ; -- Begin function _ZN5aiter20topk_softplus_kernelI6__halffDv1_fLb0ELi2EEEvPKT_PKT0_PfPimiiif
	.globl	_ZN5aiter20topk_softplus_kernelI6__halffDv1_fLb0ELi2EEEvPKT_PKT0_PfPimiiif
	.p2align	8
	.type	_ZN5aiter20topk_softplus_kernelI6__halffDv1_fLb0ELi2EEEvPKT_PKT0_PfPimiiif,@function
_ZN5aiter20topk_softplus_kernelI6__halffDv1_fLb0ELi2EEEvPKT_PKT0_PfPimiiif: ; @_ZN5aiter20topk_softplus_kernelI6__halffDv1_fLb0ELi2EEEvPKT_PKT0_PfPimiiif
; %bb.0:
	s_load_dwordx2 s[16:17], s[4:5], 0x28
	s_load_dwordx8 s[8:15], s[4:5], 0x0
	v_lshl_add_u32 v1, v0, 2, 0
	s_waitcnt lgkmcnt(0)
	s_mul_i32 s2, s6, s16
	s_ashr_i32 s3, s2, 31
	s_lshl_b64 s[2:3], s[2:3], 1
	s_add_u32 s7, s8, s2
	v_cmp_gt_i32_e64 s[0:1], s16, v0
	s_addc_u32 s18, s9, s3
	s_and_saveexec_b64 s[2:3], s[0:1]
	s_cbranch_execz .LBB122_3
; %bb.1:
	s_load_dword s19, s[4:5], 0x44
	v_lshl_add_u32 v4, v0, 2, 0
	s_mov_b64 s[8:9], 0
	v_mov_b32_e32 v5, s18
	v_mov_b32_e32 v2, v0
	s_waitcnt lgkmcnt(0)
	s_and_b32 s19, s19, 0xffff
	s_lshl_b32 s20, s19, 2
.LBB122_2:                              ; =>This Inner Loop Header: Depth=1
	v_ashrrev_i32_e32 v3, 31, v2
	v_lshlrev_b64 v[6:7], 1, v[2:3]
	v_add_co_u32_e32 v6, vcc, s7, v6
	v_addc_co_u32_e32 v7, vcc, v5, v7, vcc
	global_load_ushort v3, v[6:7], off
	v_add_u32_e32 v2, s19, v2
	v_cmp_le_i32_e32 vcc, s16, v2
	s_or_b64 s[8:9], vcc, s[8:9]
	s_waitcnt vmcnt(0)
	v_cvt_f32_f16_e32 v3, v3
	ds_write_b32 v4, v3
	v_add_u32_e32 v4, s20, v4
	s_andn2_b64 exec, exec, s[8:9]
	s_cbranch_execnz .LBB122_2
.LBB122_3:
	s_or_b64 exec, exec, s[2:3]
	v_add_u32_e32 v2, s16, v0
	v_cmp_gt_i32_e32 vcc, s16, v2
	s_and_saveexec_b64 s[2:3], vcc
	s_cbranch_execz .LBB122_6
; %bb.4:
	s_load_dword s19, s[4:5], 0x44
	v_lshl_add_u32 v4, v2, 2, 0
	s_mov_b64 s[8:9], 0
	v_mov_b32_e32 v5, s18
	s_waitcnt lgkmcnt(0)
	s_and_b32 s19, s19, 0xffff
	s_lshl_b32 s20, s19, 2
.LBB122_5:                              ; =>This Inner Loop Header: Depth=1
	v_ashrrev_i32_e32 v3, 31, v2
	v_lshlrev_b64 v[6:7], 1, v[2:3]
	v_add_co_u32_e32 v6, vcc, s7, v6
	v_addc_co_u32_e32 v7, vcc, v5, v7, vcc
	global_load_ushort v3, v[6:7], off
	v_add_u32_e32 v2, s19, v2
	v_cmp_le_i32_e32 vcc, s16, v2
	s_or_b64 s[8:9], vcc, s[8:9]
	s_waitcnt vmcnt(0)
	v_cvt_f32_f16_e32 v3, v3
	ds_write_b32 v4, v3
	v_add_u32_e32 v4, s20, v4
	s_andn2_b64 exec, exec, s[8:9]
	s_cbranch_execnz .LBB122_5
.LBB122_6:
	s_or_b64 exec, exec, s[2:3]
	v_mov_b32_e32 v2, 0xff800000
	s_waitcnt lgkmcnt(0)
	s_barrier
	s_and_saveexec_b64 s[2:3], s[0:1]
	s_cbranch_execz .LBB122_10
; %bb.7:
	s_load_dword s7, s[4:5], 0x44
	v_lshl_add_u32 v3, v0, 2, 0
	s_mov_b64 s[8:9], 0
	v_mov_b32_e32 v2, 0xff800000
	v_mov_b32_e32 v4, v0
	s_waitcnt lgkmcnt(0)
	s_and_b32 s7, s7, 0xffff
	s_lshl_b32 s18, s7, 2
.LBB122_8:                              ; =>This Inner Loop Header: Depth=1
	ds_read_b32 v5, v3
	v_add_u32_e32 v4, s7, v4
	v_max_f32_e32 v2, v2, v2
	v_cmp_le_i32_e32 vcc, s16, v4
	v_add_u32_e32 v3, s18, v3
	s_waitcnt lgkmcnt(0)
	v_max_f32_e32 v5, v5, v5
	s_or_b64 s[8:9], vcc, s[8:9]
	v_max_f32_e32 v2, v2, v5
	s_andn2_b64 exec, exec, s[8:9]
	s_cbranch_execnz .LBB122_8
; %bb.9:
	s_or_b64 exec, exec, s[8:9]
.LBB122_10:
	s_or_b64 exec, exec, s[2:3]
	;;#ASMSTART
	v_max_f32 v3, v2, v2 quad_perm:[1,0,3,2] row_mask:0xf bank_mask:0xf bound_ctrl:1
	;;#ASMEND
	;;#ASMSTART
	v_max_f32 v2, v3, v3 quad_perm:[2,3,0,1] row_mask:0xf bank_mask:0xf bound_ctrl:1
	;;#ASMEND
	;;#ASMSTART
	v_max_f32 v3, v2, v2 row_half_mirror row_mask:0xf bank_mask:0xf bound_ctrl:1
	;;#ASMEND
	;;#ASMSTART
	v_max_f32 v2, v3, v3 row_mirror row_mask:0xf bank_mask:0xf bound_ctrl:1
	;;#ASMEND
	;;#ASMSTART
	v_max_f32 v3, v2, v2 row_ror:4 row_mask:0xf bank_mask:0xf bound_ctrl:1
	;;#ASMEND
	;;#ASMSTART
	v_max_f32 v2, v3, v3 row_ror:8 row_mask:0xf bank_mask:0xf bound_ctrl:1
	;;#ASMEND
	;;#ASMSTART
	v_max_f32 v3, v2, v2 row_bcast:15 row_mask:0xf bank_mask:0xf bound_ctrl:1
	;;#ASMEND
	;;#ASMSTART
	v_max_f32 v2, v3, v3 row_bcast:31 row_mask:0xf bank_mask:0xf bound_ctrl:1
	;;#ASMEND
	v_mbcnt_lo_u32_b32 v3, -1, 0
	v_mbcnt_hi_u32_b32 v3, -1, v3
	v_bfrev_b32_e32 v4, 0.5
	v_lshl_or_b32 v4, v3, 2, v4
	ds_bpermute_b32 v3, v4, v2
	v_mov_b32_e32 v2, 0
	s_and_saveexec_b64 s[8:9], s[0:1]
	s_cbranch_execz .LBB122_14
; %bb.11:
	s_load_dword s2, s[4:5], 0x44
	v_lshl_add_u32 v5, v0, 2, 0
	s_mov_b64 s[18:19], 0
	v_mov_b32_e32 v2, 0
	s_mov_b32 s7, 0xc2fc0000
	s_waitcnt lgkmcnt(0)
	s_and_b32 s20, s2, 0xffff
	s_lshl_b32 s21, s20, 2
	v_mov_b32_e32 v6, 0x42800000
	v_mov_b32_e32 v7, 0x1f800000
	;; [unrolled: 1-line block ×3, first 2 shown]
.LBB122_12:                             ; =>This Inner Loop Header: Depth=1
	ds_read_b32 v9, v5
	v_add_u32_e32 v8, s20, v8
	v_cmp_le_i32_e64 s[2:3], s16, v8
	s_or_b64 s[18:19], s[2:3], s[18:19]
	s_waitcnt lgkmcnt(0)
	v_sub_f32_e32 v9, v9, v3
	v_mul_f32_e32 v10, 0x3fb8aa3b, v9
	v_cmp_gt_f32_e32 vcc, s7, v10
	v_cndmask_b32_e32 v10, 0, v6, vcc
	v_fmac_f32_e32 v10, 0x3fb8aa3b, v9
	v_exp_f32_e32 v9, v10
	v_cndmask_b32_e32 v10, 1.0, v7, vcc
	v_mul_f32_e32 v11, v9, v10
	v_fmac_f32_e32 v2, v9, v10
	ds_write_b32 v5, v11
	v_add_u32_e32 v5, s21, v5
	s_andn2_b64 exec, exec, s[18:19]
	s_cbranch_execnz .LBB122_12
; %bb.13:
	s_or_b64 exec, exec, s[18:19]
.LBB122_14:
	s_or_b64 exec, exec, s[8:9]
	s_waitcnt lgkmcnt(0)
	v_mov_b32_dpp v3, v2 quad_perm:[1,0,3,2] row_mask:0xf bank_mask:0xf
	v_add_f32_e32 v2, v2, v3
	s_nop 1
	v_mov_b32_dpp v3, v2 quad_perm:[2,3,0,1] row_mask:0xf bank_mask:0xf
	v_add_f32_e32 v2, v2, v3
	s_nop 1
	v_mov_b32_dpp v3, v2 row_half_mirror row_mask:0xf bank_mask:0xf
	v_add_f32_e32 v2, v2, v3
	s_nop 1
	v_mov_b32_dpp v3, v2 row_mirror row_mask:0xf bank_mask:0xf
	v_add_f32_e32 v2, v2, v3
	s_nop 1
	v_mov_b32_dpp v3, v2 row_bcast:15 row_mask:0xf bank_mask:0xf
	v_add_f32_e32 v2, v2, v3
	s_nop 1
	v_mov_b32_dpp v3, v2 row_bcast:31 row_mask:0xf bank_mask:0xf
	v_add_f32_e32 v2, v2, v3
	ds_bpermute_b32 v2, v4, v2
	s_and_saveexec_b64 s[8:9], s[0:1]
	s_cbranch_execz .LBB122_19
; %bb.15:
	s_load_dword s7, s[4:5], 0x44
	s_waitcnt lgkmcnt(0)
	v_rcp_f32_e32 v5, v2
	s_cmp_lg_u64 s[10:11], 0
	s_cselect_b64 s[2:3], -1, 0
	v_cndmask_b32_e64 v2, 0, 1, s[2:3]
	s_and_b32 s7, s7, 0xffff
	s_mov_b64 s[18:19], 0
	v_lshl_add_u32 v6, v0, 2, 0
	s_lshl_b32 s20, s7, 2
	v_cmp_ne_u32_e64 s[2:3], 1, v2
	v_mov_b32_e32 v2, v0
	s_branch .LBB122_17
.LBB122_16:                             ;   in Loop: Header=BB122_17 Depth=1
	v_add_u32_e32 v2, s7, v2
	v_cmp_le_i32_e32 vcc, s16, v2
	s_or_b64 s[18:19], vcc, s[18:19]
	v_add_u32_e32 v6, s20, v6
	s_andn2_b64 exec, exec, s[18:19]
	s_cbranch_execz .LBB122_19
.LBB122_17:                             ; =>This Inner Loop Header: Depth=1
	ds_read_b32 v3, v6
	s_and_b64 vcc, exec, s[2:3]
	s_waitcnt lgkmcnt(0)
	v_mul_f32_e32 v7, v5, v3
	ds_write_b32 v6, v7
	s_cbranch_vccnz .LBB122_16
; %bb.18:                               ;   in Loop: Header=BB122_17 Depth=1
	v_ashrrev_i32_e32 v3, 31, v2
	v_lshlrev_b64 v[8:9], 2, v[2:3]
	v_mov_b32_e32 v3, s11
	v_add_co_u32_e32 v8, vcc, s10, v8
	v_addc_co_u32_e32 v9, vcc, v3, v9, vcc
	global_load_dword v3, v[8:9], off
	s_waitcnt vmcnt(0)
	v_add_f32_e32 v3, v7, v3
	ds_write_b32 v6, v3
	s_branch .LBB122_16
.LBB122_19:
	s_or_b64 exec, exec, s[8:9]
	s_cmp_lt_i32 s17, 1
	s_waitcnt lgkmcnt(0)
	s_barrier
	s_cbranch_scc1 .LBB122_28
; %bb.20:
	s_add_u32 s2, s4, 56
	s_addc_u32 s3, s5, 0
	s_cmp_lg_u64 s[10:11], 0
	s_cselect_b64 s[8:9], -1, 0
	s_mov_b32 s7, 0
	v_mov_b32_e32 v2, 0
	v_mov_b32_e32 v3, 0
	;; [unrolled: 1-line block ×3, first 2 shown]
	s_branch .LBB122_22
.LBB122_21:                             ;   in Loop: Header=BB122_22 Depth=1
	s_lshl_b32 s19, s18, 2
	s_add_i32 s19, s19, 0
	v_mov_b32_e32 v6, s19
	ds_write_b32 v6, v5
	v_mov_b32_e32 v6, s18
	v_cmp_eq_u32_e32 vcc, s7, v0
	s_add_i32 s7, s7, 1
	v_cndmask_b32_e32 v2, v2, v6, vcc
	s_cmp_eq_u32 s7, s17
	v_cndmask_b32_e32 v3, v3, v8, vcc
	s_cbranch_scc1 .LBB122_29
.LBB122_22:                             ; =>This Loop Header: Depth=1
                                        ;     Child Loop BB122_24 Depth 2
	v_mov_b32_e32 v6, s7
	v_mov_b32_e32 v7, 0xff800000
	s_and_saveexec_b64 s[18:19], s[0:1]
	s_cbranch_execz .LBB122_26
; %bb.23:                               ;   in Loop: Header=BB122_22 Depth=1
	s_load_dword s22, s[2:3], 0xc
	s_mov_b64 s[20:21], 0
	v_mov_b32_e32 v6, s7
	v_mov_b32_e32 v7, 0xff800000
	;; [unrolled: 1-line block ×3, first 2 shown]
	s_waitcnt lgkmcnt(0)
	s_and_b32 s22, s22, 0xffff
	s_lshl_b32 s23, s22, 2
	v_mov_b32_e32 v9, v0
.LBB122_24:                             ;   Parent Loop BB122_22 Depth=1
                                        ; =>  This Inner Loop Header: Depth=2
	ds_read_b32 v10, v8
	v_add_u32_e32 v8, s23, v8
	s_waitcnt lgkmcnt(0)
	v_cmp_gt_f32_e32 vcc, v10, v7
	v_cndmask_b32_e32 v6, v6, v9, vcc
	v_add_u32_e32 v9, s22, v9
	v_cndmask_b32_e32 v7, v7, v10, vcc
	v_cmp_le_i32_e32 vcc, s16, v9
	s_or_b64 s[20:21], vcc, s[20:21]
	s_andn2_b64 exec, exec, s[20:21]
	s_cbranch_execnz .LBB122_24
; %bb.25:                               ;   in Loop: Header=BB122_22 Depth=1
	s_or_b64 exec, exec, s[20:21]
.LBB122_26:                             ;   in Loop: Header=BB122_22 Depth=1
	s_or_b64 exec, exec, s[18:19]
	;;#ASMSTART
	v_max_f32 v8, v7, v7 quad_perm:[1,0,3,2] row_mask:0xf bank_mask:0xf bound_ctrl:1
	;;#ASMEND
	;;#ASMSTART
	v_max_f32 v9, v8, v8 quad_perm:[2,3,0,1] row_mask:0xf bank_mask:0xf bound_ctrl:1
	;;#ASMEND
	;;#ASMSTART
	v_max_f32 v8, v9, v9 row_half_mirror row_mask:0xf bank_mask:0xf bound_ctrl:1
	;;#ASMEND
	;;#ASMSTART
	v_max_f32 v9, v8, v8 row_mirror row_mask:0xf bank_mask:0xf bound_ctrl:1
	;;#ASMEND
	;;#ASMSTART
	v_max_f32 v8, v9, v9 row_ror:4 row_mask:0xf bank_mask:0xf bound_ctrl:1
	;;#ASMEND
	;;#ASMSTART
	v_max_f32 v9, v8, v8 row_ror:8 row_mask:0xf bank_mask:0xf bound_ctrl:1
	;;#ASMEND
	;;#ASMSTART
	v_max_f32 v8, v9, v9 row_bcast:15 row_mask:0xf bank_mask:0xf bound_ctrl:1
	;;#ASMEND
	;;#ASMSTART
	v_max_f32 v9, v8, v8 row_bcast:31 row_mask:0xf bank_mask:0xf bound_ctrl:1
	;;#ASMEND
	ds_bpermute_b32 v8, v4, v9
	s_waitcnt lgkmcnt(0)
	v_cmp_eq_f32_e32 vcc, v7, v8
	s_ff1_i32_b64 s18, vcc
	s_cmp_lg_u64 vcc, 0
	s_cselect_b32 s18, s18, 0
	s_and_b64 vcc, exec, s[8:9]
	v_readlane_b32 s18, v6, s18
	s_cbranch_vccz .LBB122_21
; %bb.27:                               ;   in Loop: Header=BB122_22 Depth=1
	s_ashr_i32 s19, s18, 31
	s_lshl_b64 s[20:21], s[18:19], 2
	s_add_u32 s20, s10, s20
	s_addc_u32 s21, s11, s21
	s_load_dword s19, s[20:21], 0x0
	s_waitcnt lgkmcnt(0)
	v_subrev_f32_e32 v8, s19, v8
	s_branch .LBB122_21
.LBB122_28:
	v_mov_b32_e32 v3, 0
	v_mov_b32_e32 v2, 0
.LBB122_29:
	v_cmp_gt_i32_e32 vcc, s17, v0
	s_and_saveexec_b64 s[0:1], vcc
	s_cbranch_execz .LBB122_32
; %bb.30:
	s_load_dword s2, s[4:5], 0x34
	s_load_dwordx2 s[0:1], s[4:5], 0x20
	s_ashr_i32 s3, s6, 31
	s_load_dword s4, s[4:5], 0x44
	v_mov_b32_e32 v4, s13
	s_waitcnt lgkmcnt(0)
	v_mul_f32_e32 v1, s2, v3
	s_mul_i32 s1, s6, s1
	s_mul_hi_u32 s2, s6, s0
	s_add_i32 s1, s2, s1
	s_mul_i32 s3, s3, s0
	s_add_i32 s5, s1, s3
	s_mul_i32 s2, s6, s0
	s_and_b32 s3, s4, 0xffff
	s_mov_b64 s[0:1], 0
	v_mov_b32_e32 v3, s5
	v_mov_b32_e32 v5, s15
.LBB122_31:                             ; =>This Inner Loop Header: Depth=1
	v_ashrrev_i32_e32 v7, 31, v0
	v_add_co_u32_e32 v6, vcc, s2, v0
	v_addc_co_u32_e32 v7, vcc, v3, v7, vcc
	v_add_u32_e32 v0, s3, v0
	v_cmp_le_i32_e32 vcc, s17, v0
	v_lshlrev_b64 v[6:7], 2, v[6:7]
	s_or_b64 s[0:1], vcc, s[0:1]
	v_add_co_u32_e32 v8, vcc, s12, v6
	v_addc_co_u32_e32 v9, vcc, v4, v7, vcc
	v_add_co_u32_e32 v6, vcc, s14, v6
	v_addc_co_u32_e32 v7, vcc, v5, v7, vcc
	global_store_dword v[8:9], v1, off
	global_store_dword v[6:7], v2, off
	s_andn2_b64 exec, exec, s[0:1]
	s_cbranch_execnz .LBB122_31
.LBB122_32:
	s_endpgm
	.section	.rodata,"a",@progbits
	.p2align	6, 0x0
	.amdhsa_kernel _ZN5aiter20topk_softplus_kernelI6__halffDv1_fLb0ELi2EEEvPKT_PKT0_PfPimiiif
		.amdhsa_group_segment_fixed_size 0
		.amdhsa_private_segment_fixed_size 0
		.amdhsa_kernarg_size 312
		.amdhsa_user_sgpr_count 6
		.amdhsa_user_sgpr_private_segment_buffer 1
		.amdhsa_user_sgpr_dispatch_ptr 0
		.amdhsa_user_sgpr_queue_ptr 0
		.amdhsa_user_sgpr_kernarg_segment_ptr 1
		.amdhsa_user_sgpr_dispatch_id 0
		.amdhsa_user_sgpr_flat_scratch_init 0
		.amdhsa_user_sgpr_kernarg_preload_length 0
		.amdhsa_user_sgpr_kernarg_preload_offset 0
		.amdhsa_user_sgpr_private_segment_size 0
		.amdhsa_uses_dynamic_stack 0
		.amdhsa_system_sgpr_private_segment_wavefront_offset 0
		.amdhsa_system_sgpr_workgroup_id_x 1
		.amdhsa_system_sgpr_workgroup_id_y 0
		.amdhsa_system_sgpr_workgroup_id_z 0
		.amdhsa_system_sgpr_workgroup_info 0
		.amdhsa_system_vgpr_workitem_id 0
		.amdhsa_next_free_vgpr 12
		.amdhsa_next_free_sgpr 24
		.amdhsa_accum_offset 12
		.amdhsa_reserve_vcc 1
		.amdhsa_reserve_flat_scratch 0
		.amdhsa_float_round_mode_32 0
		.amdhsa_float_round_mode_16_64 0
		.amdhsa_float_denorm_mode_32 3
		.amdhsa_float_denorm_mode_16_64 3
		.amdhsa_dx10_clamp 1
		.amdhsa_ieee_mode 1
		.amdhsa_fp16_overflow 0
		.amdhsa_tg_split 0
		.amdhsa_exception_fp_ieee_invalid_op 0
		.amdhsa_exception_fp_denorm_src 0
		.amdhsa_exception_fp_ieee_div_zero 0
		.amdhsa_exception_fp_ieee_overflow 0
		.amdhsa_exception_fp_ieee_underflow 0
		.amdhsa_exception_fp_ieee_inexact 0
		.amdhsa_exception_int_div_zero 0
	.end_amdhsa_kernel
	.section	.text._ZN5aiter20topk_softplus_kernelI6__halffDv1_fLb0ELi2EEEvPKT_PKT0_PfPimiiif,"axG",@progbits,_ZN5aiter20topk_softplus_kernelI6__halffDv1_fLb0ELi2EEEvPKT_PKT0_PfPimiiif,comdat
.Lfunc_end122:
	.size	_ZN5aiter20topk_softplus_kernelI6__halffDv1_fLb0ELi2EEEvPKT_PKT0_PfPimiiif, .Lfunc_end122-_ZN5aiter20topk_softplus_kernelI6__halffDv1_fLb0ELi2EEEvPKT_PKT0_PfPimiiif
                                        ; -- End function
	.section	.AMDGPU.csdata,"",@progbits
; Kernel info:
; codeLenInByte = 1564
; NumSgprs: 28
; NumVgprs: 12
; NumAgprs: 0
; TotalNumVgprs: 12
; ScratchSize: 0
; MemoryBound: 0
; FloatMode: 240
; IeeeMode: 1
; LDSByteSize: 0 bytes/workgroup (compile time only)
; SGPRBlocks: 3
; VGPRBlocks: 1
; NumSGPRsForWavesPerEU: 28
; NumVGPRsForWavesPerEU: 12
; AccumOffset: 12
; Occupancy: 8
; WaveLimiterHint : 0
; COMPUTE_PGM_RSRC2:SCRATCH_EN: 0
; COMPUTE_PGM_RSRC2:USER_SGPR: 6
; COMPUTE_PGM_RSRC2:TRAP_HANDLER: 0
; COMPUTE_PGM_RSRC2:TGID_X_EN: 1
; COMPUTE_PGM_RSRC2:TGID_Y_EN: 0
; COMPUTE_PGM_RSRC2:TGID_Z_EN: 0
; COMPUTE_PGM_RSRC2:TIDIG_COMP_CNT: 0
; COMPUTE_PGM_RSRC3_GFX90A:ACCUM_OFFSET: 2
; COMPUTE_PGM_RSRC3_GFX90A:TG_SPLIT: 0
	.section	.text._ZN5aiter24topk_softplus_kernel_optI6__halffLi64ELb1ELi0EEEvPKT_PKT0_PfPimiif,"axG",@progbits,_ZN5aiter24topk_softplus_kernel_optI6__halffLi64ELb1ELi0EEEvPKT_PKT0_PfPimiif,comdat
	.protected	_ZN5aiter24topk_softplus_kernel_optI6__halffLi64ELb1ELi0EEEvPKT_PKT0_PfPimiif ; -- Begin function _ZN5aiter24topk_softplus_kernel_optI6__halffLi64ELb1ELi0EEEvPKT_PKT0_PfPimiif
	.globl	_ZN5aiter24topk_softplus_kernel_optI6__halffLi64ELb1ELi0EEEvPKT_PKT0_PfPimiif
	.p2align	8
	.type	_ZN5aiter24topk_softplus_kernel_optI6__halffLi64ELb1ELi0EEEvPKT_PKT0_PfPimiif,@function
_ZN5aiter24topk_softplus_kernel_optI6__halffLi64ELb1ELi0EEEvPKT_PKT0_PfPimiif: ; @_ZN5aiter24topk_softplus_kernel_optI6__halffLi64ELb1ELi0EEEvPKT_PKT0_PfPimiif
; %bb.0:
	s_load_dwordx4 s[0:3], s[4:5], 0x0
	s_lshl_b32 s8, s6, 6
	s_ashr_i32 s9, s8, 31
	s_lshl_b64 s[8:9], s[8:9], 1
	v_lshlrev_b32_e32 v1, 1, v0
	s_waitcnt lgkmcnt(0)
	s_add_u32 s0, s0, s8
	s_addc_u32 s1, s1, s9
	global_load_ushort v1, v1, s[0:1]
	s_mov_b32 s7, 0xc2fc0000
	v_mov_b32_e32 v3, 0x42800000
	s_mov_b32 s1, 0x3fb8aa3b
	v_mov_b32_e32 v4, 0x1f800000
	s_movk_i32 s0, 0x4d00
	s_cmp_eq_u64 s[2:3], 0
	s_waitcnt vmcnt(0)
	v_cvt_f32_f16_e32 v2, v1
	v_mul_f32_e32 v5, 0x3fb8aa3b, v2
	v_cmp_gt_f32_e32 vcc, s7, v5
	v_cndmask_b32_e32 v3, 0, v3, vcc
	v_fma_mix_f32 v3, v1, s1, v3 op_sel_hi:[1,0,0]
	v_exp_f32_e32 v3, v3
	v_cndmask_b32_e32 v4, 1.0, v4, vcc
	s_mov_b32 s1, 0x800000
	v_mov_b32_e32 v5, 0x4f800000
	v_fma_f32 v3, v3, v4, 1.0
	v_cmp_gt_f32_e32 vcc, s1, v3
	v_cndmask_b32_e32 v4, 1.0, v5, vcc
	v_mul_f32_e32 v3, v3, v4
	v_log_f32_e32 v3, v3
	v_mov_b32_e32 v4, 0x42000000
	v_cndmask_b32_e32 v4, 0, v4, vcc
	v_cmp_lt_f16_e32 vcc, s0, v1
	v_sub_f32_e32 v3, v3, v4
	v_mul_f32_e32 v3, 0x3f317218, v3
	s_mov_b32 s1, 0xf800000
	v_cndmask_b32_e32 v1, v3, v2, vcc
	v_mul_f32_e32 v2, 0x4f800000, v1
	v_cmp_gt_f32_e32 vcc, s1, v1
	v_cndmask_b32_e32 v2, v1, v2, vcc
	v_sqrt_f32_e32 v3, v2
	v_mov_b32_e32 v4, 0x260
	v_mov_b32_e32 v1, 0
	v_add_u32_e32 v5, -1, v3
	v_add_u32_e32 v6, 1, v3
	v_fma_f32 v7, -v5, v3, v2
	v_fma_f32 v8, -v6, v3, v2
	v_cmp_ge_f32_e64 s[0:1], 0, v7
	v_cndmask_b32_e64 v3, v3, v5, s[0:1]
	v_cmp_lt_f32_e64 s[0:1], 0, v8
	v_cndmask_b32_e64 v3, v3, v6, s[0:1]
	v_mul_f32_e32 v5, 0x37800000, v3
	v_cndmask_b32_e32 v3, v3, v5, vcc
	v_cmp_class_f32_e32 vcc, v2, v4
	v_cndmask_b32_e32 v4, v3, v2, vcc
	v_lshlrev_b32_e32 v2, 2, v0
	v_mov_b32_e32 v5, v4
	s_cbranch_scc1 .LBB123_2
; %bb.1:
	global_load_dword v3, v2, s[2:3]
	s_waitcnt vmcnt(0)
	v_add_f32_e32 v5, v4, v3
.LBB123_2:
	s_load_dword s2, s[4:5], 0x28
	s_load_dwordx4 s[8:11], s[4:5], 0x10
	s_mov_b32 s3, 0
	v_mov_b32_e32 v6, 0
	v_mov_b32_e32 v3, 0
	s_waitcnt lgkmcnt(0)
	s_cmp_lt_i32 s2, 1
	s_cbranch_scc1 .LBB123_5
; %bb.3:
	v_mbcnt_lo_u32_b32 v1, -1, 0
	v_mbcnt_hi_u32_b32 v1, -1, v1
	v_bfrev_b32_e32 v3, 0.5
	v_mov_b32_e32 v7, 0
	v_mov_b32_e32 v8, 0xff800000
	v_lshl_or_b32 v9, v1, 2, v3
	v_mov_b32_e32 v6, 0
	v_mov_b32_e32 v1, 0
	;; [unrolled: 1-line block ×3, first 2 shown]
.LBB123_4:                              ; =>This Inner Loop Header: Depth=1
	v_cmp_eq_u32_e32 vcc, 0, v7
	v_cndmask_b32_e32 v10, v8, v5, vcc
	;;#ASMSTART
	v_max_f32 v12, v10, v10 quad_perm:[1,0,3,2] row_mask:0xf bank_mask:0xf bound_ctrl:1
	;;#ASMEND
	;;#ASMSTART
	v_max_f32 v13, v12, v12 quad_perm:[2,3,0,1] row_mask:0xf bank_mask:0xf bound_ctrl:1
	;;#ASMEND
	;;#ASMSTART
	v_max_f32 v12, v13, v13 row_half_mirror row_mask:0xf bank_mask:0xf bound_ctrl:1
	;;#ASMEND
	;;#ASMSTART
	v_max_f32 v13, v12, v12 row_mirror row_mask:0xf bank_mask:0xf bound_ctrl:1
	;;#ASMEND
	;;#ASMSTART
	v_max_f32 v12, v13, v13 row_ror:4 row_mask:0xf bank_mask:0xf bound_ctrl:1
	;;#ASMEND
	;;#ASMSTART
	v_max_f32 v13, v12, v12 row_ror:8 row_mask:0xf bank_mask:0xf bound_ctrl:1
	;;#ASMEND
	;;#ASMSTART
	v_max_f32 v12, v13, v13 row_bcast:15 row_mask:0xf bank_mask:0xf bound_ctrl:1
	;;#ASMEND
	;;#ASMSTART
	v_max_f32 v13, v12, v12 row_bcast:31 row_mask:0xf bank_mask:0xf bound_ctrl:1
	;;#ASMEND
	ds_bpermute_b32 v12, v9, v13
	v_cndmask_b32_e32 v11, 0, v0, vcc
	s_waitcnt lgkmcnt(0)
	v_cmp_eq_f32_e64 s[0:1], v10, v12
	s_ff1_i32_b64 s7, s[0:1]
	s_cmp_lg_u64 s[0:1], 0
	s_cselect_b32 s0, s7, 0
	s_nop 0
	v_readlane_b32 s7, v11, s0
	v_cmp_eq_u32_e64 s[0:1], s7, v0
	s_and_b64 vcc, vcc, s[0:1]
	s_and_b32 s12, s7, 63
	v_cndmask_b32_e32 v11, 0, v4, vcc
	v_addc_co_u32_e32 v7, vcc, 0, v7, vcc
	v_readlane_b32 s0, v11, s12
	v_mov_b32_e32 v10, s7
	v_mov_b32_e32 v11, s0
	v_cmp_eq_u32_e32 vcc, s3, v0
	s_add_i32 s3, s3, 1
	v_add_f32_e32 v6, s0, v6
	v_cndmask_b32_e32 v3, v3, v11, vcc
	s_cmp_eq_u32 s2, s3
	v_cndmask_b32_e32 v1, v1, v10, vcc
	s_cbranch_scc0 .LBB123_4
.LBB123_5:
	v_cmp_gt_i32_e32 vcc, s2, v0
	s_and_saveexec_b64 s[0:1], vcc
	s_cbranch_execz .LBB123_7
; %bb.6:
	s_load_dword s2, s[4:5], 0x30
	v_max_f32_e32 v0, v6, v6
	v_max_f32_e32 v0, 0x1e3ce508, v0
	s_waitcnt lgkmcnt(0)
	v_div_scale_f32 v4, s[0:1], v0, v0, s2
	v_rcp_f32_e32 v5, v4
	v_div_scale_f32 v6, vcc, s2, v0, s2
	s_load_dwordx2 s[0:1], s[4:5], 0x20
	v_fma_f32 v7, -v4, v5, 1.0
	v_fmac_f32_e32 v5, v7, v5
	v_mul_f32_e32 v7, v6, v5
	v_fma_f32 v8, -v4, v7, v6
	v_fmac_f32_e32 v7, v8, v5
	v_fma_f32 v4, -v4, v7, v6
	v_div_fmas_f32 v4, v4, v5, v7
	v_div_fixup_f32 v0, v4, v0, s2
	s_ashr_i32 s2, s6, 31
	s_waitcnt lgkmcnt(0)
	s_mul_i32 s1, s6, s1
	s_mul_hi_u32 s3, s6, s0
	s_add_i32 s1, s3, s1
	s_mul_i32 s2, s2, s0
	s_add_i32 s1, s1, s2
	s_mul_i32 s0, s6, s0
	s_lshl_b64 s[0:1], s[0:1], 2
	s_add_u32 s2, s8, s0
	s_addc_u32 s3, s9, s1
	s_add_u32 s0, s10, s0
	v_mul_f32_e32 v0, v3, v0
	s_addc_u32 s1, s11, s1
	global_store_dword v2, v0, s[2:3]
	global_store_dword v2, v1, s[0:1]
.LBB123_7:
	s_endpgm
	.section	.rodata,"a",@progbits
	.p2align	6, 0x0
	.amdhsa_kernel _ZN5aiter24topk_softplus_kernel_optI6__halffLi64ELb1ELi0EEEvPKT_PKT0_PfPimiif
		.amdhsa_group_segment_fixed_size 0
		.amdhsa_private_segment_fixed_size 0
		.amdhsa_kernarg_size 52
		.amdhsa_user_sgpr_count 6
		.amdhsa_user_sgpr_private_segment_buffer 1
		.amdhsa_user_sgpr_dispatch_ptr 0
		.amdhsa_user_sgpr_queue_ptr 0
		.amdhsa_user_sgpr_kernarg_segment_ptr 1
		.amdhsa_user_sgpr_dispatch_id 0
		.amdhsa_user_sgpr_flat_scratch_init 0
		.amdhsa_user_sgpr_kernarg_preload_length 0
		.amdhsa_user_sgpr_kernarg_preload_offset 0
		.amdhsa_user_sgpr_private_segment_size 0
		.amdhsa_uses_dynamic_stack 0
		.amdhsa_system_sgpr_private_segment_wavefront_offset 0
		.amdhsa_system_sgpr_workgroup_id_x 1
		.amdhsa_system_sgpr_workgroup_id_y 0
		.amdhsa_system_sgpr_workgroup_id_z 0
		.amdhsa_system_sgpr_workgroup_info 0
		.amdhsa_system_vgpr_workitem_id 0
		.amdhsa_next_free_vgpr 14
		.amdhsa_next_free_sgpr 13
		.amdhsa_accum_offset 16
		.amdhsa_reserve_vcc 1
		.amdhsa_reserve_flat_scratch 0
		.amdhsa_float_round_mode_32 0
		.amdhsa_float_round_mode_16_64 0
		.amdhsa_float_denorm_mode_32 3
		.amdhsa_float_denorm_mode_16_64 3
		.amdhsa_dx10_clamp 1
		.amdhsa_ieee_mode 1
		.amdhsa_fp16_overflow 0
		.amdhsa_tg_split 0
		.amdhsa_exception_fp_ieee_invalid_op 0
		.amdhsa_exception_fp_denorm_src 0
		.amdhsa_exception_fp_ieee_div_zero 0
		.amdhsa_exception_fp_ieee_overflow 0
		.amdhsa_exception_fp_ieee_underflow 0
		.amdhsa_exception_fp_ieee_inexact 0
		.amdhsa_exception_int_div_zero 0
	.end_amdhsa_kernel
	.section	.text._ZN5aiter24topk_softplus_kernel_optI6__halffLi64ELb1ELi0EEEvPKT_PKT0_PfPimiif,"axG",@progbits,_ZN5aiter24topk_softplus_kernel_optI6__halffLi64ELb1ELi0EEEvPKT_PKT0_PfPimiif,comdat
.Lfunc_end123:
	.size	_ZN5aiter24topk_softplus_kernel_optI6__halffLi64ELb1ELi0EEEvPKT_PKT0_PfPimiif, .Lfunc_end123-_ZN5aiter24topk_softplus_kernel_optI6__halffLi64ELb1ELi0EEEvPKT_PKT0_PfPimiif
                                        ; -- End function
	.section	.AMDGPU.csdata,"",@progbits
; Kernel info:
; codeLenInByte = 812
; NumSgprs: 17
; NumVgprs: 14
; NumAgprs: 0
; TotalNumVgprs: 14
; ScratchSize: 0
; MemoryBound: 0
; FloatMode: 240
; IeeeMode: 1
; LDSByteSize: 0 bytes/workgroup (compile time only)
; SGPRBlocks: 2
; VGPRBlocks: 1
; NumSGPRsForWavesPerEU: 17
; NumVGPRsForWavesPerEU: 14
; AccumOffset: 16
; Occupancy: 8
; WaveLimiterHint : 0
; COMPUTE_PGM_RSRC2:SCRATCH_EN: 0
; COMPUTE_PGM_RSRC2:USER_SGPR: 6
; COMPUTE_PGM_RSRC2:TRAP_HANDLER: 0
; COMPUTE_PGM_RSRC2:TGID_X_EN: 1
; COMPUTE_PGM_RSRC2:TGID_Y_EN: 0
; COMPUTE_PGM_RSRC2:TGID_Z_EN: 0
; COMPUTE_PGM_RSRC2:TIDIG_COMP_CNT: 0
; COMPUTE_PGM_RSRC3_GFX90A:ACCUM_OFFSET: 3
; COMPUTE_PGM_RSRC3_GFX90A:TG_SPLIT: 0
	.section	.text._ZN5aiter24topk_softplus_kernel_optI6__halffLi64ELb0ELi0EEEvPKT_PKT0_PfPimiif,"axG",@progbits,_ZN5aiter24topk_softplus_kernel_optI6__halffLi64ELb0ELi0EEEvPKT_PKT0_PfPimiif,comdat
	.protected	_ZN5aiter24topk_softplus_kernel_optI6__halffLi64ELb0ELi0EEEvPKT_PKT0_PfPimiif ; -- Begin function _ZN5aiter24topk_softplus_kernel_optI6__halffLi64ELb0ELi0EEEvPKT_PKT0_PfPimiif
	.globl	_ZN5aiter24topk_softplus_kernel_optI6__halffLi64ELb0ELi0EEEvPKT_PKT0_PfPimiif
	.p2align	8
	.type	_ZN5aiter24topk_softplus_kernel_optI6__halffLi64ELb0ELi0EEEvPKT_PKT0_PfPimiif,@function
_ZN5aiter24topk_softplus_kernel_optI6__halffLi64ELb0ELi0EEEvPKT_PKT0_PfPimiif: ; @_ZN5aiter24topk_softplus_kernel_optI6__halffLi64ELb0ELi0EEEvPKT_PKT0_PfPimiif
; %bb.0:
	s_load_dwordx4 s[0:3], s[4:5], 0x0
	s_lshl_b32 s8, s6, 6
	s_ashr_i32 s9, s8, 31
	s_lshl_b64 s[8:9], s[8:9], 1
	v_lshlrev_b32_e32 v1, 1, v0
	s_waitcnt lgkmcnt(0)
	s_add_u32 s0, s0, s8
	s_addc_u32 s1, s1, s9
	global_load_ushort v1, v1, s[0:1]
	s_mov_b32 s7, 0xc2fc0000
	v_mov_b32_e32 v3, 0x42800000
	s_mov_b32 s1, 0x3fb8aa3b
	v_mov_b32_e32 v4, 0x1f800000
	s_movk_i32 s0, 0x4d00
	s_cmp_eq_u64 s[2:3], 0
	s_waitcnt vmcnt(0)
	v_cvt_f32_f16_e32 v2, v1
	v_mul_f32_e32 v5, 0x3fb8aa3b, v2
	v_cmp_gt_f32_e32 vcc, s7, v5
	v_cndmask_b32_e32 v3, 0, v3, vcc
	v_fma_mix_f32 v3, v1, s1, v3 op_sel_hi:[1,0,0]
	v_exp_f32_e32 v3, v3
	v_cndmask_b32_e32 v4, 1.0, v4, vcc
	s_mov_b32 s1, 0x800000
	v_mov_b32_e32 v5, 0x4f800000
	v_fma_f32 v3, v3, v4, 1.0
	v_cmp_gt_f32_e32 vcc, s1, v3
	v_cndmask_b32_e32 v4, 1.0, v5, vcc
	v_mul_f32_e32 v3, v3, v4
	v_log_f32_e32 v3, v3
	v_mov_b32_e32 v4, 0x42000000
	v_cndmask_b32_e32 v4, 0, v4, vcc
	v_cmp_lt_f16_e32 vcc, s0, v1
	v_sub_f32_e32 v3, v3, v4
	v_mul_f32_e32 v3, 0x3f317218, v3
	s_mov_b32 s1, 0xf800000
	v_cndmask_b32_e32 v1, v3, v2, vcc
	v_mul_f32_e32 v2, 0x4f800000, v1
	v_cmp_gt_f32_e32 vcc, s1, v1
	v_cndmask_b32_e32 v2, v1, v2, vcc
	v_sqrt_f32_e32 v3, v2
	v_mov_b32_e32 v4, 0x260
	v_mov_b32_e32 v1, 0
	v_add_u32_e32 v5, -1, v3
	v_add_u32_e32 v6, 1, v3
	v_fma_f32 v7, -v5, v3, v2
	v_fma_f32 v8, -v6, v3, v2
	v_cmp_ge_f32_e64 s[0:1], 0, v7
	v_cndmask_b32_e64 v3, v3, v5, s[0:1]
	v_cmp_lt_f32_e64 s[0:1], 0, v8
	v_cndmask_b32_e64 v3, v3, v6, s[0:1]
	v_mul_f32_e32 v5, 0x37800000, v3
	v_cndmask_b32_e32 v3, v3, v5, vcc
	v_cmp_class_f32_e32 vcc, v2, v4
	v_cndmask_b32_e32 v4, v3, v2, vcc
	v_lshlrev_b32_e32 v2, 2, v0
	v_mov_b32_e32 v5, v4
	s_cbranch_scc1 .LBB124_2
; %bb.1:
	global_load_dword v3, v2, s[2:3]
	s_waitcnt vmcnt(0)
	v_add_f32_e32 v5, v4, v3
.LBB124_2:
	s_load_dword s2, s[4:5], 0x28
	s_load_dwordx4 s[8:11], s[4:5], 0x10
	s_waitcnt lgkmcnt(0)
	s_cmp_lt_i32 s2, 1
	s_cbranch_scc1 .LBB124_8
; %bb.3:
	v_mbcnt_lo_u32_b32 v1, -1, 0
	v_mbcnt_hi_u32_b32 v1, -1, v1
	v_bfrev_b32_e32 v8, 0.5
	s_mov_b32 s3, 0
	v_mov_b32_e32 v6, 0
	v_mov_b32_e32 v3, 0
	v_mov_b32_e32 v7, 0xff800000
	v_lshl_or_b32 v8, v1, 2, v8
	v_mov_b32_e32 v1, 0
.LBB124_4:                              ; =>This Inner Loop Header: Depth=1
	v_cmp_eq_u32_e32 vcc, 0, v6
	v_cndmask_b32_e32 v9, v7, v5, vcc
	;;#ASMSTART
	v_max_f32 v11, v9, v9 quad_perm:[1,0,3,2] row_mask:0xf bank_mask:0xf bound_ctrl:1
	;;#ASMEND
	;;#ASMSTART
	v_max_f32 v12, v11, v11 quad_perm:[2,3,0,1] row_mask:0xf bank_mask:0xf bound_ctrl:1
	;;#ASMEND
	;;#ASMSTART
	v_max_f32 v11, v12, v12 row_half_mirror row_mask:0xf bank_mask:0xf bound_ctrl:1
	;;#ASMEND
	;;#ASMSTART
	v_max_f32 v12, v11, v11 row_mirror row_mask:0xf bank_mask:0xf bound_ctrl:1
	;;#ASMEND
	;;#ASMSTART
	v_max_f32 v11, v12, v12 row_ror:4 row_mask:0xf bank_mask:0xf bound_ctrl:1
	;;#ASMEND
	;;#ASMSTART
	v_max_f32 v12, v11, v11 row_ror:8 row_mask:0xf bank_mask:0xf bound_ctrl:1
	;;#ASMEND
	;;#ASMSTART
	v_max_f32 v11, v12, v12 row_bcast:15 row_mask:0xf bank_mask:0xf bound_ctrl:1
	;;#ASMEND
	;;#ASMSTART
	v_max_f32 v12, v11, v11 row_bcast:31 row_mask:0xf bank_mask:0xf bound_ctrl:1
	;;#ASMEND
	ds_bpermute_b32 v11, v8, v12
	v_cndmask_b32_e32 v10, 0, v0, vcc
	s_waitcnt lgkmcnt(0)
	v_cmp_eq_f32_e64 s[0:1], v9, v11
	s_ff1_i32_b64 s7, s[0:1]
	s_cmp_lg_u64 s[0:1], 0
	s_cselect_b32 s0, s7, 0
	s_nop 0
	v_readlane_b32 s7, v10, s0
	v_cmp_eq_u32_e64 s[0:1], s7, v0
	s_and_b64 vcc, vcc, s[0:1]
	s_and_b32 s12, s7, 63
	v_cndmask_b32_e32 v10, 0, v4, vcc
	v_addc_co_u32_e32 v6, vcc, 0, v6, vcc
	v_readlane_b32 s0, v10, s12
	v_mov_b32_e32 v9, s7
	v_mov_b32_e32 v10, s0
	v_cmp_eq_u32_e32 vcc, s3, v0
	s_add_i32 s3, s3, 1
	v_cndmask_b32_e32 v3, v3, v10, vcc
	s_cmp_eq_u32 s2, s3
	v_cndmask_b32_e32 v1, v1, v9, vcc
	s_cbranch_scc0 .LBB124_4
; %bb.5:
	v_cmp_gt_i32_e32 vcc, s2, v0
	s_and_saveexec_b64 s[0:1], vcc
	s_cbranch_execz .LBB124_7
.LBB124_6:
	s_load_dword s2, s[4:5], 0x30
	s_load_dwordx2 s[0:1], s[4:5], 0x20
	s_ashr_i32 s3, s6, 31
	s_waitcnt lgkmcnt(0)
	v_mul_f32_e32 v0, s2, v3
	s_mul_i32 s1, s6, s1
	s_mul_hi_u32 s2, s6, s0
	s_add_i32 s1, s2, s1
	s_mul_i32 s3, s3, s0
	s_add_i32 s1, s1, s3
	s_mul_i32 s0, s6, s0
	s_lshl_b64 s[0:1], s[0:1], 2
	s_add_u32 s2, s8, s0
	s_addc_u32 s3, s9, s1
	s_add_u32 s0, s10, s0
	s_addc_u32 s1, s11, s1
	global_store_dword v2, v0, s[2:3]
	global_store_dword v2, v1, s[0:1]
.LBB124_7:
	s_endpgm
.LBB124_8:
	v_mov_b32_e32 v3, 0
	v_cmp_gt_i32_e32 vcc, s2, v0
	s_and_saveexec_b64 s[0:1], vcc
	s_cbranch_execnz .LBB124_6
	s_branch .LBB124_7
	.section	.rodata,"a",@progbits
	.p2align	6, 0x0
	.amdhsa_kernel _ZN5aiter24topk_softplus_kernel_optI6__halffLi64ELb0ELi0EEEvPKT_PKT0_PfPimiif
		.amdhsa_group_segment_fixed_size 0
		.amdhsa_private_segment_fixed_size 0
		.amdhsa_kernarg_size 52
		.amdhsa_user_sgpr_count 6
		.amdhsa_user_sgpr_private_segment_buffer 1
		.amdhsa_user_sgpr_dispatch_ptr 0
		.amdhsa_user_sgpr_queue_ptr 0
		.amdhsa_user_sgpr_kernarg_segment_ptr 1
		.amdhsa_user_sgpr_dispatch_id 0
		.amdhsa_user_sgpr_flat_scratch_init 0
		.amdhsa_user_sgpr_kernarg_preload_length 0
		.amdhsa_user_sgpr_kernarg_preload_offset 0
		.amdhsa_user_sgpr_private_segment_size 0
		.amdhsa_uses_dynamic_stack 0
		.amdhsa_system_sgpr_private_segment_wavefront_offset 0
		.amdhsa_system_sgpr_workgroup_id_x 1
		.amdhsa_system_sgpr_workgroup_id_y 0
		.amdhsa_system_sgpr_workgroup_id_z 0
		.amdhsa_system_sgpr_workgroup_info 0
		.amdhsa_system_vgpr_workitem_id 0
		.amdhsa_next_free_vgpr 13
		.amdhsa_next_free_sgpr 13
		.amdhsa_accum_offset 16
		.amdhsa_reserve_vcc 1
		.amdhsa_reserve_flat_scratch 0
		.amdhsa_float_round_mode_32 0
		.amdhsa_float_round_mode_16_64 0
		.amdhsa_float_denorm_mode_32 3
		.amdhsa_float_denorm_mode_16_64 3
		.amdhsa_dx10_clamp 1
		.amdhsa_ieee_mode 1
		.amdhsa_fp16_overflow 0
		.amdhsa_tg_split 0
		.amdhsa_exception_fp_ieee_invalid_op 0
		.amdhsa_exception_fp_denorm_src 0
		.amdhsa_exception_fp_ieee_div_zero 0
		.amdhsa_exception_fp_ieee_overflow 0
		.amdhsa_exception_fp_ieee_underflow 0
		.amdhsa_exception_fp_ieee_inexact 0
		.amdhsa_exception_int_div_zero 0
	.end_amdhsa_kernel
	.section	.text._ZN5aiter24topk_softplus_kernel_optI6__halffLi64ELb0ELi0EEEvPKT_PKT0_PfPimiif,"axG",@progbits,_ZN5aiter24topk_softplus_kernel_optI6__halffLi64ELb0ELi0EEEvPKT_PKT0_PfPimiif,comdat
.Lfunc_end124:
	.size	_ZN5aiter24topk_softplus_kernel_optI6__halffLi64ELb0ELi0EEEvPKT_PKT0_PfPimiif, .Lfunc_end124-_ZN5aiter24topk_softplus_kernel_optI6__halffLi64ELb0ELi0EEEvPKT_PKT0_PfPimiif
                                        ; -- End function
	.section	.AMDGPU.csdata,"",@progbits
; Kernel info:
; codeLenInByte = 728
; NumSgprs: 17
; NumVgprs: 13
; NumAgprs: 0
; TotalNumVgprs: 13
; ScratchSize: 0
; MemoryBound: 0
; FloatMode: 240
; IeeeMode: 1
; LDSByteSize: 0 bytes/workgroup (compile time only)
; SGPRBlocks: 2
; VGPRBlocks: 1
; NumSGPRsForWavesPerEU: 17
; NumVGPRsForWavesPerEU: 13
; AccumOffset: 16
; Occupancy: 8
; WaveLimiterHint : 0
; COMPUTE_PGM_RSRC2:SCRATCH_EN: 0
; COMPUTE_PGM_RSRC2:USER_SGPR: 6
; COMPUTE_PGM_RSRC2:TRAP_HANDLER: 0
; COMPUTE_PGM_RSRC2:TGID_X_EN: 1
; COMPUTE_PGM_RSRC2:TGID_Y_EN: 0
; COMPUTE_PGM_RSRC2:TGID_Z_EN: 0
; COMPUTE_PGM_RSRC2:TIDIG_COMP_CNT: 0
; COMPUTE_PGM_RSRC3_GFX90A:ACCUM_OFFSET: 3
; COMPUTE_PGM_RSRC3_GFX90A:TG_SPLIT: 0
	.section	.text._ZN5aiter24topk_softplus_kernel_optI6__halffLi128ELb1ELi0EEEvPKT_PKT0_PfPimiif,"axG",@progbits,_ZN5aiter24topk_softplus_kernel_optI6__halffLi128ELb1ELi0EEEvPKT_PKT0_PfPimiif,comdat
	.protected	_ZN5aiter24topk_softplus_kernel_optI6__halffLi128ELb1ELi0EEEvPKT_PKT0_PfPimiif ; -- Begin function _ZN5aiter24topk_softplus_kernel_optI6__halffLi128ELb1ELi0EEEvPKT_PKT0_PfPimiif
	.globl	_ZN5aiter24topk_softplus_kernel_optI6__halffLi128ELb1ELi0EEEvPKT_PKT0_PfPimiif
	.p2align	8
	.type	_ZN5aiter24topk_softplus_kernel_optI6__halffLi128ELb1ELi0EEEvPKT_PKT0_PfPimiif,@function
_ZN5aiter24topk_softplus_kernel_optI6__halffLi128ELb1ELi0EEEvPKT_PKT0_PfPimiif: ; @_ZN5aiter24topk_softplus_kernel_optI6__halffLi128ELb1ELi0EEEvPKT_PKT0_PfPimiif
; %bb.0:
	s_load_dwordx4 s[8:11], s[4:5], 0x0
	s_lshl_b32 s0, s6, 7
	s_ashr_i32 s1, s0, 31
	s_lshl_b64 s[0:1], s[0:1], 1
	v_lshlrev_b32_e32 v2, 1, v0
	s_waitcnt lgkmcnt(0)
	s_add_u32 s0, s8, s0
	s_addc_u32 s1, s9, s1
	global_load_ushort v3, v2, s[0:1]
	s_mov_b32 s13, 0xc2fc0000
	v_mov_b32_e32 v4, 0x42800000
	s_mov_b32 s12, 0x3fb8aa3b
	v_mov_b32_e32 v9, 0x1f800000
	;; [unrolled: 2-line block ×3, first 2 shown]
	v_mov_b32_e32 v10, 0x42000000
	s_movk_i32 s7, 0x4d00
	s_mov_b32 s15, 0xf800000
	v_mov_b32_e32 v1, 0x260
	s_cmp_lg_u64 s[10:11], 0
	s_cselect_b64 s[8:9], -1, 0
	v_lshlrev_b32_e32 v7, 2, v0
	s_waitcnt vmcnt(0)
	v_cvt_f32_f16_e32 v5, v3
	v_mul_f32_e32 v6, 0x3fb8aa3b, v5
	v_cmp_gt_f32_e32 vcc, s13, v6
	v_cndmask_b32_e32 v6, 0, v4, vcc
	v_fma_mix_f32 v6, v3, s12, v6 op_sel_hi:[1,0,0]
	v_exp_f32_e32 v6, v6
	v_cndmask_b32_e32 v11, 1.0, v9, vcc
	v_fma_f32 v6, v6, v11, 1.0
	v_cmp_gt_f32_e32 vcc, s14, v6
	v_cndmask_b32_e32 v11, 1.0, v8, vcc
	v_mul_f32_e32 v6, v6, v11
	v_log_f32_e32 v6, v6
	v_cndmask_b32_e32 v12, 0, v10, vcc
	v_cmp_lt_f16_e32 vcc, s7, v3
	v_mov_b32_e32 v11, s1
	v_sub_f32_e32 v6, v6, v12
	v_mul_f32_e32 v6, 0x3f317218, v6
	v_cndmask_b32_e32 v3, v6, v5, vcc
	v_mul_f32_e32 v5, 0x4f800000, v3
	v_cmp_gt_f32_e32 vcc, s15, v3
	v_cndmask_b32_e32 v5, v3, v5, vcc
	v_sqrt_f32_e32 v6, v5
	v_add_co_u32_e64 v2, s[0:1], s0, v2
	v_addc_co_u32_e64 v3, s[0:1], 0, v11, s[0:1]
	v_add_u32_e32 v11, -1, v6
	v_add_u32_e32 v12, 1, v6
	v_fma_f32 v13, -v11, v6, v5
	v_fma_f32 v14, -v12, v6, v5
	v_cmp_ge_f32_e64 s[2:3], 0, v13
	v_cndmask_b32_e64 v6, v6, v11, s[2:3]
	v_cmp_lt_f32_e64 s[2:3], 0, v14
	v_cndmask_b32_e64 v6, v6, v12, s[2:3]
	v_mul_f32_e32 v11, 0x37800000, v6
	v_cndmask_b32_e32 v6, v6, v11, vcc
	v_cmp_class_f32_e32 vcc, v5, v1
	s_and_b64 s[0:1], exec, s[8:9]
	v_cndmask_b32_e32 v6, v6, v5, vcc
	v_mov_b32_e32 v5, v6
	s_mov_b64 vcc, s[0:1]
	s_cbranch_vccz .LBB125_2
; %bb.1:
	global_load_dword v5, v7, s[10:11]
	s_waitcnt vmcnt(0)
	v_add_f32_e32 v5, v6, v5
.LBB125_2:
	global_load_ushort v2, v[2:3], off offset:128
	s_waitcnt vmcnt(0)
	v_cvt_f32_f16_e32 v3, v2
	v_mul_f32_e32 v11, 0x3fb8aa3b, v3
	v_cmp_gt_f32_e32 vcc, s13, v11
	v_cndmask_b32_e32 v4, 0, v4, vcc
	v_fma_mix_f32 v4, v2, s12, v4 op_sel_hi:[1,0,0]
	v_exp_f32_e32 v4, v4
	v_cndmask_b32_e32 v9, 1.0, v9, vcc
	v_fma_f32 v4, v4, v9, 1.0
	v_cmp_gt_f32_e32 vcc, s14, v4
	v_cndmask_b32_e32 v8, 1.0, v8, vcc
	v_mul_f32_e32 v4, v4, v8
	v_log_f32_e32 v4, v4
	v_cndmask_b32_e32 v8, 0, v10, vcc
	v_cmp_lt_f16_e32 vcc, s7, v2
	v_sub_f32_e32 v4, v4, v8
	v_mul_f32_e32 v4, 0x3f317218, v4
	v_cndmask_b32_e32 v2, v4, v3, vcc
	v_mul_f32_e32 v3, 0x4f800000, v2
	v_cmp_gt_f32_e32 vcc, s15, v2
	v_cndmask_b32_e32 v2, v2, v3, vcc
	v_sqrt_f32_e32 v3, v2
	v_add_u32_e32 v4, -1, v3
	v_add_u32_e32 v8, 1, v3
	v_fma_f32 v9, -v4, v3, v2
	v_fma_f32 v10, -v8, v3, v2
	v_cmp_ge_f32_e64 s[0:1], 0, v9
	v_cndmask_b32_e64 v3, v3, v4, s[0:1]
	v_cmp_lt_f32_e64 s[0:1], 0, v10
	v_cndmask_b32_e64 v3, v3, v8, s[0:1]
	v_mul_f32_e32 v4, 0x37800000, v3
	v_cndmask_b32_e32 v3, v3, v4, vcc
	v_cmp_class_f32_e32 vcc, v2, v1
	v_cndmask_b32_e32 v11, v3, v2, vcc
	s_andn2_b64 vcc, exec, s[8:9]
	v_mov_b32_e32 v4, v11
	s_cbranch_vccnz .LBB125_4
; %bb.3:
	global_load_dword v1, v7, s[10:11] offset:256
	s_waitcnt vmcnt(0)
	v_add_f32_e32 v4, v11, v1
.LBB125_4:
	s_load_dword s2, s[4:5], 0x28
	s_load_dwordx4 s[8:11], s[4:5], 0x10
	v_mov_b32_e32 v10, 0
	v_mov_b32_e32 v8, 0
	v_mov_b32_e32 v9, 0
	s_waitcnt lgkmcnt(0)
	s_cmp_gt_i32 s2, 0
	s_cbranch_scc0 .LBB125_7
; %bb.5:
	v_mbcnt_lo_u32_b32 v8, -1, 0
	v_add_u32_e32 v2, 64, v0
	v_cmp_lt_f32_e32 vcc, v5, v4
	v_mbcnt_hi_u32_b32 v8, -1, v8
	v_bfrev_b32_e32 v9, 0.5
	v_cndmask_b32_e32 v1, v2, v0, vcc
	v_cndmask_b32_e32 v2, v0, v2, vcc
	;; [unrolled: 1-line block ×6, first 2 shown]
	v_mov_b32_e32 v10, 0
	v_mov_b32_e32 v11, 0
	;; [unrolled: 1-line block ×3, first 2 shown]
	v_lshl_or_b32 v13, v8, 2, v9
	v_mov_b32_e32 v14, v0
	s_mov_b32 s3, s2
	v_mov_b32_e32 v8, 0
	v_mov_b32_e32 v9, 0
.LBB125_6:                              ; =>This Inner Loop Header: Depth=1
	v_cmp_eq_u32_e32 vcc, 1, v11
	v_cndmask_b32_e32 v15, v4, v3, vcc
	v_cmp_gt_u32_e64 s[0:1], 2, v11
	v_cndmask_b32_e64 v15, v12, v15, s[0:1]
	;;#ASMSTART
	v_max_f32 v19, v15, v15 quad_perm:[1,0,3,2] row_mask:0xf bank_mask:0xf bound_ctrl:1
	;;#ASMEND
	;;#ASMSTART
	v_max_f32 v20, v19, v19 quad_perm:[2,3,0,1] row_mask:0xf bank_mask:0xf bound_ctrl:1
	;;#ASMEND
	;;#ASMSTART
	v_max_f32 v19, v20, v20 row_half_mirror row_mask:0xf bank_mask:0xf bound_ctrl:1
	;;#ASMEND
	;;#ASMSTART
	v_max_f32 v20, v19, v19 row_mirror row_mask:0xf bank_mask:0xf bound_ctrl:1
	;;#ASMEND
	;;#ASMSTART
	v_max_f32 v19, v20, v20 row_ror:4 row_mask:0xf bank_mask:0xf bound_ctrl:1
	;;#ASMEND
	;;#ASMSTART
	v_max_f32 v20, v19, v19 row_ror:8 row_mask:0xf bank_mask:0xf bound_ctrl:1
	;;#ASMEND
	;;#ASMSTART
	v_max_f32 v19, v20, v20 row_bcast:15 row_mask:0xf bank_mask:0xf bound_ctrl:1
	;;#ASMEND
	;;#ASMSTART
	v_max_f32 v20, v19, v19 row_bcast:31 row_mask:0xf bank_mask:0xf bound_ctrl:1
	;;#ASMEND
	ds_bpermute_b32 v19, v13, v20
	v_cndmask_b32_e32 v16, v2, v1, vcc
	v_cndmask_b32_e32 v17, v6, v5, vcc
	v_cndmask_b32_e64 v18, 0, v16, s[0:1]
	s_waitcnt lgkmcnt(0)
	v_cmp_eq_f32_e32 vcc, v15, v19
	s_ff1_i32_b64 s7, vcc
	s_cmp_lg_u64 vcc, 0
	s_cselect_b32 s7, s7, 0
	v_readlane_b32 s7, v18, s7
	v_cmp_eq_u32_e32 vcc, s7, v16
	s_and_b64 vcc, s[0:1], vcc
	s_and_b32 s12, s7, 63
	v_cndmask_b32_e32 v16, 0, v17, vcc
	v_addc_co_u32_e32 v11, vcc, 0, v11, vcc
	v_readlane_b32 s0, v16, s12
	s_add_i32 s3, s3, -1
	v_mov_b32_e32 v15, s7
	v_mov_b32_e32 v16, s0
	v_cmp_eq_u32_e32 vcc, 0, v14
	s_cmp_eq_u32 s3, 0
	v_add_f32_e32 v10, s0, v10
	v_add_u32_e32 v14, -1, v14
	v_cndmask_b32_e32 v9, v9, v16, vcc
	v_cndmask_b32_e32 v8, v8, v15, vcc
	s_cbranch_scc0 .LBB125_6
.LBB125_7:
	v_cmp_gt_i32_e32 vcc, s2, v0
	s_and_saveexec_b64 s[0:1], vcc
	s_cbranch_execz .LBB125_9
; %bb.8:
	s_load_dword s2, s[4:5], 0x30
	v_max_f32_e32 v0, v10, v10
	v_max_f32_e32 v0, 0x1e3ce508, v0
	s_waitcnt lgkmcnt(0)
	v_div_scale_f32 v1, s[0:1], v0, v0, s2
	v_rcp_f32_e32 v2, v1
	v_div_scale_f32 v3, vcc, s2, v0, s2
	s_load_dwordx2 s[0:1], s[4:5], 0x20
	v_fma_f32 v4, -v1, v2, 1.0
	v_fmac_f32_e32 v2, v4, v2
	v_mul_f32_e32 v4, v3, v2
	v_fma_f32 v5, -v1, v4, v3
	v_fmac_f32_e32 v4, v5, v2
	v_fma_f32 v1, -v1, v4, v3
	v_div_fmas_f32 v1, v1, v2, v4
	v_div_fixup_f32 v0, v1, v0, s2
	s_ashr_i32 s2, s6, 31
	s_waitcnt lgkmcnt(0)
	s_mul_i32 s1, s6, s1
	s_mul_hi_u32 s3, s6, s0
	s_add_i32 s1, s3, s1
	s_mul_i32 s2, s2, s0
	s_add_i32 s1, s1, s2
	s_mul_i32 s0, s6, s0
	s_lshl_b64 s[0:1], s[0:1], 2
	s_add_u32 s2, s8, s0
	s_addc_u32 s3, s9, s1
	s_add_u32 s0, s10, s0
	v_mul_f32_e32 v0, v9, v0
	s_addc_u32 s1, s11, s1
	global_store_dword v7, v0, s[2:3]
	global_store_dword v7, v8, s[0:1]
.LBB125_9:
	s_endpgm
	.section	.rodata,"a",@progbits
	.p2align	6, 0x0
	.amdhsa_kernel _ZN5aiter24topk_softplus_kernel_optI6__halffLi128ELb1ELi0EEEvPKT_PKT0_PfPimiif
		.amdhsa_group_segment_fixed_size 0
		.amdhsa_private_segment_fixed_size 0
		.amdhsa_kernarg_size 52
		.amdhsa_user_sgpr_count 6
		.amdhsa_user_sgpr_private_segment_buffer 1
		.amdhsa_user_sgpr_dispatch_ptr 0
		.amdhsa_user_sgpr_queue_ptr 0
		.amdhsa_user_sgpr_kernarg_segment_ptr 1
		.amdhsa_user_sgpr_dispatch_id 0
		.amdhsa_user_sgpr_flat_scratch_init 0
		.amdhsa_user_sgpr_kernarg_preload_length 0
		.amdhsa_user_sgpr_kernarg_preload_offset 0
		.amdhsa_user_sgpr_private_segment_size 0
		.amdhsa_uses_dynamic_stack 0
		.amdhsa_system_sgpr_private_segment_wavefront_offset 0
		.amdhsa_system_sgpr_workgroup_id_x 1
		.amdhsa_system_sgpr_workgroup_id_y 0
		.amdhsa_system_sgpr_workgroup_id_z 0
		.amdhsa_system_sgpr_workgroup_info 0
		.amdhsa_system_vgpr_workitem_id 0
		.amdhsa_next_free_vgpr 21
		.amdhsa_next_free_sgpr 16
		.amdhsa_accum_offset 24
		.amdhsa_reserve_vcc 1
		.amdhsa_reserve_flat_scratch 0
		.amdhsa_float_round_mode_32 0
		.amdhsa_float_round_mode_16_64 0
		.amdhsa_float_denorm_mode_32 3
		.amdhsa_float_denorm_mode_16_64 3
		.amdhsa_dx10_clamp 1
		.amdhsa_ieee_mode 1
		.amdhsa_fp16_overflow 0
		.amdhsa_tg_split 0
		.amdhsa_exception_fp_ieee_invalid_op 0
		.amdhsa_exception_fp_denorm_src 0
		.amdhsa_exception_fp_ieee_div_zero 0
		.amdhsa_exception_fp_ieee_overflow 0
		.amdhsa_exception_fp_ieee_underflow 0
		.amdhsa_exception_fp_ieee_inexact 0
		.amdhsa_exception_int_div_zero 0
	.end_amdhsa_kernel
	.section	.text._ZN5aiter24topk_softplus_kernel_optI6__halffLi128ELb1ELi0EEEvPKT_PKT0_PfPimiif,"axG",@progbits,_ZN5aiter24topk_softplus_kernel_optI6__halffLi128ELb1ELi0EEEvPKT_PKT0_PfPimiif,comdat
.Lfunc_end125:
	.size	_ZN5aiter24topk_softplus_kernel_optI6__halffLi128ELb1ELi0EEEvPKT_PKT0_PfPimiif, .Lfunc_end125-_ZN5aiter24topk_softplus_kernel_optI6__halffLi128ELb1ELi0EEEvPKT_PKT0_PfPimiif
                                        ; -- End function
	.section	.AMDGPU.csdata,"",@progbits
; Kernel info:
; codeLenInByte = 1120
; NumSgprs: 20
; NumVgprs: 21
; NumAgprs: 0
; TotalNumVgprs: 21
; ScratchSize: 0
; MemoryBound: 0
; FloatMode: 240
; IeeeMode: 1
; LDSByteSize: 0 bytes/workgroup (compile time only)
; SGPRBlocks: 2
; VGPRBlocks: 2
; NumSGPRsForWavesPerEU: 20
; NumVGPRsForWavesPerEU: 21
; AccumOffset: 24
; Occupancy: 8
; WaveLimiterHint : 0
; COMPUTE_PGM_RSRC2:SCRATCH_EN: 0
; COMPUTE_PGM_RSRC2:USER_SGPR: 6
; COMPUTE_PGM_RSRC2:TRAP_HANDLER: 0
; COMPUTE_PGM_RSRC2:TGID_X_EN: 1
; COMPUTE_PGM_RSRC2:TGID_Y_EN: 0
; COMPUTE_PGM_RSRC2:TGID_Z_EN: 0
; COMPUTE_PGM_RSRC2:TIDIG_COMP_CNT: 0
; COMPUTE_PGM_RSRC3_GFX90A:ACCUM_OFFSET: 5
; COMPUTE_PGM_RSRC3_GFX90A:TG_SPLIT: 0
	.section	.text._ZN5aiter24topk_softplus_kernel_optI6__halffLi128ELb0ELi0EEEvPKT_PKT0_PfPimiif,"axG",@progbits,_ZN5aiter24topk_softplus_kernel_optI6__halffLi128ELb0ELi0EEEvPKT_PKT0_PfPimiif,comdat
	.protected	_ZN5aiter24topk_softplus_kernel_optI6__halffLi128ELb0ELi0EEEvPKT_PKT0_PfPimiif ; -- Begin function _ZN5aiter24topk_softplus_kernel_optI6__halffLi128ELb0ELi0EEEvPKT_PKT0_PfPimiif
	.globl	_ZN5aiter24topk_softplus_kernel_optI6__halffLi128ELb0ELi0EEEvPKT_PKT0_PfPimiif
	.p2align	8
	.type	_ZN5aiter24topk_softplus_kernel_optI6__halffLi128ELb0ELi0EEEvPKT_PKT0_PfPimiif,@function
_ZN5aiter24topk_softplus_kernel_optI6__halffLi128ELb0ELi0EEEvPKT_PKT0_PfPimiif: ; @_ZN5aiter24topk_softplus_kernel_optI6__halffLi128ELb0ELi0EEEvPKT_PKT0_PfPimiif
; %bb.0:
	s_load_dwordx4 s[8:11], s[4:5], 0x0
	s_lshl_b32 s0, s6, 7
	s_ashr_i32 s1, s0, 31
	s_lshl_b64 s[0:1], s[0:1], 1
	v_lshlrev_b32_e32 v2, 1, v0
	s_waitcnt lgkmcnt(0)
	s_add_u32 s0, s8, s0
	s_addc_u32 s1, s9, s1
	global_load_ushort v3, v2, s[0:1]
	s_mov_b32 s13, 0xc2fc0000
	v_mov_b32_e32 v4, 0x42800000
	s_mov_b32 s12, 0x3fb8aa3b
	v_mov_b32_e32 v8, 0x1f800000
	;; [unrolled: 2-line block ×3, first 2 shown]
	v_mov_b32_e32 v9, 0x42000000
	s_movk_i32 s7, 0x4d00
	s_mov_b32 s15, 0xf800000
	v_mov_b32_e32 v1, 0x260
	s_cmp_lg_u64 s[10:11], 0
	s_cselect_b64 s[8:9], -1, 0
	s_waitcnt vmcnt(0)
	v_cvt_f32_f16_e32 v6, v3
	v_mul_f32_e32 v7, 0x3fb8aa3b, v6
	v_cmp_gt_f32_e32 vcc, s13, v7
	v_cndmask_b32_e32 v7, 0, v4, vcc
	v_fma_mix_f32 v7, v3, s12, v7 op_sel_hi:[1,0,0]
	v_exp_f32_e32 v10, v7
	v_cndmask_b32_e32 v11, 1.0, v8, vcc
	v_lshlrev_b32_e32 v7, 2, v0
	v_fma_f32 v10, v10, v11, 1.0
	v_cmp_gt_f32_e32 vcc, s14, v10
	v_cndmask_b32_e32 v11, 1.0, v5, vcc
	v_mul_f32_e32 v10, v10, v11
	v_log_f32_e32 v10, v10
	v_cndmask_b32_e32 v12, 0, v9, vcc
	v_cmp_lt_f16_e32 vcc, s7, v3
	v_mov_b32_e32 v11, s1
	v_sub_f32_e32 v10, v10, v12
	v_mul_f32_e32 v10, 0x3f317218, v10
	v_cndmask_b32_e32 v3, v10, v6, vcc
	v_mul_f32_e32 v6, 0x4f800000, v3
	v_cmp_gt_f32_e32 vcc, s15, v3
	v_cndmask_b32_e32 v6, v3, v6, vcc
	v_sqrt_f32_e32 v10, v6
	v_add_co_u32_e64 v2, s[0:1], s0, v2
	v_addc_co_u32_e64 v3, s[0:1], 0, v11, s[0:1]
	v_add_u32_e32 v11, -1, v10
	v_add_u32_e32 v12, 1, v10
	v_fma_f32 v13, -v11, v10, v6
	v_fma_f32 v14, -v12, v10, v6
	v_cmp_ge_f32_e64 s[2:3], 0, v13
	v_cndmask_b32_e64 v10, v10, v11, s[2:3]
	v_cmp_lt_f32_e64 s[2:3], 0, v14
	v_cndmask_b32_e64 v10, v10, v12, s[2:3]
	v_mul_f32_e32 v11, 0x37800000, v10
	v_cndmask_b32_e32 v10, v10, v11, vcc
	v_cmp_class_f32_e32 vcc, v6, v1
	s_and_b64 s[0:1], exec, s[8:9]
	v_cndmask_b32_e32 v6, v10, v6, vcc
	v_mov_b32_e32 v10, v6
	s_mov_b64 vcc, s[0:1]
	s_cbranch_vccz .LBB126_2
; %bb.1:
	global_load_dword v10, v7, s[10:11]
	s_waitcnt vmcnt(0)
	v_add_f32_e32 v10, v6, v10
.LBB126_2:
	global_load_ushort v2, v[2:3], off offset:128
	s_waitcnt vmcnt(0)
	v_cvt_f32_f16_e32 v3, v2
	v_mul_f32_e32 v11, 0x3fb8aa3b, v3
	v_cmp_gt_f32_e32 vcc, s13, v11
	v_cndmask_b32_e32 v4, 0, v4, vcc
	v_fma_mix_f32 v4, v2, s12, v4 op_sel_hi:[1,0,0]
	v_exp_f32_e32 v4, v4
	v_cndmask_b32_e32 v8, 1.0, v8, vcc
	v_fma_f32 v4, v4, v8, 1.0
	v_cmp_gt_f32_e32 vcc, s14, v4
	v_cndmask_b32_e32 v5, 1.0, v5, vcc
	v_mul_f32_e32 v4, v4, v5
	v_log_f32_e32 v4, v4
	v_cndmask_b32_e32 v5, 0, v9, vcc
	v_cmp_lt_f16_e32 vcc, s7, v2
	v_sub_f32_e32 v4, v4, v5
	v_mul_f32_e32 v4, 0x3f317218, v4
	v_cndmask_b32_e32 v2, v4, v3, vcc
	v_mul_f32_e32 v3, 0x4f800000, v2
	v_cmp_gt_f32_e32 vcc, s15, v2
	v_cndmask_b32_e32 v2, v2, v3, vcc
	v_sqrt_f32_e32 v3, v2
	v_add_u32_e32 v4, -1, v3
	v_add_u32_e32 v5, 1, v3
	v_fma_f32 v8, -v4, v3, v2
	v_fma_f32 v9, -v5, v3, v2
	v_cmp_ge_f32_e64 s[0:1], 0, v8
	v_cndmask_b32_e64 v3, v3, v4, s[0:1]
	v_cmp_lt_f32_e64 s[0:1], 0, v9
	v_cndmask_b32_e64 v3, v3, v5, s[0:1]
	v_mul_f32_e32 v4, 0x37800000, v3
	v_cndmask_b32_e32 v3, v3, v4, vcc
	v_cmp_class_f32_e32 vcc, v2, v1
	v_cndmask_b32_e32 v9, v3, v2, vcc
	s_andn2_b64 vcc, exec, s[8:9]
	v_mov_b32_e32 v4, v9
	s_cbranch_vccnz .LBB126_4
; %bb.3:
	global_load_dword v1, v7, s[10:11] offset:256
	s_waitcnt vmcnt(0)
	v_add_f32_e32 v4, v9, v1
.LBB126_4:
	s_load_dword s2, s[4:5], 0x28
	s_load_dwordx4 s[8:11], s[4:5], 0x10
	v_mov_b32_e32 v8, 0
	s_waitcnt lgkmcnt(0)
	s_cmp_gt_i32 s2, 0
	s_cbranch_scc0 .LBB126_10
; %bb.5:
	v_mbcnt_lo_u32_b32 v8, -1, 0
	v_add_u32_e32 v2, 64, v0
	v_cmp_lt_f32_e32 vcc, v10, v4
	v_mbcnt_hi_u32_b32 v8, -1, v8
	v_bfrev_b32_e32 v12, 0.5
	v_cndmask_b32_e32 v1, v2, v0, vcc
	v_cndmask_b32_e32 v2, v0, v2, vcc
	;; [unrolled: 1-line block ×6, first 2 shown]
	v_mov_b32_e32 v10, 0
	v_mov_b32_e32 v9, 0
	;; [unrolled: 1-line block ×3, first 2 shown]
	v_lshl_or_b32 v12, v8, 2, v12
	v_mov_b32_e32 v13, v0
	s_mov_b32 s3, s2
	v_mov_b32_e32 v8, 0
.LBB126_6:                              ; =>This Inner Loop Header: Depth=1
	v_cmp_eq_u32_e32 vcc, 1, v10
	v_cndmask_b32_e32 v14, v4, v3, vcc
	v_cmp_gt_u32_e64 s[0:1], 2, v10
	v_cndmask_b32_e64 v14, v11, v14, s[0:1]
	;;#ASMSTART
	v_max_f32 v18, v14, v14 quad_perm:[1,0,3,2] row_mask:0xf bank_mask:0xf bound_ctrl:1
	;;#ASMEND
	;;#ASMSTART
	v_max_f32 v19, v18, v18 quad_perm:[2,3,0,1] row_mask:0xf bank_mask:0xf bound_ctrl:1
	;;#ASMEND
	;;#ASMSTART
	v_max_f32 v18, v19, v19 row_half_mirror row_mask:0xf bank_mask:0xf bound_ctrl:1
	;;#ASMEND
	;;#ASMSTART
	v_max_f32 v19, v18, v18 row_mirror row_mask:0xf bank_mask:0xf bound_ctrl:1
	;;#ASMEND
	;;#ASMSTART
	v_max_f32 v18, v19, v19 row_ror:4 row_mask:0xf bank_mask:0xf bound_ctrl:1
	;;#ASMEND
	;;#ASMSTART
	v_max_f32 v19, v18, v18 row_ror:8 row_mask:0xf bank_mask:0xf bound_ctrl:1
	;;#ASMEND
	;;#ASMSTART
	v_max_f32 v18, v19, v19 row_bcast:15 row_mask:0xf bank_mask:0xf bound_ctrl:1
	;;#ASMEND
	;;#ASMSTART
	v_max_f32 v19, v18, v18 row_bcast:31 row_mask:0xf bank_mask:0xf bound_ctrl:1
	;;#ASMEND
	ds_bpermute_b32 v18, v12, v19
	v_cndmask_b32_e32 v15, v2, v1, vcc
	v_cndmask_b32_e32 v16, v6, v5, vcc
	v_cndmask_b32_e64 v17, 0, v15, s[0:1]
	s_waitcnt lgkmcnt(0)
	v_cmp_eq_f32_e32 vcc, v14, v18
	s_ff1_i32_b64 s7, vcc
	s_cmp_lg_u64 vcc, 0
	s_cselect_b32 s7, s7, 0
	v_readlane_b32 s7, v17, s7
	v_cmp_eq_u32_e32 vcc, s7, v15
	s_and_b64 vcc, s[0:1], vcc
	s_and_b32 s12, s7, 63
	v_cndmask_b32_e32 v15, 0, v16, vcc
	v_addc_co_u32_e32 v10, vcc, 0, v10, vcc
	v_readlane_b32 s0, v15, s12
	s_add_i32 s3, s3, -1
	v_mov_b32_e32 v14, s7
	v_mov_b32_e32 v15, s0
	v_cmp_eq_u32_e32 vcc, 0, v13
	s_cmp_eq_u32 s3, 0
	v_add_u32_e32 v13, -1, v13
	v_cndmask_b32_e32 v9, v9, v15, vcc
	v_cndmask_b32_e32 v8, v8, v14, vcc
	s_cbranch_scc0 .LBB126_6
; %bb.7:
	v_cmp_gt_i32_e32 vcc, s2, v0
	s_and_saveexec_b64 s[0:1], vcc
	s_cbranch_execz .LBB126_9
.LBB126_8:
	s_load_dword s2, s[4:5], 0x30
	s_load_dwordx2 s[0:1], s[4:5], 0x20
	s_ashr_i32 s3, s6, 31
	s_waitcnt lgkmcnt(0)
	v_mul_f32_e32 v0, s2, v9
	s_mul_i32 s1, s6, s1
	s_mul_hi_u32 s2, s6, s0
	s_add_i32 s1, s2, s1
	s_mul_i32 s3, s3, s0
	s_add_i32 s1, s1, s3
	s_mul_i32 s0, s6, s0
	s_lshl_b64 s[0:1], s[0:1], 2
	s_add_u32 s2, s8, s0
	s_addc_u32 s3, s9, s1
	s_add_u32 s0, s10, s0
	s_addc_u32 s1, s11, s1
	global_store_dword v7, v0, s[2:3]
	global_store_dword v7, v8, s[0:1]
.LBB126_9:
	s_endpgm
.LBB126_10:
	v_mov_b32_e32 v9, 0
	v_cmp_gt_i32_e32 vcc, s2, v0
	s_and_saveexec_b64 s[0:1], vcc
	s_cbranch_execnz .LBB126_8
	s_branch .LBB126_9
	.section	.rodata,"a",@progbits
	.p2align	6, 0x0
	.amdhsa_kernel _ZN5aiter24topk_softplus_kernel_optI6__halffLi128ELb0ELi0EEEvPKT_PKT0_PfPimiif
		.amdhsa_group_segment_fixed_size 0
		.amdhsa_private_segment_fixed_size 0
		.amdhsa_kernarg_size 52
		.amdhsa_user_sgpr_count 6
		.amdhsa_user_sgpr_private_segment_buffer 1
		.amdhsa_user_sgpr_dispatch_ptr 0
		.amdhsa_user_sgpr_queue_ptr 0
		.amdhsa_user_sgpr_kernarg_segment_ptr 1
		.amdhsa_user_sgpr_dispatch_id 0
		.amdhsa_user_sgpr_flat_scratch_init 0
		.amdhsa_user_sgpr_kernarg_preload_length 0
		.amdhsa_user_sgpr_kernarg_preload_offset 0
		.amdhsa_user_sgpr_private_segment_size 0
		.amdhsa_uses_dynamic_stack 0
		.amdhsa_system_sgpr_private_segment_wavefront_offset 0
		.amdhsa_system_sgpr_workgroup_id_x 1
		.amdhsa_system_sgpr_workgroup_id_y 0
		.amdhsa_system_sgpr_workgroup_id_z 0
		.amdhsa_system_sgpr_workgroup_info 0
		.amdhsa_system_vgpr_workitem_id 0
		.amdhsa_next_free_vgpr 20
		.amdhsa_next_free_sgpr 16
		.amdhsa_accum_offset 20
		.amdhsa_reserve_vcc 1
		.amdhsa_reserve_flat_scratch 0
		.amdhsa_float_round_mode_32 0
		.amdhsa_float_round_mode_16_64 0
		.amdhsa_float_denorm_mode_32 3
		.amdhsa_float_denorm_mode_16_64 3
		.amdhsa_dx10_clamp 1
		.amdhsa_ieee_mode 1
		.amdhsa_fp16_overflow 0
		.amdhsa_tg_split 0
		.amdhsa_exception_fp_ieee_invalid_op 0
		.amdhsa_exception_fp_denorm_src 0
		.amdhsa_exception_fp_ieee_div_zero 0
		.amdhsa_exception_fp_ieee_overflow 0
		.amdhsa_exception_fp_ieee_underflow 0
		.amdhsa_exception_fp_ieee_inexact 0
		.amdhsa_exception_int_div_zero 0
	.end_amdhsa_kernel
	.section	.text._ZN5aiter24topk_softplus_kernel_optI6__halffLi128ELb0ELi0EEEvPKT_PKT0_PfPimiif,"axG",@progbits,_ZN5aiter24topk_softplus_kernel_optI6__halffLi128ELb0ELi0EEEvPKT_PKT0_PfPimiif,comdat
.Lfunc_end126:
	.size	_ZN5aiter24topk_softplus_kernel_optI6__halffLi128ELb0ELi0EEEvPKT_PKT0_PfPimiif, .Lfunc_end126-_ZN5aiter24topk_softplus_kernel_optI6__halffLi128ELb0ELi0EEEvPKT_PKT0_PfPimiif
                                        ; -- End function
	.section	.AMDGPU.csdata,"",@progbits
; Kernel info:
; codeLenInByte = 1036
; NumSgprs: 20
; NumVgprs: 20
; NumAgprs: 0
; TotalNumVgprs: 20
; ScratchSize: 0
; MemoryBound: 0
; FloatMode: 240
; IeeeMode: 1
; LDSByteSize: 0 bytes/workgroup (compile time only)
; SGPRBlocks: 2
; VGPRBlocks: 2
; NumSGPRsForWavesPerEU: 20
; NumVGPRsForWavesPerEU: 20
; AccumOffset: 20
; Occupancy: 8
; WaveLimiterHint : 0
; COMPUTE_PGM_RSRC2:SCRATCH_EN: 0
; COMPUTE_PGM_RSRC2:USER_SGPR: 6
; COMPUTE_PGM_RSRC2:TRAP_HANDLER: 0
; COMPUTE_PGM_RSRC2:TGID_X_EN: 1
; COMPUTE_PGM_RSRC2:TGID_Y_EN: 0
; COMPUTE_PGM_RSRC2:TGID_Z_EN: 0
; COMPUTE_PGM_RSRC2:TIDIG_COMP_CNT: 0
; COMPUTE_PGM_RSRC3_GFX90A:ACCUM_OFFSET: 4
; COMPUTE_PGM_RSRC3_GFX90A:TG_SPLIT: 0
	.section	.text._ZN5aiter24topk_softplus_kernel_optI6__halffLi256ELb1ELi0EEEvPKT_PKT0_PfPimiif,"axG",@progbits,_ZN5aiter24topk_softplus_kernel_optI6__halffLi256ELb1ELi0EEEvPKT_PKT0_PfPimiif,comdat
	.protected	_ZN5aiter24topk_softplus_kernel_optI6__halffLi256ELb1ELi0EEEvPKT_PKT0_PfPimiif ; -- Begin function _ZN5aiter24topk_softplus_kernel_optI6__halffLi256ELb1ELi0EEEvPKT_PKT0_PfPimiif
	.globl	_ZN5aiter24topk_softplus_kernel_optI6__halffLi256ELb1ELi0EEEvPKT_PKT0_PfPimiif
	.p2align	8
	.type	_ZN5aiter24topk_softplus_kernel_optI6__halffLi256ELb1ELi0EEEvPKT_PKT0_PfPimiif,@function
_ZN5aiter24topk_softplus_kernel_optI6__halffLi256ELb1ELi0EEEvPKT_PKT0_PfPimiif: ; @_ZN5aiter24topk_softplus_kernel_optI6__halffLi256ELb1ELi0EEEvPKT_PKT0_PfPimiif
; %bb.0:
	s_load_dwordx4 s[8:11], s[4:5], 0x0
	s_lshl_b32 s0, s6, 8
	s_ashr_i32 s1, s0, 31
	s_lshl_b64 s[0:1], s[0:1], 1
	v_lshlrev_b32_e32 v1, 1, v0
	s_waitcnt lgkmcnt(0)
	s_add_u32 s0, s8, s0
	s_addc_u32 s1, s9, s1
	global_load_ushort v2, v1, s[0:1]
	s_mov_b32 s13, 0xc2fc0000
	v_mov_b32_e32 v6, 0x42800000
	s_mov_b32 s12, 0x3fb8aa3b
	v_mov_b32_e32 v8, 0x1f800000
	;; [unrolled: 2-line block ×3, first 2 shown]
	v_mov_b32_e32 v9, 0x42000000
	s_movk_i32 s7, 0x4d00
	s_mov_b32 s15, 0xf800000
	v_mov_b32_e32 v3, 0x260
	s_cmp_lg_u64 s[10:11], 0
	s_cselect_b64 s[8:9], -1, 0
	v_lshlrev_b32_e32 v13, 2, v0
	s_waitcnt vmcnt(0)
	v_cvt_f32_f16_e32 v4, v2
	v_mul_f32_e32 v5, 0x3fb8aa3b, v4
	v_cmp_gt_f32_e32 vcc, s13, v5
	v_cndmask_b32_e32 v5, 0, v6, vcc
	v_fma_mix_f32 v5, v2, s12, v5 op_sel_hi:[1,0,0]
	v_exp_f32_e32 v5, v5
	v_cndmask_b32_e32 v10, 1.0, v8, vcc
	v_fma_f32 v5, v5, v10, 1.0
	v_cmp_gt_f32_e32 vcc, s14, v5
	v_cndmask_b32_e32 v10, 1.0, v7, vcc
	v_mul_f32_e32 v5, v5, v10
	v_log_f32_e32 v5, v5
	v_cndmask_b32_e32 v11, 0, v9, vcc
	v_cmp_lt_f16_e32 vcc, s7, v2
	v_mov_b32_e32 v10, s1
	v_sub_f32_e32 v5, v5, v11
	v_mul_f32_e32 v5, 0x3f317218, v5
	v_cndmask_b32_e32 v2, v5, v4, vcc
	v_mul_f32_e32 v4, 0x4f800000, v2
	v_cmp_gt_f32_e32 vcc, s15, v2
	v_cndmask_b32_e32 v2, v2, v4, vcc
	v_sqrt_f32_e32 v11, v2
	v_add_co_u32_e64 v4, s[0:1], s0, v1
	v_addc_co_u32_e64 v5, s[0:1], 0, v10, s[0:1]
	v_add_u32_e32 v1, -1, v11
	v_add_u32_e32 v10, 1, v11
	v_fma_f32 v12, -v1, v11, v2
	v_fma_f32 v14, -v10, v11, v2
	v_cmp_ge_f32_e64 s[2:3], 0, v12
	v_cndmask_b32_e64 v1, v11, v1, s[2:3]
	v_cmp_lt_f32_e64 s[2:3], 0, v14
	v_cndmask_b32_e64 v1, v1, v10, s[2:3]
	v_mul_f32_e32 v10, 0x37800000, v1
	v_cndmask_b32_e32 v1, v1, v10, vcc
	v_cmp_class_f32_e32 vcc, v2, v3
	s_and_b64 s[0:1], exec, s[8:9]
	v_cndmask_b32_e32 v2, v1, v2, vcc
	v_mov_b32_e32 v1, v2
	s_mov_b64 vcc, s[0:1]
	s_cbranch_vccz .LBB127_2
; %bb.1:
	global_load_dword v1, v13, s[10:11]
	s_waitcnt vmcnt(0)
	v_add_f32_e32 v1, v2, v1
.LBB127_2:
	global_load_ushort v10, v[4:5], off offset:128
	s_waitcnt vmcnt(0)
	v_cvt_f32_f16_e32 v11, v10
	v_mul_f32_e32 v12, 0x3fb8aa3b, v11
	v_cmp_gt_f32_e32 vcc, s13, v12
	v_cndmask_b32_e32 v6, 0, v6, vcc
	v_fma_mix_f32 v6, v10, s12, v6 op_sel_hi:[1,0,0]
	v_exp_f32_e32 v6, v6
	v_cndmask_b32_e32 v8, 1.0, v8, vcc
	v_fma_f32 v6, v6, v8, 1.0
	v_cmp_gt_f32_e32 vcc, s14, v6
	v_cndmask_b32_e32 v7, 1.0, v7, vcc
	v_mul_f32_e32 v6, v6, v7
	v_log_f32_e32 v6, v6
	v_cndmask_b32_e32 v7, 0, v9, vcc
	v_cmp_lt_f16_e32 vcc, s7, v10
	v_cndmask_b32_e64 v8, 0, 1, s[8:9]
	v_sub_f32_e32 v6, v6, v7
	v_mul_f32_e32 v6, 0x3f317218, v6
	v_cndmask_b32_e32 v6, v6, v11, vcc
	v_mul_f32_e32 v7, 0x4f800000, v6
	v_cmp_gt_f32_e32 vcc, s15, v6
	v_cndmask_b32_e32 v6, v6, v7, vcc
	v_sqrt_f32_e32 v7, v6
	v_cmp_ne_u32_e64 s[0:1], 1, v8
	v_add_u32_e32 v8, -1, v7
	v_add_u32_e32 v9, 1, v7
	v_fma_f32 v10, -v8, v7, v6
	v_fma_f32 v11, -v9, v7, v6
	v_cmp_ge_f32_e64 s[2:3], 0, v10
	v_cndmask_b32_e64 v7, v7, v8, s[2:3]
	v_cmp_lt_f32_e64 s[2:3], 0, v11
	v_cndmask_b32_e64 v7, v7, v9, s[2:3]
	v_mul_f32_e32 v8, 0x37800000, v7
	v_cndmask_b32_e32 v7, v7, v8, vcc
	v_cmp_class_f32_e32 vcc, v6, v3
	v_cndmask_b32_e32 v8, v7, v6, vcc
	s_andn2_b64 vcc, exec, s[8:9]
	v_mov_b32_e32 v6, v8
	s_cbranch_vccnz .LBB127_4
; %bb.3:
	global_load_dword v3, v13, s[10:11] offset:256
	s_waitcnt vmcnt(0)
	v_add_f32_e32 v6, v8, v3
.LBB127_4:
	global_load_ushort v10, v[4:5], off offset:256
	s_mov_b32 s12, 0xc2fc0000
	v_mov_b32_e32 v9, 0x42800000
	s_mov_b32 s8, 0x3fb8aa3b
	v_mov_b32_e32 v3, 0x1f800000
	s_mov_b32 s13, 0x800000
	s_mov_b32 s9, 0xf800000
	s_waitcnt vmcnt(0)
	v_cvt_f32_f16_e32 v11, v10
	v_mul_f32_e32 v7, 0x3fb8aa3b, v11
	v_cmp_gt_f32_e32 vcc, s12, v7
	v_cndmask_b32_e32 v12, 0, v9, vcc
	v_fma_mix_f32 v12, v10, s8, v12 op_sel_hi:[1,0,0]
	v_exp_f32_e32 v14, v12
	v_cndmask_b32_e32 v7, 1.0, v3, vcc
	v_mov_b32_e32 v12, 0x4f800000
	v_fma_f32 v7, v14, v7, 1.0
	v_cmp_gt_f32_e32 vcc, s13, v7
	v_cndmask_b32_e32 v14, 1.0, v12, vcc
	v_mul_f32_e32 v7, v7, v14
	v_log_f32_e32 v14, v7
	v_mov_b32_e32 v7, 0x42000000
	v_cndmask_b32_e32 v15, 0, v7, vcc
	v_cmp_lt_f16_e32 vcc, s7, v10
	v_sub_f32_e32 v14, v14, v15
	v_mul_f32_e32 v14, 0x3f317218, v14
	v_cndmask_b32_e32 v10, v14, v11, vcc
	v_mul_f32_e32 v11, 0x4f800000, v10
	v_cmp_gt_f32_e32 vcc, s9, v10
	v_cndmask_b32_e32 v10, v10, v11, vcc
	v_sqrt_f32_e32 v14, v10
	v_mov_b32_e32 v11, 0x260
	v_add_u32_e32 v15, -1, v14
	v_add_u32_e32 v16, 1, v14
	v_fma_f32 v17, -v15, v14, v10
	v_fma_f32 v18, -v16, v14, v10
	v_cmp_ge_f32_e64 s[2:3], 0, v17
	v_cndmask_b32_e64 v14, v14, v15, s[2:3]
	v_cmp_lt_f32_e64 s[2:3], 0, v18
	v_cndmask_b32_e64 v14, v14, v16, s[2:3]
	v_mul_f32_e32 v15, 0x37800000, v14
	v_cndmask_b32_e32 v14, v14, v15, vcc
	v_cmp_class_f32_e32 vcc, v10, v11
	v_cndmask_b32_e32 v14, v14, v10, vcc
	s_and_b64 vcc, exec, s[0:1]
	v_mov_b32_e32 v10, v14
	s_cbranch_vccnz .LBB127_6
; %bb.5:
	global_load_dword v10, v13, s[10:11] offset:512
	s_waitcnt vmcnt(0)
	v_add_f32_e32 v10, v14, v10
.LBB127_6:
	global_load_ushort v4, v[4:5], off offset:384
	s_waitcnt vmcnt(0)
	v_cvt_f32_f16_e32 v5, v4
	v_mul_f32_e32 v15, 0x3fb8aa3b, v5
	v_cmp_gt_f32_e32 vcc, s12, v15
	v_cndmask_b32_e32 v9, 0, v9, vcc
	v_fma_mix_f32 v9, v4, s8, v9 op_sel_hi:[1,0,0]
	v_exp_f32_e32 v9, v9
	v_cndmask_b32_e32 v3, 1.0, v3, vcc
	v_fma_f32 v3, v9, v3, 1.0
	v_cmp_gt_f32_e32 vcc, s13, v3
	v_cndmask_b32_e32 v9, 1.0, v12, vcc
	v_mul_f32_e32 v3, v3, v9
	v_log_f32_e32 v3, v3
	v_cndmask_b32_e32 v7, 0, v7, vcc
	v_cmp_lt_f16_e32 vcc, s7, v4
	v_sub_f32_e32 v3, v3, v7
	v_mul_f32_e32 v3, 0x3f317218, v3
	v_cndmask_b32_e32 v3, v3, v5, vcc
	v_mul_f32_e32 v4, 0x4f800000, v3
	v_cmp_gt_f32_e32 vcc, s9, v3
	v_cndmask_b32_e32 v3, v3, v4, vcc
	v_sqrt_f32_e32 v4, v3
	v_add_u32_e32 v5, -1, v4
	v_add_u32_e32 v7, 1, v4
	v_fma_f32 v9, -v5, v4, v3
	v_fma_f32 v12, -v7, v4, v3
	v_cmp_ge_f32_e64 s[2:3], 0, v9
	v_cndmask_b32_e64 v4, v4, v5, s[2:3]
	v_cmp_lt_f32_e64 s[2:3], 0, v12
	v_cndmask_b32_e64 v4, v4, v7, s[2:3]
	v_mul_f32_e32 v5, 0x37800000, v4
	v_cndmask_b32_e32 v4, v4, v5, vcc
	v_cmp_class_f32_e32 vcc, v3, v11
	v_cndmask_b32_e32 v3, v4, v3, vcc
	s_and_b64 vcc, exec, s[0:1]
	v_mov_b32_e32 v5, v3
	s_cbranch_vccnz .LBB127_8
; %bb.7:
	global_load_dword v4, v13, s[10:11] offset:768
	s_waitcnt vmcnt(0)
	v_add_f32_e32 v5, v3, v4
.LBB127_8:
	v_add_u32_e32 v4, 64, v0
	v_cmp_lt_f32_e32 vcc, v1, v6
	v_add_u32_e32 v16, 0x80, v0
	v_add_u32_e32 v7, 0xc0, v0
	v_cndmask_b32_e32 v11, v8, v2, vcc
	v_cndmask_b32_e32 v2, v2, v8, vcc
	;; [unrolled: 1-line block ×6, first 2 shown]
	v_cmp_lt_f32_e32 vcc, v10, v5
	v_mov_b32_e32 v8, v10
	s_and_saveexec_b64 s[0:1], vcc
	s_xor_b64 s[0:1], exec, s[0:1]
; %bb.9:
	v_mov_b32_e32 v8, v16
	v_mov_b32_e32 v15, v10
	;; [unrolled: 1-line block ×4, first 2 shown]
	v_swap_b32 v14, v3
	v_swap_b32 v16, v7
	v_mov_b32_e32 v8, v5
	v_mov_b32_e32 v5, v15
; %bb.10:
	s_or_b64 exec, exec, s[0:1]
	v_cmp_lt_f32_e32 vcc, v6, v10
	v_cndmask_b32_e32 v15, v14, v2, vcc
	v_cndmask_b32_e32 v2, v2, v14, vcc
	;; [unrolled: 1-line block ×6, first 2 shown]
	v_cmp_lt_f32_e32 vcc, v9, v5
	v_mov_b32_e32 v17, v9
	s_and_saveexec_b64 s[0:1], vcc
; %bb.11:
	v_mov_b32_e32 v16, v9
	v_mov_b32_e32 v8, v11
	;; [unrolled: 1-line block ×4, first 2 shown]
	v_swap_b32 v11, v3
	v_swap_b32 v12, v7
	v_mov_b32_e32 v17, v5
	v_mov_b32_e32 v5, v16
; %bb.12:
	s_or_b64 exec, exec, s[0:1]
	s_load_dword s2, s[4:5], 0x28
	s_load_dwordx4 s[8:11], s[4:5], 0x10
	v_mov_b32_e32 v16, 0
	s_waitcnt lgkmcnt(0)
	s_cmp_lt_i32 s2, 1
	s_cbranch_scc1 .LBB127_18
; %bb.13:
	v_cmp_lt_f32_e32 vcc, v9, v14
	v_cndmask_b32_e32 v10, v14, v9, vcc
	v_cndmask_b32_e32 v9, v17, v14, vcc
	v_mbcnt_lo_u32_b32 v14, -1, 0
	v_cndmask_b32_e32 v8, v1, v12, vcc
	v_cndmask_b32_e32 v1, v12, v1, vcc
	;; [unrolled: 1-line block ×4, first 2 shown]
	v_mbcnt_hi_u32_b32 v14, -1, v14
	v_bfrev_b32_e32 v15, 0.5
	v_mov_b32_e32 v16, 0
	v_mov_b32_e32 v17, 0
	;; [unrolled: 1-line block ×3, first 2 shown]
	v_lshl_or_b32 v19, v14, 2, v15
	v_mov_b32_e32 v20, v0
	s_mov_b32 s3, s2
	v_mov_b32_e32 v14, 0
	v_mov_b32_e32 v15, 0
.LBB127_14:                             ; =>This Inner Loop Header: Depth=1
	v_cmp_eq_u32_e32 vcc, 1, v17
	v_cndmask_b32_e32 v21, v6, v9, vcc
	v_cmp_eq_u32_e64 s[0:1], 2, v17
	v_cndmask_b32_e64 v21, v21, v10, s[0:1]
	v_cndmask_b32_e32 v22, v4, v1, vcc
	v_cndmask_b32_e32 v23, v2, v11, vcc
	v_cmp_eq_u32_e32 vcc, 3, v17
	v_cndmask_b32_e32 v21, v21, v5, vcc
	v_cndmask_b32_e64 v22, v22, v8, s[0:1]
	v_cndmask_b32_e64 v23, v23, v12, s[0:1]
	v_cmp_gt_u32_e64 s[0:1], 4, v17
	v_cndmask_b32_e64 v21, v18, v21, s[0:1]
	;;#ASMSTART
	v_max_f32 v25, v21, v21 quad_perm:[1,0,3,2] row_mask:0xf bank_mask:0xf bound_ctrl:1
	;;#ASMEND
	;;#ASMSTART
	v_max_f32 v26, v25, v25 quad_perm:[2,3,0,1] row_mask:0xf bank_mask:0xf bound_ctrl:1
	;;#ASMEND
	;;#ASMSTART
	v_max_f32 v25, v26, v26 row_half_mirror row_mask:0xf bank_mask:0xf bound_ctrl:1
	;;#ASMEND
	;;#ASMSTART
	v_max_f32 v26, v25, v25 row_mirror row_mask:0xf bank_mask:0xf bound_ctrl:1
	;;#ASMEND
	;;#ASMSTART
	v_max_f32 v25, v26, v26 row_ror:4 row_mask:0xf bank_mask:0xf bound_ctrl:1
	;;#ASMEND
	;;#ASMSTART
	v_max_f32 v26, v25, v25 row_ror:8 row_mask:0xf bank_mask:0xf bound_ctrl:1
	;;#ASMEND
	;;#ASMSTART
	v_max_f32 v25, v26, v26 row_bcast:15 row_mask:0xf bank_mask:0xf bound_ctrl:1
	;;#ASMEND
	;;#ASMSTART
	v_max_f32 v26, v25, v25 row_bcast:31 row_mask:0xf bank_mask:0xf bound_ctrl:1
	;;#ASMEND
	ds_bpermute_b32 v25, v19, v26
	v_cndmask_b32_e32 v22, v22, v7, vcc
	v_cndmask_b32_e32 v23, v23, v3, vcc
	v_cndmask_b32_e64 v24, 0, v22, s[0:1]
	s_waitcnt lgkmcnt(0)
	v_cmp_eq_f32_e32 vcc, v21, v25
	s_ff1_i32_b64 s7, vcc
	s_cmp_lg_u64 vcc, 0
	s_cselect_b32 s7, s7, 0
	v_readlane_b32 s7, v24, s7
	v_cmp_eq_u32_e32 vcc, s7, v22
	s_and_b64 vcc, s[0:1], vcc
	s_and_b32 s12, s7, 63
	v_cndmask_b32_e32 v22, 0, v23, vcc
	v_addc_co_u32_e32 v17, vcc, 0, v17, vcc
	v_readlane_b32 s0, v22, s12
	s_add_i32 s3, s3, -1
	v_mov_b32_e32 v21, s7
	v_mov_b32_e32 v22, s0
	v_cmp_eq_u32_e32 vcc, 0, v20
	s_cmp_eq_u32 s3, 0
	v_add_f32_e32 v16, s0, v16
	v_add_u32_e32 v20, -1, v20
	v_cndmask_b32_e32 v15, v15, v22, vcc
	v_cndmask_b32_e32 v14, v14, v21, vcc
	s_cbranch_scc0 .LBB127_14
; %bb.15:
	v_cmp_gt_i32_e32 vcc, s2, v0
	s_and_saveexec_b64 s[0:1], vcc
	s_cbranch_execz .LBB127_17
.LBB127_16:
	s_load_dword s2, s[4:5], 0x30
	v_max_f32_e32 v0, v16, v16
	v_max_f32_e32 v0, 0x1e3ce508, v0
	s_waitcnt lgkmcnt(0)
	v_div_scale_f32 v1, s[0:1], v0, v0, s2
	v_rcp_f32_e32 v2, v1
	v_div_scale_f32 v3, vcc, s2, v0, s2
	s_load_dwordx2 s[0:1], s[4:5], 0x20
	v_fma_f32 v4, -v1, v2, 1.0
	v_fmac_f32_e32 v2, v4, v2
	v_mul_f32_e32 v4, v3, v2
	v_fma_f32 v5, -v1, v4, v3
	v_fmac_f32_e32 v4, v5, v2
	v_fma_f32 v1, -v1, v4, v3
	v_div_fmas_f32 v1, v1, v2, v4
	v_div_fixup_f32 v0, v1, v0, s2
	s_ashr_i32 s2, s6, 31
	s_waitcnt lgkmcnt(0)
	s_mul_i32 s1, s6, s1
	s_mul_hi_u32 s3, s6, s0
	s_add_i32 s1, s3, s1
	s_mul_i32 s2, s2, s0
	s_add_i32 s1, s1, s2
	s_mul_i32 s0, s6, s0
	s_lshl_b64 s[0:1], s[0:1], 2
	s_add_u32 s2, s8, s0
	s_addc_u32 s3, s9, s1
	s_add_u32 s0, s10, s0
	v_mul_f32_e32 v0, v15, v0
	s_addc_u32 s1, s11, s1
	global_store_dword v13, v0, s[2:3]
	global_store_dword v13, v14, s[0:1]
.LBB127_17:
	s_endpgm
.LBB127_18:
	v_mov_b32_e32 v14, 0
	v_mov_b32_e32 v15, 0
	v_cmp_gt_i32_e32 vcc, s2, v0
	s_and_saveexec_b64 s[0:1], vcc
	s_cbranch_execnz .LBB127_16
	s_branch .LBB127_17
	.section	.rodata,"a",@progbits
	.p2align	6, 0x0
	.amdhsa_kernel _ZN5aiter24topk_softplus_kernel_optI6__halffLi256ELb1ELi0EEEvPKT_PKT0_PfPimiif
		.amdhsa_group_segment_fixed_size 0
		.amdhsa_private_segment_fixed_size 0
		.amdhsa_kernarg_size 52
		.amdhsa_user_sgpr_count 6
		.amdhsa_user_sgpr_private_segment_buffer 1
		.amdhsa_user_sgpr_dispatch_ptr 0
		.amdhsa_user_sgpr_queue_ptr 0
		.amdhsa_user_sgpr_kernarg_segment_ptr 1
		.amdhsa_user_sgpr_dispatch_id 0
		.amdhsa_user_sgpr_flat_scratch_init 0
		.amdhsa_user_sgpr_kernarg_preload_length 0
		.amdhsa_user_sgpr_kernarg_preload_offset 0
		.amdhsa_user_sgpr_private_segment_size 0
		.amdhsa_uses_dynamic_stack 0
		.amdhsa_system_sgpr_private_segment_wavefront_offset 0
		.amdhsa_system_sgpr_workgroup_id_x 1
		.amdhsa_system_sgpr_workgroup_id_y 0
		.amdhsa_system_sgpr_workgroup_id_z 0
		.amdhsa_system_sgpr_workgroup_info 0
		.amdhsa_system_vgpr_workitem_id 0
		.amdhsa_next_free_vgpr 27
		.amdhsa_next_free_sgpr 16
		.amdhsa_accum_offset 28
		.amdhsa_reserve_vcc 1
		.amdhsa_reserve_flat_scratch 0
		.amdhsa_float_round_mode_32 0
		.amdhsa_float_round_mode_16_64 0
		.amdhsa_float_denorm_mode_32 3
		.amdhsa_float_denorm_mode_16_64 3
		.amdhsa_dx10_clamp 1
		.amdhsa_ieee_mode 1
		.amdhsa_fp16_overflow 0
		.amdhsa_tg_split 0
		.amdhsa_exception_fp_ieee_invalid_op 0
		.amdhsa_exception_fp_denorm_src 0
		.amdhsa_exception_fp_ieee_div_zero 0
		.amdhsa_exception_fp_ieee_overflow 0
		.amdhsa_exception_fp_ieee_underflow 0
		.amdhsa_exception_fp_ieee_inexact 0
		.amdhsa_exception_int_div_zero 0
	.end_amdhsa_kernel
	.section	.text._ZN5aiter24topk_softplus_kernel_optI6__halffLi256ELb1ELi0EEEvPKT_PKT0_PfPimiif,"axG",@progbits,_ZN5aiter24topk_softplus_kernel_optI6__halffLi256ELb1ELi0EEEvPKT_PKT0_PfPimiif,comdat
.Lfunc_end127:
	.size	_ZN5aiter24topk_softplus_kernel_optI6__halffLi256ELb1ELi0EEEvPKT_PKT0_PfPimiif, .Lfunc_end127-_ZN5aiter24topk_softplus_kernel_optI6__halffLi256ELb1ELi0EEEvPKT_PKT0_PfPimiif
                                        ; -- End function
	.section	.AMDGPU.csdata,"",@progbits
; Kernel info:
; codeLenInByte = 1884
; NumSgprs: 20
; NumVgprs: 27
; NumAgprs: 0
; TotalNumVgprs: 27
; ScratchSize: 0
; MemoryBound: 0
; FloatMode: 240
; IeeeMode: 1
; LDSByteSize: 0 bytes/workgroup (compile time only)
; SGPRBlocks: 2
; VGPRBlocks: 3
; NumSGPRsForWavesPerEU: 20
; NumVGPRsForWavesPerEU: 27
; AccumOffset: 28
; Occupancy: 8
; WaveLimiterHint : 0
; COMPUTE_PGM_RSRC2:SCRATCH_EN: 0
; COMPUTE_PGM_RSRC2:USER_SGPR: 6
; COMPUTE_PGM_RSRC2:TRAP_HANDLER: 0
; COMPUTE_PGM_RSRC2:TGID_X_EN: 1
; COMPUTE_PGM_RSRC2:TGID_Y_EN: 0
; COMPUTE_PGM_RSRC2:TGID_Z_EN: 0
; COMPUTE_PGM_RSRC2:TIDIG_COMP_CNT: 0
; COMPUTE_PGM_RSRC3_GFX90A:ACCUM_OFFSET: 6
; COMPUTE_PGM_RSRC3_GFX90A:TG_SPLIT: 0
	.section	.text._ZN5aiter24topk_softplus_kernel_optI6__halffLi256ELb0ELi0EEEvPKT_PKT0_PfPimiif,"axG",@progbits,_ZN5aiter24topk_softplus_kernel_optI6__halffLi256ELb0ELi0EEEvPKT_PKT0_PfPimiif,comdat
	.protected	_ZN5aiter24topk_softplus_kernel_optI6__halffLi256ELb0ELi0EEEvPKT_PKT0_PfPimiif ; -- Begin function _ZN5aiter24topk_softplus_kernel_optI6__halffLi256ELb0ELi0EEEvPKT_PKT0_PfPimiif
	.globl	_ZN5aiter24topk_softplus_kernel_optI6__halffLi256ELb0ELi0EEEvPKT_PKT0_PfPimiif
	.p2align	8
	.type	_ZN5aiter24topk_softplus_kernel_optI6__halffLi256ELb0ELi0EEEvPKT_PKT0_PfPimiif,@function
_ZN5aiter24topk_softplus_kernel_optI6__halffLi256ELb0ELi0EEEvPKT_PKT0_PfPimiif: ; @_ZN5aiter24topk_softplus_kernel_optI6__halffLi256ELb0ELi0EEEvPKT_PKT0_PfPimiif
; %bb.0:
	s_load_dwordx4 s[8:11], s[4:5], 0x0
	s_lshl_b32 s0, s6, 8
	s_ashr_i32 s1, s0, 31
	s_lshl_b64 s[0:1], s[0:1], 1
	v_lshlrev_b32_e32 v1, 1, v0
	s_waitcnt lgkmcnt(0)
	s_add_u32 s0, s8, s0
	s_addc_u32 s1, s9, s1
	global_load_ushort v2, v1, s[0:1]
	s_mov_b32 s13, 0xc2fc0000
	v_mov_b32_e32 v6, 0x42800000
	s_mov_b32 s12, 0x3fb8aa3b
	v_mov_b32_e32 v8, 0x1f800000
	;; [unrolled: 2-line block ×3, first 2 shown]
	v_mov_b32_e32 v9, 0x42000000
	s_movk_i32 s7, 0x4d00
	s_mov_b32 s15, 0xf800000
	v_mov_b32_e32 v3, 0x260
	s_cmp_lg_u64 s[10:11], 0
	s_cselect_b64 s[8:9], -1, 0
	v_lshlrev_b32_e32 v13, 2, v0
	s_waitcnt vmcnt(0)
	v_cvt_f32_f16_e32 v4, v2
	v_mul_f32_e32 v5, 0x3fb8aa3b, v4
	v_cmp_gt_f32_e32 vcc, s13, v5
	v_cndmask_b32_e32 v5, 0, v6, vcc
	v_fma_mix_f32 v5, v2, s12, v5 op_sel_hi:[1,0,0]
	v_exp_f32_e32 v5, v5
	v_cndmask_b32_e32 v10, 1.0, v8, vcc
	v_fma_f32 v5, v5, v10, 1.0
	v_cmp_gt_f32_e32 vcc, s14, v5
	v_cndmask_b32_e32 v10, 1.0, v7, vcc
	v_mul_f32_e32 v5, v5, v10
	v_log_f32_e32 v5, v5
	v_cndmask_b32_e32 v11, 0, v9, vcc
	v_cmp_lt_f16_e32 vcc, s7, v2
	v_mov_b32_e32 v10, s1
	v_sub_f32_e32 v5, v5, v11
	v_mul_f32_e32 v5, 0x3f317218, v5
	v_cndmask_b32_e32 v2, v5, v4, vcc
	v_mul_f32_e32 v4, 0x4f800000, v2
	v_cmp_gt_f32_e32 vcc, s15, v2
	v_cndmask_b32_e32 v2, v2, v4, vcc
	v_sqrt_f32_e32 v11, v2
	v_add_co_u32_e64 v4, s[0:1], s0, v1
	v_addc_co_u32_e64 v5, s[0:1], 0, v10, s[0:1]
	v_add_u32_e32 v1, -1, v11
	v_add_u32_e32 v10, 1, v11
	v_fma_f32 v12, -v1, v11, v2
	v_fma_f32 v14, -v10, v11, v2
	v_cmp_ge_f32_e64 s[2:3], 0, v12
	v_cndmask_b32_e64 v1, v11, v1, s[2:3]
	v_cmp_lt_f32_e64 s[2:3], 0, v14
	v_cndmask_b32_e64 v1, v1, v10, s[2:3]
	v_mul_f32_e32 v10, 0x37800000, v1
	v_cndmask_b32_e32 v1, v1, v10, vcc
	v_cmp_class_f32_e32 vcc, v2, v3
	s_and_b64 s[0:1], exec, s[8:9]
	v_cndmask_b32_e32 v2, v1, v2, vcc
	v_mov_b32_e32 v1, v2
	s_mov_b64 vcc, s[0:1]
	s_cbranch_vccz .LBB128_2
; %bb.1:
	global_load_dword v1, v13, s[10:11]
	s_waitcnt vmcnt(0)
	v_add_f32_e32 v1, v2, v1
.LBB128_2:
	global_load_ushort v10, v[4:5], off offset:128
	s_waitcnt vmcnt(0)
	v_cvt_f32_f16_e32 v11, v10
	v_mul_f32_e32 v12, 0x3fb8aa3b, v11
	v_cmp_gt_f32_e32 vcc, s13, v12
	v_cndmask_b32_e32 v6, 0, v6, vcc
	v_fma_mix_f32 v6, v10, s12, v6 op_sel_hi:[1,0,0]
	v_exp_f32_e32 v6, v6
	v_cndmask_b32_e32 v8, 1.0, v8, vcc
	v_fma_f32 v6, v6, v8, 1.0
	v_cmp_gt_f32_e32 vcc, s14, v6
	v_cndmask_b32_e32 v7, 1.0, v7, vcc
	v_mul_f32_e32 v6, v6, v7
	v_log_f32_e32 v6, v6
	v_cndmask_b32_e32 v7, 0, v9, vcc
	v_cmp_lt_f16_e32 vcc, s7, v10
	v_cndmask_b32_e64 v8, 0, 1, s[8:9]
	v_sub_f32_e32 v6, v6, v7
	v_mul_f32_e32 v6, 0x3f317218, v6
	v_cndmask_b32_e32 v6, v6, v11, vcc
	v_mul_f32_e32 v7, 0x4f800000, v6
	v_cmp_gt_f32_e32 vcc, s15, v6
	v_cndmask_b32_e32 v6, v6, v7, vcc
	v_sqrt_f32_e32 v7, v6
	v_cmp_ne_u32_e64 s[0:1], 1, v8
	v_add_u32_e32 v8, -1, v7
	v_add_u32_e32 v9, 1, v7
	v_fma_f32 v10, -v8, v7, v6
	v_fma_f32 v11, -v9, v7, v6
	v_cmp_ge_f32_e64 s[2:3], 0, v10
	v_cndmask_b32_e64 v7, v7, v8, s[2:3]
	v_cmp_lt_f32_e64 s[2:3], 0, v11
	v_cndmask_b32_e64 v7, v7, v9, s[2:3]
	v_mul_f32_e32 v8, 0x37800000, v7
	v_cndmask_b32_e32 v7, v7, v8, vcc
	v_cmp_class_f32_e32 vcc, v6, v3
	v_cndmask_b32_e32 v8, v7, v6, vcc
	s_andn2_b64 vcc, exec, s[8:9]
	v_mov_b32_e32 v6, v8
	s_cbranch_vccnz .LBB128_4
; %bb.3:
	global_load_dword v3, v13, s[10:11] offset:256
	s_waitcnt vmcnt(0)
	v_add_f32_e32 v6, v8, v3
.LBB128_4:
	global_load_ushort v10, v[4:5], off offset:256
	s_mov_b32 s12, 0xc2fc0000
	v_mov_b32_e32 v9, 0x42800000
	s_mov_b32 s8, 0x3fb8aa3b
	v_mov_b32_e32 v3, 0x1f800000
	s_mov_b32 s13, 0x800000
	s_mov_b32 s9, 0xf800000
	s_waitcnt vmcnt(0)
	v_cvt_f32_f16_e32 v11, v10
	v_mul_f32_e32 v7, 0x3fb8aa3b, v11
	v_cmp_gt_f32_e32 vcc, s12, v7
	v_cndmask_b32_e32 v12, 0, v9, vcc
	v_fma_mix_f32 v12, v10, s8, v12 op_sel_hi:[1,0,0]
	v_exp_f32_e32 v14, v12
	v_cndmask_b32_e32 v7, 1.0, v3, vcc
	v_mov_b32_e32 v12, 0x4f800000
	v_fma_f32 v7, v14, v7, 1.0
	v_cmp_gt_f32_e32 vcc, s13, v7
	v_cndmask_b32_e32 v14, 1.0, v12, vcc
	v_mul_f32_e32 v7, v7, v14
	v_log_f32_e32 v14, v7
	v_mov_b32_e32 v7, 0x42000000
	v_cndmask_b32_e32 v15, 0, v7, vcc
	v_cmp_lt_f16_e32 vcc, s7, v10
	v_sub_f32_e32 v14, v14, v15
	v_mul_f32_e32 v14, 0x3f317218, v14
	v_cndmask_b32_e32 v10, v14, v11, vcc
	v_mul_f32_e32 v11, 0x4f800000, v10
	v_cmp_gt_f32_e32 vcc, s9, v10
	v_cndmask_b32_e32 v10, v10, v11, vcc
	v_sqrt_f32_e32 v14, v10
	v_mov_b32_e32 v11, 0x260
	v_add_u32_e32 v15, -1, v14
	v_add_u32_e32 v16, 1, v14
	v_fma_f32 v17, -v15, v14, v10
	v_fma_f32 v18, -v16, v14, v10
	v_cmp_ge_f32_e64 s[2:3], 0, v17
	v_cndmask_b32_e64 v14, v14, v15, s[2:3]
	v_cmp_lt_f32_e64 s[2:3], 0, v18
	v_cndmask_b32_e64 v14, v14, v16, s[2:3]
	v_mul_f32_e32 v15, 0x37800000, v14
	v_cndmask_b32_e32 v14, v14, v15, vcc
	v_cmp_class_f32_e32 vcc, v10, v11
	v_cndmask_b32_e32 v14, v14, v10, vcc
	s_and_b64 vcc, exec, s[0:1]
	v_mov_b32_e32 v10, v14
	s_cbranch_vccnz .LBB128_6
; %bb.5:
	global_load_dword v10, v13, s[10:11] offset:512
	s_waitcnt vmcnt(0)
	v_add_f32_e32 v10, v14, v10
.LBB128_6:
	global_load_ushort v4, v[4:5], off offset:384
	s_waitcnt vmcnt(0)
	v_cvt_f32_f16_e32 v5, v4
	v_mul_f32_e32 v15, 0x3fb8aa3b, v5
	v_cmp_gt_f32_e32 vcc, s12, v15
	v_cndmask_b32_e32 v9, 0, v9, vcc
	v_fma_mix_f32 v9, v4, s8, v9 op_sel_hi:[1,0,0]
	v_exp_f32_e32 v9, v9
	v_cndmask_b32_e32 v3, 1.0, v3, vcc
	v_fma_f32 v3, v9, v3, 1.0
	v_cmp_gt_f32_e32 vcc, s13, v3
	v_cndmask_b32_e32 v9, 1.0, v12, vcc
	v_mul_f32_e32 v3, v3, v9
	v_log_f32_e32 v3, v3
	v_cndmask_b32_e32 v7, 0, v7, vcc
	v_cmp_lt_f16_e32 vcc, s7, v4
	v_sub_f32_e32 v3, v3, v7
	v_mul_f32_e32 v3, 0x3f317218, v3
	v_cndmask_b32_e32 v3, v3, v5, vcc
	v_mul_f32_e32 v4, 0x4f800000, v3
	v_cmp_gt_f32_e32 vcc, s9, v3
	v_cndmask_b32_e32 v3, v3, v4, vcc
	v_sqrt_f32_e32 v4, v3
	v_add_u32_e32 v5, -1, v4
	v_add_u32_e32 v7, 1, v4
	v_fma_f32 v9, -v5, v4, v3
	v_fma_f32 v12, -v7, v4, v3
	v_cmp_ge_f32_e64 s[2:3], 0, v9
	v_cndmask_b32_e64 v4, v4, v5, s[2:3]
	v_cmp_lt_f32_e64 s[2:3], 0, v12
	v_cndmask_b32_e64 v4, v4, v7, s[2:3]
	v_mul_f32_e32 v5, 0x37800000, v4
	v_cndmask_b32_e32 v4, v4, v5, vcc
	v_cmp_class_f32_e32 vcc, v3, v11
	v_cndmask_b32_e32 v3, v4, v3, vcc
	s_and_b64 vcc, exec, s[0:1]
	v_mov_b32_e32 v5, v3
	s_cbranch_vccnz .LBB128_8
; %bb.7:
	global_load_dword v4, v13, s[10:11] offset:768
	s_waitcnt vmcnt(0)
	v_add_f32_e32 v5, v3, v4
.LBB128_8:
	v_add_u32_e32 v4, 64, v0
	v_cmp_lt_f32_e32 vcc, v1, v6
	v_add_u32_e32 v16, 0x80, v0
	v_add_u32_e32 v7, 0xc0, v0
	v_cndmask_b32_e32 v11, v8, v2, vcc
	v_cndmask_b32_e32 v2, v2, v8, vcc
	v_cndmask_b32_e32 v12, v4, v0, vcc
	v_cndmask_b32_e32 v4, v0, v4, vcc
	v_cndmask_b32_e32 v9, v6, v1, vcc
	v_cndmask_b32_e32 v6, v1, v6, vcc
	v_cmp_lt_f32_e32 vcc, v10, v5
	v_mov_b32_e32 v8, v10
	s_and_saveexec_b64 s[0:1], vcc
	s_xor_b64 s[0:1], exec, s[0:1]
; %bb.9:
	v_mov_b32_e32 v8, v16
	v_mov_b32_e32 v15, v10
	;; [unrolled: 1-line block ×4, first 2 shown]
	v_swap_b32 v14, v3
	v_swap_b32 v16, v7
	v_mov_b32_e32 v8, v5
	v_mov_b32_e32 v5, v15
; %bb.10:
	s_or_b64 exec, exec, s[0:1]
	v_cmp_lt_f32_e32 vcc, v6, v10
	v_cndmask_b32_e32 v15, v14, v2, vcc
	v_cndmask_b32_e32 v2, v2, v14, vcc
	;; [unrolled: 1-line block ×6, first 2 shown]
	v_cmp_lt_f32_e32 vcc, v9, v5
	v_mov_b32_e32 v16, v9
	s_and_saveexec_b64 s[0:1], vcc
; %bb.11:
	v_mov_b32_e32 v17, v9
	v_mov_b32_e32 v8, v11
	;; [unrolled: 1-line block ×4, first 2 shown]
	v_swap_b32 v11, v3
	v_swap_b32 v12, v7
	v_mov_b32_e32 v16, v5
	v_mov_b32_e32 v5, v17
; %bb.12:
	s_or_b64 exec, exec, s[0:1]
	s_load_dword s2, s[4:5], 0x28
	s_load_dwordx4 s[8:11], s[4:5], 0x10
	s_waitcnt lgkmcnt(0)
	s_cmp_lt_i32 s2, 1
	s_cbranch_scc1 .LBB128_18
; %bb.13:
	v_cmp_lt_f32_e32 vcc, v9, v14
	v_cndmask_b32_e32 v10, v14, v9, vcc
	v_cndmask_b32_e32 v9, v16, v14, vcc
	v_mbcnt_lo_u32_b32 v14, -1, 0
	v_mbcnt_hi_u32_b32 v14, -1, v14
	v_bfrev_b32_e32 v18, 0.5
	v_cndmask_b32_e32 v8, v1, v12, vcc
	v_cndmask_b32_e32 v1, v12, v1, vcc
	;; [unrolled: 1-line block ×4, first 2 shown]
	v_mov_b32_e32 v16, 0
	v_mov_b32_e32 v15, 0
	;; [unrolled: 1-line block ×3, first 2 shown]
	v_lshl_or_b32 v18, v14, 2, v18
	v_mov_b32_e32 v19, v0
	s_mov_b32 s3, s2
	v_mov_b32_e32 v14, 0
.LBB128_14:                             ; =>This Inner Loop Header: Depth=1
	v_cmp_eq_u32_e32 vcc, 1, v16
	v_cndmask_b32_e32 v20, v6, v9, vcc
	v_cmp_eq_u32_e64 s[0:1], 2, v16
	v_cndmask_b32_e64 v20, v20, v10, s[0:1]
	v_cndmask_b32_e32 v21, v4, v1, vcc
	v_cndmask_b32_e32 v22, v2, v11, vcc
	v_cmp_eq_u32_e32 vcc, 3, v16
	v_cndmask_b32_e32 v20, v20, v5, vcc
	v_cndmask_b32_e64 v21, v21, v8, s[0:1]
	v_cndmask_b32_e64 v22, v22, v12, s[0:1]
	v_cmp_gt_u32_e64 s[0:1], 4, v16
	v_cndmask_b32_e64 v20, v17, v20, s[0:1]
	;;#ASMSTART
	v_max_f32 v24, v20, v20 quad_perm:[1,0,3,2] row_mask:0xf bank_mask:0xf bound_ctrl:1
	;;#ASMEND
	;;#ASMSTART
	v_max_f32 v25, v24, v24 quad_perm:[2,3,0,1] row_mask:0xf bank_mask:0xf bound_ctrl:1
	;;#ASMEND
	;;#ASMSTART
	v_max_f32 v24, v25, v25 row_half_mirror row_mask:0xf bank_mask:0xf bound_ctrl:1
	;;#ASMEND
	;;#ASMSTART
	v_max_f32 v25, v24, v24 row_mirror row_mask:0xf bank_mask:0xf bound_ctrl:1
	;;#ASMEND
	;;#ASMSTART
	v_max_f32 v24, v25, v25 row_ror:4 row_mask:0xf bank_mask:0xf bound_ctrl:1
	;;#ASMEND
	;;#ASMSTART
	v_max_f32 v25, v24, v24 row_ror:8 row_mask:0xf bank_mask:0xf bound_ctrl:1
	;;#ASMEND
	;;#ASMSTART
	v_max_f32 v24, v25, v25 row_bcast:15 row_mask:0xf bank_mask:0xf bound_ctrl:1
	;;#ASMEND
	;;#ASMSTART
	v_max_f32 v25, v24, v24 row_bcast:31 row_mask:0xf bank_mask:0xf bound_ctrl:1
	;;#ASMEND
	ds_bpermute_b32 v24, v18, v25
	v_cndmask_b32_e32 v21, v21, v7, vcc
	v_cndmask_b32_e32 v22, v22, v3, vcc
	v_cndmask_b32_e64 v23, 0, v21, s[0:1]
	s_waitcnt lgkmcnt(0)
	v_cmp_eq_f32_e32 vcc, v20, v24
	s_ff1_i32_b64 s7, vcc
	s_cmp_lg_u64 vcc, 0
	s_cselect_b32 s7, s7, 0
	v_readlane_b32 s7, v23, s7
	v_cmp_eq_u32_e32 vcc, s7, v21
	s_and_b64 vcc, s[0:1], vcc
	s_and_b32 s12, s7, 63
	v_cndmask_b32_e32 v21, 0, v22, vcc
	v_addc_co_u32_e32 v16, vcc, 0, v16, vcc
	v_readlane_b32 s0, v21, s12
	s_add_i32 s3, s3, -1
	v_mov_b32_e32 v20, s7
	v_mov_b32_e32 v21, s0
	v_cmp_eq_u32_e32 vcc, 0, v19
	s_cmp_eq_u32 s3, 0
	v_add_u32_e32 v19, -1, v19
	v_cndmask_b32_e32 v15, v15, v21, vcc
	v_cndmask_b32_e32 v14, v14, v20, vcc
	s_cbranch_scc0 .LBB128_14
; %bb.15:
	v_cmp_gt_i32_e32 vcc, s2, v0
	s_and_saveexec_b64 s[0:1], vcc
	s_cbranch_execz .LBB128_17
.LBB128_16:
	s_load_dword s2, s[4:5], 0x30
	s_load_dwordx2 s[0:1], s[4:5], 0x20
	s_ashr_i32 s3, s6, 31
	s_waitcnt lgkmcnt(0)
	v_mul_f32_e32 v0, s2, v15
	s_mul_i32 s1, s6, s1
	s_mul_hi_u32 s2, s6, s0
	s_add_i32 s1, s2, s1
	s_mul_i32 s3, s3, s0
	s_add_i32 s1, s1, s3
	s_mul_i32 s0, s6, s0
	s_lshl_b64 s[0:1], s[0:1], 2
	s_add_u32 s2, s8, s0
	s_addc_u32 s3, s9, s1
	s_add_u32 s0, s10, s0
	s_addc_u32 s1, s11, s1
	global_store_dword v13, v0, s[2:3]
	global_store_dword v13, v14, s[0:1]
.LBB128_17:
	s_endpgm
.LBB128_18:
	v_mov_b32_e32 v14, 0
	v_mov_b32_e32 v15, 0
	v_cmp_gt_i32_e32 vcc, s2, v0
	s_and_saveexec_b64 s[0:1], vcc
	s_cbranch_execnz .LBB128_16
	s_branch .LBB128_17
	.section	.rodata,"a",@progbits
	.p2align	6, 0x0
	.amdhsa_kernel _ZN5aiter24topk_softplus_kernel_optI6__halffLi256ELb0ELi0EEEvPKT_PKT0_PfPimiif
		.amdhsa_group_segment_fixed_size 0
		.amdhsa_private_segment_fixed_size 0
		.amdhsa_kernarg_size 52
		.amdhsa_user_sgpr_count 6
		.amdhsa_user_sgpr_private_segment_buffer 1
		.amdhsa_user_sgpr_dispatch_ptr 0
		.amdhsa_user_sgpr_queue_ptr 0
		.amdhsa_user_sgpr_kernarg_segment_ptr 1
		.amdhsa_user_sgpr_dispatch_id 0
		.amdhsa_user_sgpr_flat_scratch_init 0
		.amdhsa_user_sgpr_kernarg_preload_length 0
		.amdhsa_user_sgpr_kernarg_preload_offset 0
		.amdhsa_user_sgpr_private_segment_size 0
		.amdhsa_uses_dynamic_stack 0
		.amdhsa_system_sgpr_private_segment_wavefront_offset 0
		.amdhsa_system_sgpr_workgroup_id_x 1
		.amdhsa_system_sgpr_workgroup_id_y 0
		.amdhsa_system_sgpr_workgroup_id_z 0
		.amdhsa_system_sgpr_workgroup_info 0
		.amdhsa_system_vgpr_workitem_id 0
		.amdhsa_next_free_vgpr 26
		.amdhsa_next_free_sgpr 16
		.amdhsa_accum_offset 28
		.amdhsa_reserve_vcc 1
		.amdhsa_reserve_flat_scratch 0
		.amdhsa_float_round_mode_32 0
		.amdhsa_float_round_mode_16_64 0
		.amdhsa_float_denorm_mode_32 3
		.amdhsa_float_denorm_mode_16_64 3
		.amdhsa_dx10_clamp 1
		.amdhsa_ieee_mode 1
		.amdhsa_fp16_overflow 0
		.amdhsa_tg_split 0
		.amdhsa_exception_fp_ieee_invalid_op 0
		.amdhsa_exception_fp_denorm_src 0
		.amdhsa_exception_fp_ieee_div_zero 0
		.amdhsa_exception_fp_ieee_overflow 0
		.amdhsa_exception_fp_ieee_underflow 0
		.amdhsa_exception_fp_ieee_inexact 0
		.amdhsa_exception_int_div_zero 0
	.end_amdhsa_kernel
	.section	.text._ZN5aiter24topk_softplus_kernel_optI6__halffLi256ELb0ELi0EEEvPKT_PKT0_PfPimiif,"axG",@progbits,_ZN5aiter24topk_softplus_kernel_optI6__halffLi256ELb0ELi0EEEvPKT_PKT0_PfPimiif,comdat
.Lfunc_end128:
	.size	_ZN5aiter24topk_softplus_kernel_optI6__halffLi256ELb0ELi0EEEvPKT_PKT0_PfPimiif, .Lfunc_end128-_ZN5aiter24topk_softplus_kernel_optI6__halffLi256ELb0ELi0EEEvPKT_PKT0_PfPimiif
                                        ; -- End function
	.section	.AMDGPU.csdata,"",@progbits
; Kernel info:
; codeLenInByte = 1784
; NumSgprs: 20
; NumVgprs: 26
; NumAgprs: 0
; TotalNumVgprs: 26
; ScratchSize: 0
; MemoryBound: 0
; FloatMode: 240
; IeeeMode: 1
; LDSByteSize: 0 bytes/workgroup (compile time only)
; SGPRBlocks: 2
; VGPRBlocks: 3
; NumSGPRsForWavesPerEU: 20
; NumVGPRsForWavesPerEU: 26
; AccumOffset: 28
; Occupancy: 8
; WaveLimiterHint : 0
; COMPUTE_PGM_RSRC2:SCRATCH_EN: 0
; COMPUTE_PGM_RSRC2:USER_SGPR: 6
; COMPUTE_PGM_RSRC2:TRAP_HANDLER: 0
; COMPUTE_PGM_RSRC2:TGID_X_EN: 1
; COMPUTE_PGM_RSRC2:TGID_Y_EN: 0
; COMPUTE_PGM_RSRC2:TGID_Z_EN: 0
; COMPUTE_PGM_RSRC2:TIDIG_COMP_CNT: 0
; COMPUTE_PGM_RSRC3_GFX90A:ACCUM_OFFSET: 6
; COMPUTE_PGM_RSRC3_GFX90A:TG_SPLIT: 0
	.section	.text._ZN5aiter24topk_softplus_kernel_optI6__halffLi384ELb1ELi0EEEvPKT_PKT0_PfPimiif,"axG",@progbits,_ZN5aiter24topk_softplus_kernel_optI6__halffLi384ELb1ELi0EEEvPKT_PKT0_PfPimiif,comdat
	.protected	_ZN5aiter24topk_softplus_kernel_optI6__halffLi384ELb1ELi0EEEvPKT_PKT0_PfPimiif ; -- Begin function _ZN5aiter24topk_softplus_kernel_optI6__halffLi384ELb1ELi0EEEvPKT_PKT0_PfPimiif
	.globl	_ZN5aiter24topk_softplus_kernel_optI6__halffLi384ELb1ELi0EEEvPKT_PKT0_PfPimiif
	.p2align	8
	.type	_ZN5aiter24topk_softplus_kernel_optI6__halffLi384ELb1ELi0EEEvPKT_PKT0_PfPimiif,@function
_ZN5aiter24topk_softplus_kernel_optI6__halffLi384ELb1ELi0EEEvPKT_PKT0_PfPimiif: ; @_ZN5aiter24topk_softplus_kernel_optI6__halffLi384ELb1ELi0EEEvPKT_PKT0_PfPimiif
; %bb.0:
	s_load_dwordx4 s[8:11], s[4:5], 0x0
	s_mul_i32 s0, s6, 0x180
	s_ashr_i32 s1, s0, 31
	s_lshl_b64 s[0:1], s[0:1], 1
	v_lshlrev_b32_e32 v1, 1, v0
	s_waitcnt lgkmcnt(0)
	s_add_u32 s0, s8, s0
	s_addc_u32 s1, s9, s1
	global_load_ushort v2, v1, s[0:1]
	s_mov_b32 s13, 0xc2fc0000
	v_mov_b32_e32 v6, 0x42800000
	s_mov_b32 s12, 0x3fb8aa3b
	v_mov_b32_e32 v8, 0x1f800000
	;; [unrolled: 2-line block ×3, first 2 shown]
	v_mov_b32_e32 v9, 0x42000000
	s_movk_i32 s7, 0x4d00
	s_mov_b32 s15, 0xf800000
	v_mov_b32_e32 v5, 0x260
	s_cmp_lg_u64 s[10:11], 0
	s_cselect_b64 s[8:9], -1, 0
	v_lshlrev_b32_e32 v19, 2, v0
	s_waitcnt vmcnt(0)
	v_cvt_f32_f16_e32 v3, v2
	v_mul_f32_e32 v4, 0x3fb8aa3b, v3
	v_cmp_gt_f32_e32 vcc, s13, v4
	v_cndmask_b32_e32 v4, 0, v6, vcc
	v_fma_mix_f32 v4, v2, s12, v4 op_sel_hi:[1,0,0]
	v_exp_f32_e32 v4, v4
	v_cndmask_b32_e32 v10, 1.0, v8, vcc
	v_fma_f32 v4, v4, v10, 1.0
	v_cmp_gt_f32_e32 vcc, s14, v4
	v_cndmask_b32_e32 v10, 1.0, v7, vcc
	v_mul_f32_e32 v4, v4, v10
	v_log_f32_e32 v4, v4
	v_cndmask_b32_e32 v11, 0, v9, vcc
	v_cmp_lt_f16_e32 vcc, s7, v2
	v_mov_b32_e32 v10, s1
	v_sub_f32_e32 v4, v4, v11
	v_mul_f32_e32 v4, 0x3f317218, v4
	v_cndmask_b32_e32 v2, v4, v3, vcc
	v_mul_f32_e32 v3, 0x4f800000, v2
	v_cmp_gt_f32_e32 vcc, s15, v2
	v_cndmask_b32_e32 v4, v2, v3, vcc
	v_sqrt_f32_e32 v11, v4
	v_add_co_u32_e64 v2, s[0:1], s0, v1
	v_addc_co_u32_e64 v3, s[0:1], 0, v10, s[0:1]
	v_add_u32_e32 v1, -1, v11
	v_add_u32_e32 v10, 1, v11
	v_fma_f32 v12, -v1, v11, v4
	v_fma_f32 v13, -v10, v11, v4
	v_cmp_ge_f32_e64 s[2:3], 0, v12
	v_cndmask_b32_e64 v1, v11, v1, s[2:3]
	v_cmp_lt_f32_e64 s[2:3], 0, v13
	v_cndmask_b32_e64 v1, v1, v10, s[2:3]
	v_mul_f32_e32 v10, 0x37800000, v1
	v_cndmask_b32_e32 v1, v1, v10, vcc
	v_cmp_class_f32_e32 vcc, v4, v5
	s_and_b64 s[0:1], exec, s[8:9]
	v_cndmask_b32_e32 v4, v1, v4, vcc
	v_mov_b32_e32 v1, v4
	s_mov_b64 vcc, s[0:1]
	s_cbranch_vccz .LBB129_2
; %bb.1:
	global_load_dword v1, v19, s[10:11]
	s_waitcnt vmcnt(0)
	v_add_f32_e32 v1, v4, v1
.LBB129_2:
	global_load_ushort v10, v[2:3], off offset:128
	s_waitcnt vmcnt(0)
	v_cvt_f32_f16_e32 v11, v10
	v_mul_f32_e32 v12, 0x3fb8aa3b, v11
	v_cmp_gt_f32_e32 vcc, s13, v12
	v_cndmask_b32_e32 v6, 0, v6, vcc
	v_fma_mix_f32 v6, v10, s12, v6 op_sel_hi:[1,0,0]
	v_exp_f32_e32 v6, v6
	v_cndmask_b32_e32 v8, 1.0, v8, vcc
	v_fma_f32 v6, v6, v8, 1.0
	v_cmp_gt_f32_e32 vcc, s14, v6
	v_cndmask_b32_e32 v7, 1.0, v7, vcc
	v_mul_f32_e32 v6, v6, v7
	v_log_f32_e32 v6, v6
	v_cndmask_b32_e32 v7, 0, v9, vcc
	v_cmp_lt_f16_e32 vcc, s7, v10
	v_cndmask_b32_e64 v8, 0, 1, s[8:9]
	v_sub_f32_e32 v6, v6, v7
	v_mul_f32_e32 v6, 0x3f317218, v6
	v_cndmask_b32_e32 v6, v6, v11, vcc
	v_mul_f32_e32 v7, 0x4f800000, v6
	v_cmp_gt_f32_e32 vcc, s15, v6
	v_cndmask_b32_e32 v6, v6, v7, vcc
	v_sqrt_f32_e32 v7, v6
	v_cmp_ne_u32_e64 s[0:1], 1, v8
	v_add_u32_e32 v8, -1, v7
	v_add_u32_e32 v9, 1, v7
	v_fma_f32 v10, -v8, v7, v6
	v_fma_f32 v11, -v9, v7, v6
	v_cmp_ge_f32_e64 s[2:3], 0, v10
	v_cndmask_b32_e64 v7, v7, v8, s[2:3]
	v_cmp_lt_f32_e64 s[2:3], 0, v11
	v_cndmask_b32_e64 v7, v7, v9, s[2:3]
	v_mul_f32_e32 v8, 0x37800000, v7
	v_cndmask_b32_e32 v7, v7, v8, vcc
	v_cmp_class_f32_e32 vcc, v6, v5
	v_cndmask_b32_e32 v5, v7, v6, vcc
	s_andn2_b64 vcc, exec, s[8:9]
	v_mov_b32_e32 v6, v5
	s_cbranch_vccnz .LBB129_4
; %bb.3:
	global_load_dword v6, v19, s[10:11] offset:256
	s_waitcnt vmcnt(0)
	v_add_f32_e32 v6, v5, v6
.LBB129_4:
	global_load_ushort v7, v[2:3], off offset:256
	s_mov_b32 s12, 0xc2fc0000
	v_mov_b32_e32 v11, 0x42800000
	s_mov_b32 s8, 0x3fb8aa3b
	v_mov_b32_e32 v9, 0x1f800000
	;; [unrolled: 2-line block ×3, first 2 shown]
	s_mov_b32 s9, 0xf800000
	s_waitcnt vmcnt(0)
	v_cvt_f32_f16_e32 v8, v7
	v_mul_f32_e32 v10, 0x3fb8aa3b, v8
	v_cmp_gt_f32_e32 vcc, s12, v10
	v_cndmask_b32_e32 v12, 0, v11, vcc
	v_fma_mix_f32 v12, v7, s8, v12 op_sel_hi:[1,0,0]
	v_exp_f32_e32 v12, v12
	v_cndmask_b32_e32 v10, 1.0, v9, vcc
	v_fma_f32 v10, v12, v10, 1.0
	v_cmp_gt_f32_e32 vcc, s13, v10
	v_cndmask_b32_e32 v12, 1.0, v13, vcc
	v_mul_f32_e32 v10, v10, v12
	v_log_f32_e32 v12, v10
	v_mov_b32_e32 v10, 0x42000000
	v_cndmask_b32_e32 v14, 0, v10, vcc
	v_cmp_lt_f16_e32 vcc, s7, v7
	v_sub_f32_e32 v12, v12, v14
	v_mul_f32_e32 v12, 0x3f317218, v12
	v_cndmask_b32_e32 v7, v12, v8, vcc
	v_mul_f32_e32 v8, 0x4f800000, v7
	v_cmp_gt_f32_e32 vcc, s9, v7
	v_cndmask_b32_e32 v7, v7, v8, vcc
	v_sqrt_f32_e32 v8, v7
	v_mov_b32_e32 v12, 0x260
	v_add_u32_e32 v14, -1, v8
	v_add_u32_e32 v15, 1, v8
	v_fma_f32 v16, -v14, v8, v7
	v_fma_f32 v17, -v15, v8, v7
	v_cmp_ge_f32_e64 s[2:3], 0, v16
	v_cndmask_b32_e64 v8, v8, v14, s[2:3]
	v_cmp_lt_f32_e64 s[2:3], 0, v17
	v_cndmask_b32_e64 v8, v8, v15, s[2:3]
	v_mul_f32_e32 v14, 0x37800000, v8
	v_cndmask_b32_e32 v8, v8, v14, vcc
	v_cmp_class_f32_e32 vcc, v7, v12
	v_cndmask_b32_e32 v7, v8, v7, vcc
	s_and_b64 vcc, exec, s[0:1]
	v_mov_b32_e32 v8, v7
	s_cbranch_vccnz .LBB129_6
; %bb.5:
	global_load_dword v8, v19, s[10:11] offset:512
	s_waitcnt vmcnt(0)
	v_add_f32_e32 v8, v7, v8
.LBB129_6:
	global_load_ushort v14, v[2:3], off offset:384
	s_waitcnt vmcnt(0)
	v_cvt_f32_f16_e32 v15, v14
	v_mul_f32_e32 v16, 0x3fb8aa3b, v15
	v_cmp_gt_f32_e32 vcc, s12, v16
	v_cndmask_b32_e32 v11, 0, v11, vcc
	v_fma_mix_f32 v11, v14, s8, v11 op_sel_hi:[1,0,0]
	v_exp_f32_e32 v11, v11
	v_cndmask_b32_e32 v9, 1.0, v9, vcc
	v_fma_f32 v9, v11, v9, 1.0
	v_cmp_gt_f32_e32 vcc, s13, v9
	v_cndmask_b32_e32 v11, 1.0, v13, vcc
	v_mul_f32_e32 v9, v9, v11
	v_log_f32_e32 v9, v9
	v_cndmask_b32_e32 v10, 0, v10, vcc
	v_cmp_lt_f16_e32 vcc, s7, v14
	v_sub_f32_e32 v9, v9, v10
	v_mul_f32_e32 v9, 0x3f317218, v9
	v_cndmask_b32_e32 v9, v9, v15, vcc
	v_mul_f32_e32 v10, 0x4f800000, v9
	v_cmp_gt_f32_e32 vcc, s9, v9
	v_cndmask_b32_e32 v9, v9, v10, vcc
	v_sqrt_f32_e32 v10, v9
	v_add_u32_e32 v11, -1, v10
	v_add_u32_e32 v13, 1, v10
	v_fma_f32 v14, -v11, v10, v9
	v_fma_f32 v15, -v13, v10, v9
	v_cmp_ge_f32_e64 s[2:3], 0, v14
	v_cndmask_b32_e64 v10, v10, v11, s[2:3]
	v_cmp_lt_f32_e64 s[2:3], 0, v15
	v_cndmask_b32_e64 v10, v10, v13, s[2:3]
	v_mul_f32_e32 v11, 0x37800000, v10
	v_cndmask_b32_e32 v10, v10, v11, vcc
	v_cmp_class_f32_e32 vcc, v9, v12
	v_cndmask_b32_e32 v9, v10, v9, vcc
	s_and_b64 vcc, exec, s[0:1]
	v_mov_b32_e32 v10, v9
	s_cbranch_vccnz .LBB129_8
; %bb.7:
	global_load_dword v10, v19, s[10:11] offset:768
	s_waitcnt vmcnt(0)
	v_add_f32_e32 v10, v9, v10
.LBB129_8:
	global_load_ushort v11, v[2:3], off offset:512
	v_mov_b32_e32 v15, 0x42800000
	v_mov_b32_e32 v13, 0x1f800000
	;; [unrolled: 1-line block ×3, first 2 shown]
	s_waitcnt vmcnt(0)
	v_cvt_f32_f16_e32 v12, v11
	v_mul_f32_e32 v14, 0x3fb8aa3b, v12
	v_cmp_gt_f32_e32 vcc, s12, v14
	v_cndmask_b32_e32 v16, 0, v15, vcc
	v_fma_mix_f32 v16, v11, s8, v16 op_sel_hi:[1,0,0]
	v_exp_f32_e32 v16, v16
	v_cndmask_b32_e32 v14, 1.0, v13, vcc
	v_fma_f32 v14, v16, v14, 1.0
	v_cmp_gt_f32_e32 vcc, s13, v14
	v_cndmask_b32_e32 v16, 1.0, v17, vcc
	v_mul_f32_e32 v14, v14, v16
	v_log_f32_e32 v16, v14
	v_mov_b32_e32 v14, 0x42000000
	v_cndmask_b32_e32 v18, 0, v14, vcc
	v_cmp_lt_f16_e32 vcc, s7, v11
	v_sub_f32_e32 v16, v16, v18
	v_mul_f32_e32 v16, 0x3f317218, v16
	v_cndmask_b32_e32 v11, v16, v12, vcc
	v_mul_f32_e32 v12, 0x4f800000, v11
	v_cmp_gt_f32_e32 vcc, s9, v11
	v_cndmask_b32_e32 v11, v11, v12, vcc
	v_sqrt_f32_e32 v12, v11
	v_mov_b32_e32 v16, 0x260
	v_add_u32_e32 v18, -1, v12
	v_add_u32_e32 v20, 1, v12
	v_fma_f32 v21, -v18, v12, v11
	v_fma_f32 v22, -v20, v12, v11
	v_cmp_ge_f32_e64 s[2:3], 0, v21
	v_cndmask_b32_e64 v12, v12, v18, s[2:3]
	v_cmp_lt_f32_e64 s[2:3], 0, v22
	v_cndmask_b32_e64 v12, v12, v20, s[2:3]
	v_mul_f32_e32 v18, 0x37800000, v12
	v_cndmask_b32_e32 v12, v12, v18, vcc
	v_cmp_class_f32_e32 vcc, v11, v16
	v_cndmask_b32_e32 v11, v12, v11, vcc
	s_and_b64 vcc, exec, s[0:1]
	v_mov_b32_e32 v12, v11
	s_cbranch_vccnz .LBB129_10
; %bb.9:
	global_load_dword v12, v19, s[10:11] offset:1024
	s_waitcnt vmcnt(0)
	v_add_f32_e32 v12, v11, v12
.LBB129_10:
	global_load_ushort v2, v[2:3], off offset:640
	s_waitcnt vmcnt(0)
	v_cvt_f32_f16_e32 v3, v2
	v_mul_f32_e32 v18, 0x3fb8aa3b, v3
	v_cmp_gt_f32_e32 vcc, s12, v18
	v_cndmask_b32_e32 v15, 0, v15, vcc
	v_fma_mix_f32 v15, v2, s8, v15 op_sel_hi:[1,0,0]
	v_exp_f32_e32 v15, v15
	v_cndmask_b32_e32 v13, 1.0, v13, vcc
	v_fma_f32 v13, v15, v13, 1.0
	v_cmp_gt_f32_e32 vcc, s13, v13
	v_cndmask_b32_e32 v15, 1.0, v17, vcc
	v_mul_f32_e32 v13, v13, v15
	v_log_f32_e32 v13, v13
	v_cndmask_b32_e32 v14, 0, v14, vcc
	v_cmp_lt_f16_e32 vcc, s7, v2
	v_sub_f32_e32 v13, v13, v14
	v_mul_f32_e32 v13, 0x3f317218, v13
	v_cndmask_b32_e32 v2, v13, v3, vcc
	v_mul_f32_e32 v3, 0x4f800000, v2
	v_cmp_gt_f32_e32 vcc, s9, v2
	v_cndmask_b32_e32 v2, v2, v3, vcc
	v_sqrt_f32_e32 v3, v2
	v_add_u32_e32 v13, -1, v3
	v_add_u32_e32 v14, 1, v3
	v_fma_f32 v15, -v13, v3, v2
	v_fma_f32 v17, -v14, v3, v2
	v_cmp_ge_f32_e64 s[2:3], 0, v15
	v_cndmask_b32_e64 v3, v3, v13, s[2:3]
	v_cmp_lt_f32_e64 s[2:3], 0, v17
	v_cndmask_b32_e64 v3, v3, v14, s[2:3]
	v_mul_f32_e32 v13, 0x37800000, v3
	v_cndmask_b32_e32 v3, v3, v13, vcc
	v_cmp_class_f32_e32 vcc, v2, v16
	v_cndmask_b32_e32 v2, v3, v2, vcc
	s_and_b64 vcc, exec, s[0:1]
	v_mov_b32_e32 v3, v2
	s_cbranch_vccnz .LBB129_12
; %bb.11:
	global_load_dword v3, v19, s[10:11] offset:1280
	s_waitcnt vmcnt(0)
	v_add_f32_e32 v3, v2, v3
.LBB129_12:
	v_add_u32_e32 v13, 64, v0
	v_cmp_lt_f32_e32 vcc, v1, v6
	v_add_u32_e32 v14, 0x80, v0
	v_add_u32_e32 v15, 0xc0, v0
	v_cndmask_b32_e32 v18, v5, v4, vcc
	v_cndmask_b32_e32 v4, v4, v5, vcc
	;; [unrolled: 1-line block ×6, first 2 shown]
	v_cmp_lt_f32_e32 vcc, v8, v10
	v_add_u32_e32 v16, 0x100, v0
	v_add_u32_e32 v17, 0x140, v0
	v_cndmask_b32_e32 v6, v9, v7, vcc
	v_cndmask_b32_e32 v7, v7, v9, vcc
	v_cndmask_b32_e32 v9, v15, v14, vcc
	v_cndmask_b32_e32 v14, v14, v15, vcc
	v_cndmask_b32_e32 v15, v10, v8, vcc
	v_cndmask_b32_e32 v8, v8, v10, vcc
	v_cmp_lt_f32_e32 vcc, v12, v3
	v_cndmask_b32_e32 v10, v2, v11, vcc
	v_cndmask_b32_e32 v2, v11, v2, vcc
	v_cndmask_b32_e32 v11, v17, v16, vcc
	v_cndmask_b32_e32 v16, v16, v17, vcc
	v_cndmask_b32_e32 v17, v3, v12, vcc
	v_cndmask_b32_e32 v3, v12, v3, vcc
	v_cmp_lt_f32_e32 vcc, v1, v8
	;; [unrolled: 7-line block ×7, first 2 shown]
	v_cndmask_b32_e32 v12, v22, v11, vcc
	v_cmp_lt_f32_e64 s[0:1], v26, v27
	v_cndmask_b32_e32 v5, v23, v8, vcc
	v_cndmask_b32_e32 v8, v8, v23, vcc
	;; [unrolled: 1-line block ×3, first 2 shown]
	v_cndmask_b32_e64 v18, v1, v25, s[0:1]
	v_cndmask_b32_e64 v14, v3, v13, s[0:1]
	;; [unrolled: 1-line block ×3, first 2 shown]
	v_cmp_lt_f32_e64 s[2:3], v16, v12
	v_cndmask_b32_e32 v10, v21, v24, vcc
	v_cndmask_b32_e32 v9, v11, v22, vcc
	v_cndmask_b32_e64 v1, v25, v1, s[0:1]
	v_cndmask_b32_e64 v3, v13, v3, s[0:1]
	;; [unrolled: 1-line block ×3, first 2 shown]
	s_and_saveexec_b64 s[0:1], s[2:3]
	s_xor_b64 s[0:1], exec, s[0:1]
; %bb.13:
	v_mov_b32_e32 v13, v20
	v_mov_b32_e32 v21, v15
	;; [unrolled: 1-line block ×3, first 2 shown]
	v_swap_b32 v16, v12
	v_swap_b32 v20, v8
	;; [unrolled: 1-line block ×3, first 2 shown]
; %bb.14:
	s_or_b64 exec, exec, s[0:1]
	s_load_dword s7, s[4:5], 0x28
	s_load_dwordx4 s[16:19], s[4:5], 0x10
	v_mov_b32_e32 v22, 0
	s_waitcnt lgkmcnt(0)
	s_cmp_lt_i32 s7, 1
	s_cbranch_scc1 .LBB129_20
; %bb.15:
	v_cmp_lt_f32_e32 vcc, v17, v16
	v_cndmask_b32_e32 v13, v15, v14, vcc
	v_cndmask_b32_e32 v14, v14, v15, vcc
	v_cndmask_b32_e32 v15, v16, v17, vcc
	v_cndmask_b32_e32 v16, v17, v16, vcc
	v_cndmask_b32_e32 v17, v20, v18, vcc
	v_cndmask_b32_e32 v18, v18, v20, vcc
	v_mbcnt_lo_u32_b32 v20, -1, 0
	v_mbcnt_hi_u32_b32 v20, -1, v20
	v_bfrev_b32_e32 v21, 0.5
	v_mov_b32_e32 v22, 0
	v_mov_b32_e32 v23, 0
	;; [unrolled: 1-line block ×3, first 2 shown]
	v_lshl_or_b32 v25, v20, 2, v21
	v_mov_b32_e32 v26, v0
	s_mov_b32 s20, s7
	v_mov_b32_e32 v20, 0
	v_mov_b32_e32 v21, 0
.LBB129_16:                             ; =>This Inner Loop Header: Depth=1
	v_cmp_eq_u32_e32 vcc, 1, v23
	v_cndmask_b32_e32 v27, v6, v11, vcc
	v_cmp_eq_u32_e64 s[0:1], 2, v23
	v_cndmask_b32_e64 v27, v27, v16, s[0:1]
	v_cmp_eq_u32_e64 s[2:3], 3, v23
	v_cndmask_b32_e64 v27, v27, v15, s[2:3]
	;; [unrolled: 2-line block ×4, first 2 shown]
	v_cmp_gt_u32_e64 s[12:13], 6, v23
	v_cndmask_b32_e64 v27, v24, v27, s[12:13]
	;;#ASMSTART
	v_max_f32 v28, v27, v27 quad_perm:[1,0,3,2] row_mask:0xf bank_mask:0xf bound_ctrl:1
	;;#ASMEND
	;;#ASMSTART
	v_max_f32 v29, v28, v28 quad_perm:[2,3,0,1] row_mask:0xf bank_mask:0xf bound_ctrl:1
	;;#ASMEND
	;;#ASMSTART
	v_max_f32 v28, v29, v29 row_half_mirror row_mask:0xf bank_mask:0xf bound_ctrl:1
	;;#ASMEND
	;;#ASMSTART
	v_max_f32 v29, v28, v28 row_mirror row_mask:0xf bank_mask:0xf bound_ctrl:1
	;;#ASMEND
	;;#ASMSTART
	v_max_f32 v28, v29, v29 row_ror:4 row_mask:0xf bank_mask:0xf bound_ctrl:1
	;;#ASMEND
	;;#ASMSTART
	v_max_f32 v29, v28, v28 row_ror:8 row_mask:0xf bank_mask:0xf bound_ctrl:1
	;;#ASMEND
	;;#ASMSTART
	v_max_f32 v28, v29, v29 row_bcast:15 row_mask:0xf bank_mask:0xf bound_ctrl:1
	;;#ASMEND
	;;#ASMSTART
	v_max_f32 v29, v28, v28 row_bcast:31 row_mask:0xf bank_mask:0xf bound_ctrl:1
	;;#ASMEND
	ds_bpermute_b32 v28, v25, v29
	s_waitcnt lgkmcnt(0)
	v_cmp_eq_f32_e64 s[14:15], v27, v28
	v_cndmask_b32_e32 v27, v4, v3, vcc
	v_cndmask_b32_e64 v27, v27, v14, s[0:1]
	v_cndmask_b32_e64 v27, v27, v13, s[2:3]
	;; [unrolled: 1-line block ×4, first 2 shown]
	s_ff1_i32_b64 s21, s[14:15]
	s_cmp_lg_u64 s[14:15], 0
	s_cselect_b32 s14, s21, 0
	v_cndmask_b32_e64 v28, 0, v27, s[12:13]
	v_readlane_b32 s21, v28, s14
	v_cmp_eq_u32_e64 s[14:15], s21, v27
	v_cndmask_b32_e32 v27, v2, v1, vcc
	v_cndmask_b32_e64 v27, v27, v18, s[0:1]
	v_cndmask_b32_e64 v27, v27, v17, s[2:3]
	;; [unrolled: 1-line block ×4, first 2 shown]
	s_and_b64 vcc, s[12:13], s[14:15]
	s_and_b32 s0, s21, 63
	v_cndmask_b32_e32 v27, 0, v27, vcc
	v_readlane_b32 s2, v27, s0
	v_mov_b32_e32 v27, s2
	v_cmp_eq_u32_e64 s[0:1], 0, v26
	v_cndmask_b32_e64 v21, v21, v27, s[0:1]
	v_mov_b32_e32 v27, s21
	s_add_i32 s20, s20, -1
	v_cndmask_b32_e64 v20, v20, v27, s[0:1]
	v_addc_co_u32_e32 v23, vcc, 0, v23, vcc
	s_cmp_eq_u32 s20, 0
	v_add_f32_e32 v22, s2, v22
	v_add_u32_e32 v26, -1, v26
	s_cbranch_scc0 .LBB129_16
; %bb.17:
	v_cmp_gt_i32_e32 vcc, s7, v0
	s_and_saveexec_b64 s[0:1], vcc
	s_cbranch_execz .LBB129_19
.LBB129_18:
	s_load_dword s2, s[4:5], 0x30
	v_max_f32_e32 v0, v22, v22
	v_max_f32_e32 v0, 0x1e3ce508, v0
	s_waitcnt lgkmcnt(0)
	v_div_scale_f32 v1, s[0:1], v0, v0, s2
	v_rcp_f32_e32 v2, v1
	v_div_scale_f32 v3, vcc, s2, v0, s2
	s_load_dwordx2 s[0:1], s[4:5], 0x20
	v_fma_f32 v4, -v1, v2, 1.0
	v_fmac_f32_e32 v2, v4, v2
	v_mul_f32_e32 v4, v3, v2
	v_fma_f32 v5, -v1, v4, v3
	v_fmac_f32_e32 v4, v5, v2
	v_fma_f32 v1, -v1, v4, v3
	v_div_fmas_f32 v1, v1, v2, v4
	v_div_fixup_f32 v0, v1, v0, s2
	s_ashr_i32 s2, s6, 31
	s_waitcnt lgkmcnt(0)
	s_mul_i32 s1, s6, s1
	s_mul_hi_u32 s3, s6, s0
	s_add_i32 s1, s3, s1
	s_mul_i32 s2, s2, s0
	s_add_i32 s1, s1, s2
	s_mul_i32 s0, s6, s0
	s_lshl_b64 s[0:1], s[0:1], 2
	s_add_u32 s2, s16, s0
	s_addc_u32 s3, s17, s1
	s_add_u32 s0, s18, s0
	v_mul_f32_e32 v0, v21, v0
	s_addc_u32 s1, s19, s1
	global_store_dword v19, v0, s[2:3]
	global_store_dword v19, v20, s[0:1]
.LBB129_19:
	s_endpgm
.LBB129_20:
	v_mov_b32_e32 v20, 0
	v_mov_b32_e32 v21, 0
	v_cmp_gt_i32_e32 vcc, s7, v0
	s_and_saveexec_b64 s[0:1], vcc
	s_cbranch_execnz .LBB129_18
	s_branch .LBB129_19
	.section	.rodata,"a",@progbits
	.p2align	6, 0x0
	.amdhsa_kernel _ZN5aiter24topk_softplus_kernel_optI6__halffLi384ELb1ELi0EEEvPKT_PKT0_PfPimiif
		.amdhsa_group_segment_fixed_size 0
		.amdhsa_private_segment_fixed_size 0
		.amdhsa_kernarg_size 52
		.amdhsa_user_sgpr_count 6
		.amdhsa_user_sgpr_private_segment_buffer 1
		.amdhsa_user_sgpr_dispatch_ptr 0
		.amdhsa_user_sgpr_queue_ptr 0
		.amdhsa_user_sgpr_kernarg_segment_ptr 1
		.amdhsa_user_sgpr_dispatch_id 0
		.amdhsa_user_sgpr_flat_scratch_init 0
		.amdhsa_user_sgpr_kernarg_preload_length 0
		.amdhsa_user_sgpr_kernarg_preload_offset 0
		.amdhsa_user_sgpr_private_segment_size 0
		.amdhsa_uses_dynamic_stack 0
		.amdhsa_system_sgpr_private_segment_wavefront_offset 0
		.amdhsa_system_sgpr_workgroup_id_x 1
		.amdhsa_system_sgpr_workgroup_id_y 0
		.amdhsa_system_sgpr_workgroup_id_z 0
		.amdhsa_system_sgpr_workgroup_info 0
		.amdhsa_system_vgpr_workitem_id 0
		.amdhsa_next_free_vgpr 30
		.amdhsa_next_free_sgpr 22
		.amdhsa_accum_offset 32
		.amdhsa_reserve_vcc 1
		.amdhsa_reserve_flat_scratch 0
		.amdhsa_float_round_mode_32 0
		.amdhsa_float_round_mode_16_64 0
		.amdhsa_float_denorm_mode_32 3
		.amdhsa_float_denorm_mode_16_64 3
		.amdhsa_dx10_clamp 1
		.amdhsa_ieee_mode 1
		.amdhsa_fp16_overflow 0
		.amdhsa_tg_split 0
		.amdhsa_exception_fp_ieee_invalid_op 0
		.amdhsa_exception_fp_denorm_src 0
		.amdhsa_exception_fp_ieee_div_zero 0
		.amdhsa_exception_fp_ieee_overflow 0
		.amdhsa_exception_fp_ieee_underflow 0
		.amdhsa_exception_fp_ieee_inexact 0
		.amdhsa_exception_int_div_zero 0
	.end_amdhsa_kernel
	.section	.text._ZN5aiter24topk_softplus_kernel_optI6__halffLi384ELb1ELi0EEEvPKT_PKT0_PfPimiif,"axG",@progbits,_ZN5aiter24topk_softplus_kernel_optI6__halffLi384ELb1ELi0EEEvPKT_PKT0_PfPimiif,comdat
.Lfunc_end129:
	.size	_ZN5aiter24topk_softplus_kernel_optI6__halffLi384ELb1ELi0EEEvPKT_PKT0_PfPimiif, .Lfunc_end129-_ZN5aiter24topk_softplus_kernel_optI6__halffLi384ELb1ELi0EEEvPKT_PKT0_PfPimiif
                                        ; -- End function
	.section	.AMDGPU.csdata,"",@progbits
; Kernel info:
; codeLenInByte = 2680
; NumSgprs: 26
; NumVgprs: 30
; NumAgprs: 0
; TotalNumVgprs: 30
; ScratchSize: 0
; MemoryBound: 0
; FloatMode: 240
; IeeeMode: 1
; LDSByteSize: 0 bytes/workgroup (compile time only)
; SGPRBlocks: 3
; VGPRBlocks: 3
; NumSGPRsForWavesPerEU: 26
; NumVGPRsForWavesPerEU: 30
; AccumOffset: 32
; Occupancy: 8
; WaveLimiterHint : 0
; COMPUTE_PGM_RSRC2:SCRATCH_EN: 0
; COMPUTE_PGM_RSRC2:USER_SGPR: 6
; COMPUTE_PGM_RSRC2:TRAP_HANDLER: 0
; COMPUTE_PGM_RSRC2:TGID_X_EN: 1
; COMPUTE_PGM_RSRC2:TGID_Y_EN: 0
; COMPUTE_PGM_RSRC2:TGID_Z_EN: 0
; COMPUTE_PGM_RSRC2:TIDIG_COMP_CNT: 0
; COMPUTE_PGM_RSRC3_GFX90A:ACCUM_OFFSET: 7
; COMPUTE_PGM_RSRC3_GFX90A:TG_SPLIT: 0
	.section	.text._ZN5aiter24topk_softplus_kernel_optI6__halffLi384ELb0ELi0EEEvPKT_PKT0_PfPimiif,"axG",@progbits,_ZN5aiter24topk_softplus_kernel_optI6__halffLi384ELb0ELi0EEEvPKT_PKT0_PfPimiif,comdat
	.protected	_ZN5aiter24topk_softplus_kernel_optI6__halffLi384ELb0ELi0EEEvPKT_PKT0_PfPimiif ; -- Begin function _ZN5aiter24topk_softplus_kernel_optI6__halffLi384ELb0ELi0EEEvPKT_PKT0_PfPimiif
	.globl	_ZN5aiter24topk_softplus_kernel_optI6__halffLi384ELb0ELi0EEEvPKT_PKT0_PfPimiif
	.p2align	8
	.type	_ZN5aiter24topk_softplus_kernel_optI6__halffLi384ELb0ELi0EEEvPKT_PKT0_PfPimiif,@function
_ZN5aiter24topk_softplus_kernel_optI6__halffLi384ELb0ELi0EEEvPKT_PKT0_PfPimiif: ; @_ZN5aiter24topk_softplus_kernel_optI6__halffLi384ELb0ELi0EEEvPKT_PKT0_PfPimiif
; %bb.0:
	s_load_dwordx4 s[8:11], s[4:5], 0x0
	s_mul_i32 s0, s6, 0x180
	s_ashr_i32 s1, s0, 31
	s_lshl_b64 s[0:1], s[0:1], 1
	v_lshlrev_b32_e32 v1, 1, v0
	s_waitcnt lgkmcnt(0)
	s_add_u32 s0, s8, s0
	s_addc_u32 s1, s9, s1
	global_load_ushort v2, v1, s[0:1]
	s_mov_b32 s13, 0xc2fc0000
	v_mov_b32_e32 v6, 0x42800000
	s_mov_b32 s12, 0x3fb8aa3b
	v_mov_b32_e32 v8, 0x1f800000
	;; [unrolled: 2-line block ×3, first 2 shown]
	v_mov_b32_e32 v9, 0x42000000
	s_movk_i32 s7, 0x4d00
	s_mov_b32 s15, 0xf800000
	v_mov_b32_e32 v5, 0x260
	s_cmp_lg_u64 s[10:11], 0
	s_cselect_b64 s[8:9], -1, 0
	v_lshlrev_b32_e32 v19, 2, v0
	s_waitcnt vmcnt(0)
	v_cvt_f32_f16_e32 v3, v2
	v_mul_f32_e32 v4, 0x3fb8aa3b, v3
	v_cmp_gt_f32_e32 vcc, s13, v4
	v_cndmask_b32_e32 v4, 0, v6, vcc
	v_fma_mix_f32 v4, v2, s12, v4 op_sel_hi:[1,0,0]
	v_exp_f32_e32 v4, v4
	v_cndmask_b32_e32 v10, 1.0, v8, vcc
	v_fma_f32 v4, v4, v10, 1.0
	v_cmp_gt_f32_e32 vcc, s14, v4
	v_cndmask_b32_e32 v10, 1.0, v7, vcc
	v_mul_f32_e32 v4, v4, v10
	v_log_f32_e32 v4, v4
	v_cndmask_b32_e32 v11, 0, v9, vcc
	v_cmp_lt_f16_e32 vcc, s7, v2
	v_mov_b32_e32 v10, s1
	v_sub_f32_e32 v4, v4, v11
	v_mul_f32_e32 v4, 0x3f317218, v4
	v_cndmask_b32_e32 v2, v4, v3, vcc
	v_mul_f32_e32 v3, 0x4f800000, v2
	v_cmp_gt_f32_e32 vcc, s15, v2
	v_cndmask_b32_e32 v4, v2, v3, vcc
	v_sqrt_f32_e32 v11, v4
	v_add_co_u32_e64 v2, s[0:1], s0, v1
	v_addc_co_u32_e64 v3, s[0:1], 0, v10, s[0:1]
	v_add_u32_e32 v1, -1, v11
	v_add_u32_e32 v10, 1, v11
	v_fma_f32 v12, -v1, v11, v4
	v_fma_f32 v13, -v10, v11, v4
	v_cmp_ge_f32_e64 s[2:3], 0, v12
	v_cndmask_b32_e64 v1, v11, v1, s[2:3]
	v_cmp_lt_f32_e64 s[2:3], 0, v13
	v_cndmask_b32_e64 v1, v1, v10, s[2:3]
	v_mul_f32_e32 v10, 0x37800000, v1
	v_cndmask_b32_e32 v1, v1, v10, vcc
	v_cmp_class_f32_e32 vcc, v4, v5
	s_and_b64 s[0:1], exec, s[8:9]
	v_cndmask_b32_e32 v4, v1, v4, vcc
	v_mov_b32_e32 v1, v4
	s_mov_b64 vcc, s[0:1]
	s_cbranch_vccz .LBB130_2
; %bb.1:
	global_load_dword v1, v19, s[10:11]
	s_waitcnt vmcnt(0)
	v_add_f32_e32 v1, v4, v1
.LBB130_2:
	global_load_ushort v10, v[2:3], off offset:128
	s_waitcnt vmcnt(0)
	v_cvt_f32_f16_e32 v11, v10
	v_mul_f32_e32 v12, 0x3fb8aa3b, v11
	v_cmp_gt_f32_e32 vcc, s13, v12
	v_cndmask_b32_e32 v6, 0, v6, vcc
	v_fma_mix_f32 v6, v10, s12, v6 op_sel_hi:[1,0,0]
	v_exp_f32_e32 v6, v6
	v_cndmask_b32_e32 v8, 1.0, v8, vcc
	v_fma_f32 v6, v6, v8, 1.0
	v_cmp_gt_f32_e32 vcc, s14, v6
	v_cndmask_b32_e32 v7, 1.0, v7, vcc
	v_mul_f32_e32 v6, v6, v7
	v_log_f32_e32 v6, v6
	v_cndmask_b32_e32 v7, 0, v9, vcc
	v_cmp_lt_f16_e32 vcc, s7, v10
	v_cndmask_b32_e64 v8, 0, 1, s[8:9]
	v_sub_f32_e32 v6, v6, v7
	v_mul_f32_e32 v6, 0x3f317218, v6
	v_cndmask_b32_e32 v6, v6, v11, vcc
	v_mul_f32_e32 v7, 0x4f800000, v6
	v_cmp_gt_f32_e32 vcc, s15, v6
	v_cndmask_b32_e32 v6, v6, v7, vcc
	v_sqrt_f32_e32 v7, v6
	v_cmp_ne_u32_e64 s[0:1], 1, v8
	v_add_u32_e32 v8, -1, v7
	v_add_u32_e32 v9, 1, v7
	v_fma_f32 v10, -v8, v7, v6
	v_fma_f32 v11, -v9, v7, v6
	v_cmp_ge_f32_e64 s[2:3], 0, v10
	v_cndmask_b32_e64 v7, v7, v8, s[2:3]
	v_cmp_lt_f32_e64 s[2:3], 0, v11
	v_cndmask_b32_e64 v7, v7, v9, s[2:3]
	v_mul_f32_e32 v8, 0x37800000, v7
	v_cndmask_b32_e32 v7, v7, v8, vcc
	v_cmp_class_f32_e32 vcc, v6, v5
	v_cndmask_b32_e32 v5, v7, v6, vcc
	s_andn2_b64 vcc, exec, s[8:9]
	v_mov_b32_e32 v6, v5
	s_cbranch_vccnz .LBB130_4
; %bb.3:
	global_load_dword v6, v19, s[10:11] offset:256
	s_waitcnt vmcnt(0)
	v_add_f32_e32 v6, v5, v6
.LBB130_4:
	global_load_ushort v7, v[2:3], off offset:256
	s_mov_b32 s12, 0xc2fc0000
	v_mov_b32_e32 v11, 0x42800000
	s_mov_b32 s8, 0x3fb8aa3b
	v_mov_b32_e32 v9, 0x1f800000
	;; [unrolled: 2-line block ×3, first 2 shown]
	s_mov_b32 s9, 0xf800000
	s_waitcnt vmcnt(0)
	v_cvt_f32_f16_e32 v8, v7
	v_mul_f32_e32 v10, 0x3fb8aa3b, v8
	v_cmp_gt_f32_e32 vcc, s12, v10
	v_cndmask_b32_e32 v12, 0, v11, vcc
	v_fma_mix_f32 v12, v7, s8, v12 op_sel_hi:[1,0,0]
	v_exp_f32_e32 v12, v12
	v_cndmask_b32_e32 v10, 1.0, v9, vcc
	v_fma_f32 v10, v12, v10, 1.0
	v_cmp_gt_f32_e32 vcc, s13, v10
	v_cndmask_b32_e32 v12, 1.0, v13, vcc
	v_mul_f32_e32 v10, v10, v12
	v_log_f32_e32 v12, v10
	v_mov_b32_e32 v10, 0x42000000
	v_cndmask_b32_e32 v14, 0, v10, vcc
	v_cmp_lt_f16_e32 vcc, s7, v7
	v_sub_f32_e32 v12, v12, v14
	v_mul_f32_e32 v12, 0x3f317218, v12
	v_cndmask_b32_e32 v7, v12, v8, vcc
	v_mul_f32_e32 v8, 0x4f800000, v7
	v_cmp_gt_f32_e32 vcc, s9, v7
	v_cndmask_b32_e32 v7, v7, v8, vcc
	v_sqrt_f32_e32 v8, v7
	v_mov_b32_e32 v12, 0x260
	v_add_u32_e32 v14, -1, v8
	v_add_u32_e32 v15, 1, v8
	v_fma_f32 v16, -v14, v8, v7
	v_fma_f32 v17, -v15, v8, v7
	v_cmp_ge_f32_e64 s[2:3], 0, v16
	v_cndmask_b32_e64 v8, v8, v14, s[2:3]
	v_cmp_lt_f32_e64 s[2:3], 0, v17
	v_cndmask_b32_e64 v8, v8, v15, s[2:3]
	v_mul_f32_e32 v14, 0x37800000, v8
	v_cndmask_b32_e32 v8, v8, v14, vcc
	v_cmp_class_f32_e32 vcc, v7, v12
	v_cndmask_b32_e32 v7, v8, v7, vcc
	s_and_b64 vcc, exec, s[0:1]
	v_mov_b32_e32 v8, v7
	s_cbranch_vccnz .LBB130_6
; %bb.5:
	global_load_dword v8, v19, s[10:11] offset:512
	s_waitcnt vmcnt(0)
	v_add_f32_e32 v8, v7, v8
.LBB130_6:
	global_load_ushort v14, v[2:3], off offset:384
	s_waitcnt vmcnt(0)
	v_cvt_f32_f16_e32 v15, v14
	v_mul_f32_e32 v16, 0x3fb8aa3b, v15
	v_cmp_gt_f32_e32 vcc, s12, v16
	v_cndmask_b32_e32 v11, 0, v11, vcc
	v_fma_mix_f32 v11, v14, s8, v11 op_sel_hi:[1,0,0]
	v_exp_f32_e32 v11, v11
	v_cndmask_b32_e32 v9, 1.0, v9, vcc
	v_fma_f32 v9, v11, v9, 1.0
	v_cmp_gt_f32_e32 vcc, s13, v9
	v_cndmask_b32_e32 v11, 1.0, v13, vcc
	v_mul_f32_e32 v9, v9, v11
	v_log_f32_e32 v9, v9
	v_cndmask_b32_e32 v10, 0, v10, vcc
	v_cmp_lt_f16_e32 vcc, s7, v14
	v_sub_f32_e32 v9, v9, v10
	v_mul_f32_e32 v9, 0x3f317218, v9
	v_cndmask_b32_e32 v9, v9, v15, vcc
	v_mul_f32_e32 v10, 0x4f800000, v9
	v_cmp_gt_f32_e32 vcc, s9, v9
	v_cndmask_b32_e32 v9, v9, v10, vcc
	v_sqrt_f32_e32 v10, v9
	v_add_u32_e32 v11, -1, v10
	v_add_u32_e32 v13, 1, v10
	v_fma_f32 v14, -v11, v10, v9
	v_fma_f32 v15, -v13, v10, v9
	v_cmp_ge_f32_e64 s[2:3], 0, v14
	v_cndmask_b32_e64 v10, v10, v11, s[2:3]
	v_cmp_lt_f32_e64 s[2:3], 0, v15
	v_cndmask_b32_e64 v10, v10, v13, s[2:3]
	v_mul_f32_e32 v11, 0x37800000, v10
	v_cndmask_b32_e32 v10, v10, v11, vcc
	v_cmp_class_f32_e32 vcc, v9, v12
	v_cndmask_b32_e32 v9, v10, v9, vcc
	s_and_b64 vcc, exec, s[0:1]
	v_mov_b32_e32 v10, v9
	s_cbranch_vccnz .LBB130_8
; %bb.7:
	global_load_dword v10, v19, s[10:11] offset:768
	s_waitcnt vmcnt(0)
	v_add_f32_e32 v10, v9, v10
.LBB130_8:
	global_load_ushort v11, v[2:3], off offset:512
	v_mov_b32_e32 v15, 0x42800000
	v_mov_b32_e32 v13, 0x1f800000
	;; [unrolled: 1-line block ×3, first 2 shown]
	s_waitcnt vmcnt(0)
	v_cvt_f32_f16_e32 v12, v11
	v_mul_f32_e32 v14, 0x3fb8aa3b, v12
	v_cmp_gt_f32_e32 vcc, s12, v14
	v_cndmask_b32_e32 v16, 0, v15, vcc
	v_fma_mix_f32 v16, v11, s8, v16 op_sel_hi:[1,0,0]
	v_exp_f32_e32 v16, v16
	v_cndmask_b32_e32 v14, 1.0, v13, vcc
	v_fma_f32 v14, v16, v14, 1.0
	v_cmp_gt_f32_e32 vcc, s13, v14
	v_cndmask_b32_e32 v16, 1.0, v17, vcc
	v_mul_f32_e32 v14, v14, v16
	v_log_f32_e32 v16, v14
	v_mov_b32_e32 v14, 0x42000000
	v_cndmask_b32_e32 v18, 0, v14, vcc
	v_cmp_lt_f16_e32 vcc, s7, v11
	v_sub_f32_e32 v16, v16, v18
	v_mul_f32_e32 v16, 0x3f317218, v16
	v_cndmask_b32_e32 v11, v16, v12, vcc
	v_mul_f32_e32 v12, 0x4f800000, v11
	v_cmp_gt_f32_e32 vcc, s9, v11
	v_cndmask_b32_e32 v11, v11, v12, vcc
	v_sqrt_f32_e32 v12, v11
	v_mov_b32_e32 v16, 0x260
	v_add_u32_e32 v18, -1, v12
	v_add_u32_e32 v20, 1, v12
	v_fma_f32 v21, -v18, v12, v11
	v_fma_f32 v22, -v20, v12, v11
	v_cmp_ge_f32_e64 s[2:3], 0, v21
	v_cndmask_b32_e64 v12, v12, v18, s[2:3]
	v_cmp_lt_f32_e64 s[2:3], 0, v22
	v_cndmask_b32_e64 v12, v12, v20, s[2:3]
	v_mul_f32_e32 v18, 0x37800000, v12
	v_cndmask_b32_e32 v12, v12, v18, vcc
	v_cmp_class_f32_e32 vcc, v11, v16
	v_cndmask_b32_e32 v11, v12, v11, vcc
	s_and_b64 vcc, exec, s[0:1]
	v_mov_b32_e32 v12, v11
	s_cbranch_vccnz .LBB130_10
; %bb.9:
	global_load_dword v12, v19, s[10:11] offset:1024
	s_waitcnt vmcnt(0)
	v_add_f32_e32 v12, v11, v12
.LBB130_10:
	global_load_ushort v2, v[2:3], off offset:640
	s_waitcnt vmcnt(0)
	v_cvt_f32_f16_e32 v3, v2
	v_mul_f32_e32 v18, 0x3fb8aa3b, v3
	v_cmp_gt_f32_e32 vcc, s12, v18
	v_cndmask_b32_e32 v15, 0, v15, vcc
	v_fma_mix_f32 v15, v2, s8, v15 op_sel_hi:[1,0,0]
	v_exp_f32_e32 v15, v15
	v_cndmask_b32_e32 v13, 1.0, v13, vcc
	v_fma_f32 v13, v15, v13, 1.0
	v_cmp_gt_f32_e32 vcc, s13, v13
	v_cndmask_b32_e32 v15, 1.0, v17, vcc
	v_mul_f32_e32 v13, v13, v15
	v_log_f32_e32 v13, v13
	v_cndmask_b32_e32 v14, 0, v14, vcc
	v_cmp_lt_f16_e32 vcc, s7, v2
	v_sub_f32_e32 v13, v13, v14
	v_mul_f32_e32 v13, 0x3f317218, v13
	v_cndmask_b32_e32 v2, v13, v3, vcc
	v_mul_f32_e32 v3, 0x4f800000, v2
	v_cmp_gt_f32_e32 vcc, s9, v2
	v_cndmask_b32_e32 v2, v2, v3, vcc
	v_sqrt_f32_e32 v3, v2
	v_add_u32_e32 v13, -1, v3
	v_add_u32_e32 v14, 1, v3
	v_fma_f32 v15, -v13, v3, v2
	v_fma_f32 v17, -v14, v3, v2
	v_cmp_ge_f32_e64 s[2:3], 0, v15
	v_cndmask_b32_e64 v3, v3, v13, s[2:3]
	v_cmp_lt_f32_e64 s[2:3], 0, v17
	v_cndmask_b32_e64 v3, v3, v14, s[2:3]
	v_mul_f32_e32 v13, 0x37800000, v3
	v_cndmask_b32_e32 v3, v3, v13, vcc
	v_cmp_class_f32_e32 vcc, v2, v16
	v_cndmask_b32_e32 v2, v3, v2, vcc
	s_and_b64 vcc, exec, s[0:1]
	v_mov_b32_e32 v3, v2
	s_cbranch_vccnz .LBB130_12
; %bb.11:
	global_load_dword v3, v19, s[10:11] offset:1280
	s_waitcnt vmcnt(0)
	v_add_f32_e32 v3, v2, v3
.LBB130_12:
	v_add_u32_e32 v13, 64, v0
	v_cmp_lt_f32_e32 vcc, v1, v6
	v_add_u32_e32 v14, 0x80, v0
	v_add_u32_e32 v15, 0xc0, v0
	v_cndmask_b32_e32 v18, v5, v4, vcc
	v_cndmask_b32_e32 v4, v4, v5, vcc
	;; [unrolled: 1-line block ×6, first 2 shown]
	v_cmp_lt_f32_e32 vcc, v8, v10
	v_add_u32_e32 v16, 0x100, v0
	v_add_u32_e32 v17, 0x140, v0
	v_cndmask_b32_e32 v6, v9, v7, vcc
	v_cndmask_b32_e32 v7, v7, v9, vcc
	v_cndmask_b32_e32 v9, v15, v14, vcc
	v_cndmask_b32_e32 v14, v14, v15, vcc
	v_cndmask_b32_e32 v15, v10, v8, vcc
	v_cndmask_b32_e32 v8, v8, v10, vcc
	v_cmp_lt_f32_e32 vcc, v12, v3
	v_cndmask_b32_e32 v10, v2, v11, vcc
	v_cndmask_b32_e32 v2, v11, v2, vcc
	v_cndmask_b32_e32 v11, v17, v16, vcc
	v_cndmask_b32_e32 v16, v16, v17, vcc
	v_cndmask_b32_e32 v17, v3, v12, vcc
	v_cndmask_b32_e32 v3, v12, v3, vcc
	v_cmp_lt_f32_e32 vcc, v1, v8
	;; [unrolled: 7-line block ×7, first 2 shown]
	v_cndmask_b32_e32 v12, v22, v11, vcc
	v_cmp_lt_f32_e64 s[0:1], v26, v27
	v_cndmask_b32_e32 v5, v23, v8, vcc
	v_cndmask_b32_e32 v8, v8, v23, vcc
	;; [unrolled: 1-line block ×3, first 2 shown]
	v_cndmask_b32_e64 v18, v1, v25, s[0:1]
	v_cndmask_b32_e64 v14, v3, v13, s[0:1]
	;; [unrolled: 1-line block ×3, first 2 shown]
	v_cmp_lt_f32_e64 s[2:3], v16, v12
	v_cndmask_b32_e32 v10, v21, v24, vcc
	v_cndmask_b32_e32 v9, v11, v22, vcc
	v_cndmask_b32_e64 v1, v25, v1, s[0:1]
	v_cndmask_b32_e64 v3, v13, v3, s[0:1]
	;; [unrolled: 1-line block ×3, first 2 shown]
	s_and_saveexec_b64 s[0:1], s[2:3]
	s_xor_b64 s[0:1], exec, s[0:1]
; %bb.13:
	v_mov_b32_e32 v13, v20
	v_mov_b32_e32 v21, v15
	;; [unrolled: 1-line block ×3, first 2 shown]
	v_swap_b32 v16, v12
	v_swap_b32 v20, v8
	;; [unrolled: 1-line block ×3, first 2 shown]
; %bb.14:
	s_or_b64 exec, exec, s[0:1]
	s_load_dword s7, s[4:5], 0x28
	s_load_dwordx4 s[16:19], s[4:5], 0x10
	s_waitcnt lgkmcnt(0)
	s_cmp_lt_i32 s7, 1
	s_cbranch_scc1 .LBB130_20
; %bb.15:
	v_cmp_lt_f32_e32 vcc, v17, v16
	v_cndmask_b32_e32 v13, v15, v14, vcc
	v_cndmask_b32_e32 v14, v14, v15, vcc
	;; [unrolled: 1-line block ×6, first 2 shown]
	v_mbcnt_lo_u32_b32 v20, -1, 0
	v_mbcnt_hi_u32_b32 v20, -1, v20
	v_bfrev_b32_e32 v24, 0.5
	v_mov_b32_e32 v22, 0
	v_mov_b32_e32 v21, 0
	;; [unrolled: 1-line block ×3, first 2 shown]
	v_lshl_or_b32 v24, v20, 2, v24
	v_mov_b32_e32 v25, v0
	s_mov_b32 s20, s7
	v_mov_b32_e32 v20, 0
.LBB130_16:                             ; =>This Inner Loop Header: Depth=1
	v_cmp_eq_u32_e32 vcc, 1, v22
	v_cndmask_b32_e32 v26, v6, v11, vcc
	v_cmp_eq_u32_e64 s[0:1], 2, v22
	v_cndmask_b32_e64 v26, v26, v16, s[0:1]
	v_cmp_eq_u32_e64 s[2:3], 3, v22
	v_cndmask_b32_e64 v26, v26, v15, s[2:3]
	;; [unrolled: 2-line block ×4, first 2 shown]
	v_cmp_gt_u32_e64 s[12:13], 6, v22
	v_cndmask_b32_e64 v26, v23, v26, s[12:13]
	;;#ASMSTART
	v_max_f32 v27, v26, v26 quad_perm:[1,0,3,2] row_mask:0xf bank_mask:0xf bound_ctrl:1
	;;#ASMEND
	;;#ASMSTART
	v_max_f32 v28, v27, v27 quad_perm:[2,3,0,1] row_mask:0xf bank_mask:0xf bound_ctrl:1
	;;#ASMEND
	;;#ASMSTART
	v_max_f32 v27, v28, v28 row_half_mirror row_mask:0xf bank_mask:0xf bound_ctrl:1
	;;#ASMEND
	;;#ASMSTART
	v_max_f32 v28, v27, v27 row_mirror row_mask:0xf bank_mask:0xf bound_ctrl:1
	;;#ASMEND
	;;#ASMSTART
	v_max_f32 v27, v28, v28 row_ror:4 row_mask:0xf bank_mask:0xf bound_ctrl:1
	;;#ASMEND
	;;#ASMSTART
	v_max_f32 v28, v27, v27 row_ror:8 row_mask:0xf bank_mask:0xf bound_ctrl:1
	;;#ASMEND
	;;#ASMSTART
	v_max_f32 v27, v28, v28 row_bcast:15 row_mask:0xf bank_mask:0xf bound_ctrl:1
	;;#ASMEND
	;;#ASMSTART
	v_max_f32 v28, v27, v27 row_bcast:31 row_mask:0xf bank_mask:0xf bound_ctrl:1
	;;#ASMEND
	ds_bpermute_b32 v27, v24, v28
	s_waitcnt lgkmcnt(0)
	v_cmp_eq_f32_e64 s[14:15], v26, v27
	v_cndmask_b32_e32 v26, v4, v3, vcc
	v_cndmask_b32_e64 v26, v26, v14, s[0:1]
	v_cndmask_b32_e64 v26, v26, v13, s[2:3]
	;; [unrolled: 1-line block ×4, first 2 shown]
	s_ff1_i32_b64 s21, s[14:15]
	s_cmp_lg_u64 s[14:15], 0
	s_cselect_b32 s14, s21, 0
	v_cndmask_b32_e64 v27, 0, v26, s[12:13]
	v_readlane_b32 s21, v27, s14
	v_cmp_eq_u32_e64 s[14:15], s21, v26
	v_cndmask_b32_e32 v26, v2, v1, vcc
	v_cndmask_b32_e64 v26, v26, v18, s[0:1]
	v_cndmask_b32_e64 v26, v26, v17, s[2:3]
	;; [unrolled: 1-line block ×4, first 2 shown]
	s_and_b64 vcc, s[12:13], s[14:15]
	s_and_b32 s0, s21, 63
	v_cndmask_b32_e32 v26, 0, v26, vcc
	v_readlane_b32 s0, v26, s0
	v_mov_b32_e32 v26, s0
	v_cmp_eq_u32_e64 s[0:1], 0, v25
	v_cndmask_b32_e64 v21, v21, v26, s[0:1]
	v_mov_b32_e32 v26, s21
	s_add_i32 s20, s20, -1
	v_cndmask_b32_e64 v20, v20, v26, s[0:1]
	v_addc_co_u32_e32 v22, vcc, 0, v22, vcc
	s_cmp_eq_u32 s20, 0
	v_add_u32_e32 v25, -1, v25
	s_cbranch_scc0 .LBB130_16
; %bb.17:
	v_cmp_gt_i32_e32 vcc, s7, v0
	s_and_saveexec_b64 s[0:1], vcc
	s_cbranch_execz .LBB130_19
.LBB130_18:
	s_load_dword s2, s[4:5], 0x30
	s_load_dwordx2 s[0:1], s[4:5], 0x20
	s_ashr_i32 s3, s6, 31
	s_waitcnt lgkmcnt(0)
	v_mul_f32_e32 v0, s2, v21
	s_mul_i32 s1, s6, s1
	s_mul_hi_u32 s2, s6, s0
	s_add_i32 s1, s2, s1
	s_mul_i32 s3, s3, s0
	s_add_i32 s1, s1, s3
	s_mul_i32 s0, s6, s0
	s_lshl_b64 s[0:1], s[0:1], 2
	s_add_u32 s2, s16, s0
	s_addc_u32 s3, s17, s1
	s_add_u32 s0, s18, s0
	s_addc_u32 s1, s19, s1
	global_store_dword v19, v0, s[2:3]
	global_store_dword v19, v20, s[0:1]
.LBB130_19:
	s_endpgm
.LBB130_20:
	v_mov_b32_e32 v20, 0
	v_mov_b32_e32 v21, 0
	v_cmp_gt_i32_e32 vcc, s7, v0
	s_and_saveexec_b64 s[0:1], vcc
	s_cbranch_execnz .LBB130_18
	s_branch .LBB130_19
	.section	.rodata,"a",@progbits
	.p2align	6, 0x0
	.amdhsa_kernel _ZN5aiter24topk_softplus_kernel_optI6__halffLi384ELb0ELi0EEEvPKT_PKT0_PfPimiif
		.amdhsa_group_segment_fixed_size 0
		.amdhsa_private_segment_fixed_size 0
		.amdhsa_kernarg_size 52
		.amdhsa_user_sgpr_count 6
		.amdhsa_user_sgpr_private_segment_buffer 1
		.amdhsa_user_sgpr_dispatch_ptr 0
		.amdhsa_user_sgpr_queue_ptr 0
		.amdhsa_user_sgpr_kernarg_segment_ptr 1
		.amdhsa_user_sgpr_dispatch_id 0
		.amdhsa_user_sgpr_flat_scratch_init 0
		.amdhsa_user_sgpr_kernarg_preload_length 0
		.amdhsa_user_sgpr_kernarg_preload_offset 0
		.amdhsa_user_sgpr_private_segment_size 0
		.amdhsa_uses_dynamic_stack 0
		.amdhsa_system_sgpr_private_segment_wavefront_offset 0
		.amdhsa_system_sgpr_workgroup_id_x 1
		.amdhsa_system_sgpr_workgroup_id_y 0
		.amdhsa_system_sgpr_workgroup_id_z 0
		.amdhsa_system_sgpr_workgroup_info 0
		.amdhsa_system_vgpr_workitem_id 0
		.amdhsa_next_free_vgpr 29
		.amdhsa_next_free_sgpr 22
		.amdhsa_accum_offset 32
		.amdhsa_reserve_vcc 1
		.amdhsa_reserve_flat_scratch 0
		.amdhsa_float_round_mode_32 0
		.amdhsa_float_round_mode_16_64 0
		.amdhsa_float_denorm_mode_32 3
		.amdhsa_float_denorm_mode_16_64 3
		.amdhsa_dx10_clamp 1
		.amdhsa_ieee_mode 1
		.amdhsa_fp16_overflow 0
		.amdhsa_tg_split 0
		.amdhsa_exception_fp_ieee_invalid_op 0
		.amdhsa_exception_fp_denorm_src 0
		.amdhsa_exception_fp_ieee_div_zero 0
		.amdhsa_exception_fp_ieee_overflow 0
		.amdhsa_exception_fp_ieee_underflow 0
		.amdhsa_exception_fp_ieee_inexact 0
		.amdhsa_exception_int_div_zero 0
	.end_amdhsa_kernel
	.section	.text._ZN5aiter24topk_softplus_kernel_optI6__halffLi384ELb0ELi0EEEvPKT_PKT0_PfPimiif,"axG",@progbits,_ZN5aiter24topk_softplus_kernel_optI6__halffLi384ELb0ELi0EEEvPKT_PKT0_PfPimiif,comdat
.Lfunc_end130:
	.size	_ZN5aiter24topk_softplus_kernel_optI6__halffLi384ELb0ELi0EEEvPKT_PKT0_PfPimiif, .Lfunc_end130-_ZN5aiter24topk_softplus_kernel_optI6__halffLi384ELb0ELi0EEEvPKT_PKT0_PfPimiif
                                        ; -- End function
	.section	.AMDGPU.csdata,"",@progbits
; Kernel info:
; codeLenInByte = 2580
; NumSgprs: 26
; NumVgprs: 29
; NumAgprs: 0
; TotalNumVgprs: 29
; ScratchSize: 0
; MemoryBound: 0
; FloatMode: 240
; IeeeMode: 1
; LDSByteSize: 0 bytes/workgroup (compile time only)
; SGPRBlocks: 3
; VGPRBlocks: 3
; NumSGPRsForWavesPerEU: 26
; NumVGPRsForWavesPerEU: 29
; AccumOffset: 32
; Occupancy: 8
; WaveLimiterHint : 0
; COMPUTE_PGM_RSRC2:SCRATCH_EN: 0
; COMPUTE_PGM_RSRC2:USER_SGPR: 6
; COMPUTE_PGM_RSRC2:TRAP_HANDLER: 0
; COMPUTE_PGM_RSRC2:TGID_X_EN: 1
; COMPUTE_PGM_RSRC2:TGID_Y_EN: 0
; COMPUTE_PGM_RSRC2:TGID_Z_EN: 0
; COMPUTE_PGM_RSRC2:TIDIG_COMP_CNT: 0
; COMPUTE_PGM_RSRC3_GFX90A:ACCUM_OFFSET: 7
; COMPUTE_PGM_RSRC3_GFX90A:TG_SPLIT: 0
	.section	.text._ZN5aiter20topk_softplus_kernelI6__halffDv4_fLb1ELi0EEEvPKT_PKT0_PfPimiiif,"axG",@progbits,_ZN5aiter20topk_softplus_kernelI6__halffDv4_fLb1ELi0EEEvPKT_PKT0_PfPimiiif,comdat
	.protected	_ZN5aiter20topk_softplus_kernelI6__halffDv4_fLb1ELi0EEEvPKT_PKT0_PfPimiiif ; -- Begin function _ZN5aiter20topk_softplus_kernelI6__halffDv4_fLb1ELi0EEEvPKT_PKT0_PfPimiiif
	.globl	_ZN5aiter20topk_softplus_kernelI6__halffDv4_fLb1ELi0EEEvPKT_PKT0_PfPimiiif
	.p2align	8
	.type	_ZN5aiter20topk_softplus_kernelI6__halffDv4_fLb1ELi0EEEvPKT_PKT0_PfPimiiif,@function
_ZN5aiter20topk_softplus_kernelI6__halffDv4_fLb1ELi0EEEvPKT_PKT0_PfPimiiif: ; @_ZN5aiter20topk_softplus_kernelI6__halffDv4_fLb1ELi0EEEvPKT_PKT0_PfPimiiif
; %bb.0:
	s_load_dwordx2 s[20:21], s[4:5], 0x28
	s_load_dwordx8 s[12:19], s[4:5], 0x0
	v_lshlrev_b32_e32 v1, 2, v0
	v_lshl_add_u32 v12, v0, 4, 0
	s_waitcnt lgkmcnt(0)
	s_ashr_i32 s0, s20, 31
	s_lshr_b32 s0, s0, 30
	s_add_i32 s0, s20, s0
	s_mul_i32 s22, s6, s20
	s_ashr_i32 s7, s0, 2
	s_ashr_i32 s23, s22, 31
	v_cmp_gt_i32_e64 s[0:1], s7, v0
	s_and_saveexec_b64 s[24:25], s[0:1]
	s_cbranch_execz .LBB131_11
; %bb.1:
	s_load_dword s8, s[4:5], 0x44
	s_cmp_lg_u64 s[14:15], 0
	s_cselect_b64 s[2:3], -1, 0
	v_lshlrev_b32_e32 v2, 3, v0
	s_mov_b64 s[26:27], 0
	s_waitcnt lgkmcnt(0)
	s_and_b32 s28, s8, 0xffff
	s_add_u32 s29, s14, 4
	s_addc_u32 s30, s15, 0
	s_add_u32 s31, s14, 8
	s_addc_u32 s33, s15, 0
	;; [unrolled: 2-line block ×3, first 2 shown]
	s_lshl_b64 s[8:9], s[22:23], 1
	s_add_u32 s8, s12, s8
	s_addc_u32 s9, s13, s9
	v_mov_b32_e32 v3, s9
	v_add_co_u32_e32 v6, vcc, s8, v2
	v_cndmask_b32_e64 v2, 0, 1, s[2:3]
	s_mov_b32 s36, 0
	v_addc_co_u32_e32 v7, vcc, 0, v3, vcc
	s_lshl_b32 s37, s28, 3
	v_lshlrev_b32_e32 v8, 2, v0
	s_lshl_b32 s38, s28, 2
	v_lshl_add_u32 v13, v0, 4, 0
	s_lshl_b32 s39, s28, 4
	v_mov_b32_e32 v9, 0
	s_movk_i32 s40, 0x4d00
	s_mov_b32 s41, 0x3fb8aa3b
	s_mov_b32 s42, 0xc2fc0000
	v_mov_b32_e32 v14, 0x1f800000
	v_mov_b32_e32 v15, 0x42800000
	s_mov_b32 s43, 0x800000
	v_mov_b32_e32 v16, 0x4f800000
	v_mov_b32_e32 v17, 0x42000000
	s_mov_b32 s44, 0xf800000
	v_mov_b32_e32 v18, 0x260
	v_cmp_ne_u32_e64 s[2:3], 1, v2
	v_mov_b32_e32 v19, v0
	s_branch .LBB131_3
.LBB131_2:                              ;   in Loop: Header=BB131_3 Depth=1
	ds_write_b128 v13, v[2:5]
	v_mov_b32_e32 v2, s36
	v_add_co_u32_e32 v6, vcc, s37, v6
	v_add_u32_e32 v19, s28, v19
	v_addc_co_u32_e32 v7, vcc, v7, v2, vcc
	v_cmp_le_i32_e32 vcc, s7, v19
	v_add_u32_e32 v8, s38, v8
	s_or_b64 s[26:27], vcc, s[26:27]
	v_add_u32_e32 v13, s39, v13
	s_andn2_b64 exec, exec, s[26:27]
	s_cbranch_execz .LBB131_11
.LBB131_3:                              ; =>This Inner Loop Header: Depth=1
	global_load_dwordx2 v[4:5], v[6:7], off
	s_waitcnt vmcnt(0)
	v_cvt_f32_f16_e32 v2, v4
	v_mul_f32_e32 v3, 0x3fb8aa3b, v2
	v_cmp_gt_f32_e32 vcc, s42, v3
	v_cndmask_b32_e32 v10, 0, v15, vcc
	v_fma_mix_f32 v10, v4, s41, v10 op_sel_hi:[1,0,0]
	v_exp_f32_e32 v10, v10
	v_cndmask_b32_e32 v3, 1.0, v14, vcc
	v_fma_f32 v3, v10, v3, 1.0
	v_cmp_gt_f32_e32 vcc, s43, v3
	v_cndmask_b32_e32 v10, 1.0, v16, vcc
	v_mul_f32_e32 v3, v3, v10
	v_log_f32_e32 v3, v3
	v_cndmask_b32_e32 v10, 0, v17, vcc
	v_cmp_lt_f16_e32 vcc, s40, v4
	v_sub_f32_e32 v3, v3, v10
	v_mul_f32_e32 v3, 0x3f317218, v3
	v_cndmask_b32_e32 v2, v3, v2, vcc
	v_mul_f32_e32 v3, 0x4f800000, v2
	v_cmp_gt_f32_e64 s[8:9], s44, v2
	v_cndmask_b32_e64 v2, v2, v3, s[8:9]
	v_sqrt_f32_e32 v3, v2
	s_and_b64 vcc, exec, s[2:3]
	v_add_u32_e32 v10, -1, v3
	v_add_u32_e32 v11, 1, v3
	v_fma_f32 v20, -v10, v3, v2
	v_fma_f32 v21, -v11, v3, v2
	v_cmp_ge_f32_e64 s[10:11], 0, v20
	v_cndmask_b32_e64 v3, v3, v10, s[10:11]
	v_cmp_lt_f32_e64 s[10:11], 0, v21
	v_cndmask_b32_e64 v3, v3, v11, s[10:11]
	v_mul_f32_e32 v10, 0x37800000, v3
	v_cndmask_b32_e64 v3, v3, v10, s[8:9]
	v_cmp_class_f32_e64 s[8:9], v2, v18
	v_cndmask_b32_e64 v2, v3, v2, s[8:9]
	v_lshlrev_b64 v[10:11], 2, v[8:9]
	s_cbranch_vccnz .LBB131_5
; %bb.4:                                ;   in Loop: Header=BB131_3 Depth=1
	v_mov_b32_e32 v3, s15
	v_add_co_u32_e32 v20, vcc, s14, v10
	v_addc_co_u32_e32 v21, vcc, v3, v11, vcc
	global_load_dword v3, v[20:21], off
	s_waitcnt vmcnt(0)
	v_add_f32_e32 v2, v2, v3
.LBB131_5:                              ;   in Loop: Header=BB131_3 Depth=1
	v_cvt_f32_f16_sdwa v3, v4 dst_sel:DWORD dst_unused:UNUSED_PAD src0_sel:WORD_1
	v_mul_f32_e32 v20, 0x3fb8aa3b, v3
	v_cmp_gt_f32_e32 vcc, s42, v20
	v_cndmask_b32_e32 v21, 0, v15, vcc
	v_fma_mix_f32 v21, v4, s41, v21 op_sel:[1,0,0] op_sel_hi:[1,0,0]
	v_exp_f32_e32 v21, v21
	v_cndmask_b32_e32 v20, 1.0, v14, vcc
	v_fma_f32 v20, v21, v20, 1.0
	v_cmp_gt_f32_e32 vcc, s43, v20
	v_cndmask_b32_e32 v21, 1.0, v16, vcc
	v_mul_f32_e32 v20, v20, v21
	v_log_f32_e32 v20, v20
	v_cndmask_b32_e32 v21, 0, v17, vcc
	v_cmp_gt_f16_sdwa vcc, v4, s40 src0_sel:WORD_1 src1_sel:DWORD
	v_sub_f32_e32 v20, v20, v21
	v_mul_f32_e32 v20, 0x3f317218, v20
	v_cndmask_b32_e32 v3, v20, v3, vcc
	v_mul_f32_e32 v4, 0x4f800000, v3
	v_cmp_gt_f32_e64 s[8:9], s44, v3
	v_cndmask_b32_e64 v3, v3, v4, s[8:9]
	v_sqrt_f32_e32 v4, v3
	s_and_b64 vcc, exec, s[2:3]
	v_add_u32_e32 v20, -1, v4
	v_add_u32_e32 v21, 1, v4
	v_fma_f32 v22, -v20, v4, v3
	v_fma_f32 v23, -v21, v4, v3
	v_cmp_ge_f32_e64 s[10:11], 0, v22
	v_cndmask_b32_e64 v4, v4, v20, s[10:11]
	v_cmp_lt_f32_e64 s[10:11], 0, v23
	v_cndmask_b32_e64 v4, v4, v21, s[10:11]
	v_mul_f32_e32 v20, 0x37800000, v4
	v_cndmask_b32_e64 v4, v4, v20, s[8:9]
	v_cmp_class_f32_e64 s[8:9], v3, v18
	v_cndmask_b32_e64 v3, v4, v3, s[8:9]
	s_cbranch_vccnz .LBB131_7
; %bb.6:                                ;   in Loop: Header=BB131_3 Depth=1
	v_mov_b32_e32 v4, s30
	v_add_co_u32_e32 v20, vcc, s29, v10
	v_addc_co_u32_e32 v21, vcc, v4, v11, vcc
	global_load_dword v4, v[20:21], off
	s_waitcnt vmcnt(0)
	v_add_f32_e32 v3, v3, v4
.LBB131_7:                              ;   in Loop: Header=BB131_3 Depth=1
	v_cvt_f32_f16_e32 v4, v5
	v_mul_f32_e32 v20, 0x3fb8aa3b, v4
	v_cmp_gt_f32_e32 vcc, s42, v20
	v_cndmask_b32_e32 v21, 0, v15, vcc
	v_fma_mix_f32 v21, v5, s41, v21 op_sel_hi:[1,0,0]
	v_exp_f32_e32 v21, v21
	v_cndmask_b32_e32 v20, 1.0, v14, vcc
	v_fma_f32 v20, v21, v20, 1.0
	v_cmp_gt_f32_e32 vcc, s43, v20
	v_cndmask_b32_e32 v21, 1.0, v16, vcc
	v_mul_f32_e32 v20, v20, v21
	v_log_f32_e32 v20, v20
	v_cndmask_b32_e32 v21, 0, v17, vcc
	v_cmp_lt_f16_e32 vcc, s40, v5
	v_sub_f32_e32 v20, v20, v21
	v_mul_f32_e32 v20, 0x3f317218, v20
	v_cndmask_b32_e32 v4, v20, v4, vcc
	v_mul_f32_e32 v20, 0x4f800000, v4
	v_cmp_gt_f32_e64 s[8:9], s44, v4
	v_cndmask_b32_e64 v4, v4, v20, s[8:9]
	v_sqrt_f32_e32 v20, v4
	s_and_b64 vcc, exec, s[2:3]
	v_add_u32_e32 v21, -1, v20
	v_add_u32_e32 v22, 1, v20
	v_fma_f32 v23, -v21, v20, v4
	v_fma_f32 v24, -v22, v20, v4
	v_cmp_ge_f32_e64 s[10:11], 0, v23
	v_cndmask_b32_e64 v20, v20, v21, s[10:11]
	v_cmp_lt_f32_e64 s[10:11], 0, v24
	v_cndmask_b32_e64 v20, v20, v22, s[10:11]
	v_mul_f32_e32 v21, 0x37800000, v20
	v_cndmask_b32_e64 v20, v20, v21, s[8:9]
	v_cmp_class_f32_e64 s[8:9], v4, v18
	v_cndmask_b32_e64 v4, v20, v4, s[8:9]
	s_cbranch_vccnz .LBB131_9
; %bb.8:                                ;   in Loop: Header=BB131_3 Depth=1
	v_mov_b32_e32 v21, s33
	v_add_co_u32_e32 v20, vcc, s31, v10
	v_addc_co_u32_e32 v21, vcc, v21, v11, vcc
	global_load_dword v20, v[20:21], off
	s_waitcnt vmcnt(0)
	v_add_f32_e32 v4, v4, v20
.LBB131_9:                              ;   in Loop: Header=BB131_3 Depth=1
	v_cvt_f32_f16_sdwa v20, v5 dst_sel:DWORD dst_unused:UNUSED_PAD src0_sel:WORD_1
	v_mul_f32_e32 v21, 0x3fb8aa3b, v20
	v_cmp_gt_f32_e32 vcc, s42, v21
	v_cndmask_b32_e32 v22, 0, v15, vcc
	v_fma_mix_f32 v22, v5, s41, v22 op_sel:[1,0,0] op_sel_hi:[1,0,0]
	v_exp_f32_e32 v22, v22
	v_cndmask_b32_e32 v21, 1.0, v14, vcc
	v_fma_f32 v21, v22, v21, 1.0
	v_cmp_gt_f32_e32 vcc, s43, v21
	v_cndmask_b32_e32 v22, 1.0, v16, vcc
	v_mul_f32_e32 v21, v21, v22
	v_log_f32_e32 v21, v21
	v_cndmask_b32_e32 v22, 0, v17, vcc
	v_cmp_gt_f16_sdwa vcc, v5, s40 src0_sel:WORD_1 src1_sel:DWORD
	v_sub_f32_e32 v21, v21, v22
	v_mul_f32_e32 v21, 0x3f317218, v21
	v_cndmask_b32_e32 v5, v21, v20, vcc
	v_mul_f32_e32 v20, 0x4f800000, v5
	v_cmp_gt_f32_e64 s[8:9], s44, v5
	v_cndmask_b32_e64 v5, v5, v20, s[8:9]
	v_sqrt_f32_e32 v20, v5
	s_and_b64 vcc, exec, s[2:3]
	v_add_u32_e32 v21, -1, v20
	v_add_u32_e32 v22, 1, v20
	v_fma_f32 v23, -v21, v20, v5
	v_fma_f32 v24, -v22, v20, v5
	v_cmp_ge_f32_e64 s[10:11], 0, v23
	v_cndmask_b32_e64 v20, v20, v21, s[10:11]
	v_cmp_lt_f32_e64 s[10:11], 0, v24
	v_cndmask_b32_e64 v20, v20, v22, s[10:11]
	v_mul_f32_e32 v21, 0x37800000, v20
	v_cndmask_b32_e64 v20, v20, v21, s[8:9]
	v_cmp_class_f32_e64 s[8:9], v5, v18
	v_cndmask_b32_e64 v5, v20, v5, s[8:9]
	s_cbranch_vccnz .LBB131_2
; %bb.10:                               ;   in Loop: Header=BB131_3 Depth=1
	v_mov_b32_e32 v20, s35
	v_add_co_u32_e32 v10, vcc, s34, v10
	v_addc_co_u32_e32 v11, vcc, v20, v11, vcc
	global_load_dword v10, v[10:11], off
	s_waitcnt vmcnt(0)
	v_add_f32_e32 v5, v5, v10
	s_branch .LBB131_2
.LBB131_11:
	s_or_b64 exec, exec, s[24:25]
	v_lshl_add_u32 v2, s7, 2, v0
	v_cmp_gt_i32_e32 vcc, s20, v2
	s_and_saveexec_b64 s[10:11], vcc
	s_cbranch_execz .LBB131_16
; %bb.12:
	s_load_dword s8, s[4:5], 0x44
	s_lshl_b64 s[2:3], s[22:23], 1
	s_add_u32 s22, s12, s2
	s_addc_u32 s9, s13, s3
	s_cmp_lg_u64 s[14:15], 0
	s_cselect_b64 s[2:3], -1, 0
	s_waitcnt lgkmcnt(0)
	s_and_b32 s23, s8, 0xffff
	s_lshl_b32 s8, s7, 4
	s_add_i32 s8, s8, 0
	v_cndmask_b32_e64 v3, 0, 1, s[2:3]
	s_mov_b64 s[12:13], 0
	v_lshl_add_u32 v4, v0, 2, s8
	s_lshl_b32 s24, s23, 2
	v_mov_b32_e32 v5, s9
	s_movk_i32 s25, 0x4d00
	s_mov_b32 s26, 0x3fb8aa3b
	s_mov_b32 s27, 0xc2fc0000
	v_mov_b32_e32 v6, 0x42800000
	v_mov_b32_e32 v7, 0x1f800000
	s_mov_b32 s28, 0x800000
	v_mov_b32_e32 v8, 0x4f800000
	v_mov_b32_e32 v9, 0x42000000
	s_mov_b32 s29, 0xf800000
	v_mov_b32_e32 v10, 0x260
	v_cmp_ne_u32_e64 s[2:3], 1, v3
	s_branch .LBB131_14
.LBB131_13:                             ;   in Loop: Header=BB131_14 Depth=1
	v_add_u32_e32 v2, s23, v2
	v_cmp_le_i32_e32 vcc, s20, v2
	s_or_b64 s[12:13], vcc, s[12:13]
	v_add_u32_e32 v4, s24, v4
	s_andn2_b64 exec, exec, s[12:13]
	s_cbranch_execz .LBB131_16
.LBB131_14:                             ; =>This Inner Loop Header: Depth=1
	v_ashrrev_i32_e32 v3, 31, v2
	v_lshlrev_b64 v[14:15], 1, v[2:3]
	v_add_co_u32_e32 v14, vcc, s22, v14
	v_addc_co_u32_e32 v15, vcc, v5, v15, vcc
	global_load_ushort v11, v[14:15], off
	s_waitcnt vmcnt(0)
	v_cvt_f32_f16_e32 v13, v11
	v_mul_f32_e32 v14, 0x3fb8aa3b, v13
	v_cmp_gt_f32_e32 vcc, s27, v14
	v_cndmask_b32_e32 v14, 0, v6, vcc
	v_fma_mix_f32 v14, v11, s26, v14 op_sel_hi:[1,0,0]
	v_exp_f32_e32 v14, v14
	v_cndmask_b32_e32 v15, 1.0, v7, vcc
	v_fma_f32 v14, v14, v15, 1.0
	v_cmp_gt_f32_e32 vcc, s28, v14
	v_cndmask_b32_e32 v15, 1.0, v8, vcc
	v_mul_f32_e32 v14, v14, v15
	v_log_f32_e32 v14, v14
	v_cndmask_b32_e32 v15, 0, v9, vcc
	v_cmp_lt_f16_e32 vcc, s25, v11
	v_sub_f32_e32 v14, v14, v15
	v_mul_f32_e32 v14, 0x3f317218, v14
	v_cndmask_b32_e32 v11, v14, v13, vcc
	v_mul_f32_e32 v13, 0x4f800000, v11
	v_cmp_gt_f32_e32 vcc, s29, v11
	v_cndmask_b32_e32 v11, v11, v13, vcc
	v_sqrt_f32_e32 v13, v11
	v_add_u32_e32 v14, -1, v13
	v_add_u32_e32 v15, 1, v13
	v_fma_f32 v16, -v14, v13, v11
	v_fma_f32 v17, -v15, v13, v11
	v_cmp_ge_f32_e64 s[8:9], 0, v16
	v_cndmask_b32_e64 v13, v13, v14, s[8:9]
	v_cmp_lt_f32_e64 s[8:9], 0, v17
	v_cndmask_b32_e64 v13, v13, v15, s[8:9]
	v_mul_f32_e32 v14, 0x37800000, v13
	v_cndmask_b32_e32 v13, v13, v14, vcc
	v_cmp_class_f32_e32 vcc, v11, v10
	v_cndmask_b32_e32 v11, v13, v11, vcc
	s_and_b64 vcc, exec, s[2:3]
	ds_write_b32 v4, v11
	s_cbranch_vccnz .LBB131_13
; %bb.15:                               ;   in Loop: Header=BB131_14 Depth=1
	v_lshlrev_b64 v[14:15], 2, v[2:3]
	v_mov_b32_e32 v3, s15
	v_add_co_u32_e32 v14, vcc, s14, v14
	v_addc_co_u32_e32 v15, vcc, v3, v15, vcc
	global_load_dword v3, v[14:15], off
	s_waitcnt vmcnt(0)
	v_add_f32_e32 v3, v11, v3
	ds_write_b32 v4, v3
	s_branch .LBB131_13
.LBB131_16:
	s_or_b64 exec, exec, s[10:11]
	s_cmp_lt_i32 s21, 1
	v_mov_b32_e32 v3, 0
	s_waitcnt lgkmcnt(0)
	s_barrier
	s_cbranch_scc1 .LBB131_25
; %bb.17:
	s_add_u32 s2, s4, 56
	s_addc_u32 s3, s5, 0
	v_mbcnt_lo_u32_b32 v2, -1, 0
	s_cmp_lg_u64 s[14:15], 0
	v_mbcnt_hi_u32_b32 v2, -1, v2
	v_bfrev_b32_e32 v4, 0.5
	s_cselect_b64 s[8:9], -1, 0
	s_mov_b32 s20, 0
	v_mov_b32_e32 v3, 0
	v_lshl_or_b32 v5, v2, 2, v4
	v_mov_b32_e32 v6, 0xff800000
	v_mov_b32_e32 v2, 0
	;; [unrolled: 1-line block ×3, first 2 shown]
	s_branch .LBB131_19
.LBB131_18:                             ;   in Loop: Header=BB131_19 Depth=1
	s_lshl_b32 s11, s10, 2
	s_add_i32 s11, s11, 0
	v_mov_b32_e32 v7, s11
	ds_write_b32 v7, v6
	v_mov_b32_e32 v7, s10
	v_cmp_eq_u32_e32 vcc, s20, v0
	s_add_i32 s20, s20, 1
	v_cndmask_b32_e32 v2, v2, v7, vcc
	v_cndmask_b32_e32 v3, v3, v9, vcc
	s_cmp_eq_u32 s20, s21
	v_add_f32_e32 v4, v4, v9
	s_cbranch_scc1 .LBB131_26
.LBB131_19:                             ; =>This Loop Header: Depth=1
                                        ;     Child Loop BB131_21 Depth 2
	v_mov_b32_e32 v7, s20
	v_mov_b32_e32 v8, 0xff800000
	s_and_saveexec_b64 s[10:11], s[0:1]
	s_cbranch_execz .LBB131_23
; %bb.20:                               ;   in Loop: Header=BB131_19 Depth=1
	s_load_dword s22, s[2:3], 0xc
	s_mov_b64 s[12:13], 0
	v_mov_b32_e32 v7, s20
	v_mov_b32_e32 v8, 0xff800000
	;; [unrolled: 1-line block ×3, first 2 shown]
	s_waitcnt lgkmcnt(0)
	s_and_b32 s22, s22, 0xffff
	s_lshl_b32 s23, s22, 2
	s_lshl_b32 s24, s22, 4
	v_mov_b32_e32 v10, v1
	v_mov_b32_e32 v11, v0
.LBB131_21:                             ;   Parent Loop BB131_19 Depth=1
                                        ; =>  This Inner Loop Header: Depth=2
	ds_read_b128 v[14:17], v9
	v_add_u32_e32 v11, s22, v11
	v_cmp_le_i32_e32 vcc, s7, v11
	s_or_b64 s[12:13], vcc, s[12:13]
	v_add_u32_e32 v13, 1, v10
	s_waitcnt lgkmcnt(0)
	v_cmp_gt_f32_e32 vcc, v14, v8
	v_cndmask_b32_e32 v8, v8, v14, vcc
	v_cndmask_b32_e32 v7, v7, v10, vcc
	v_cmp_gt_f32_e32 vcc, v15, v8
	v_cndmask_b32_e32 v8, v8, v15, vcc
	v_cndmask_b32_e32 v7, v7, v13, vcc
	v_cmp_gt_f32_e32 vcc, v16, v8
	v_add_u32_e32 v18, 2, v10
	v_cndmask_b32_e32 v8, v8, v16, vcc
	v_add_u32_e32 v19, 3, v10
	v_cndmask_b32_e32 v7, v7, v18, vcc
	v_cmp_gt_f32_e32 vcc, v17, v8
	v_add_u32_e32 v9, s24, v9
	v_add_u32_e32 v10, s23, v10
	v_cndmask_b32_e32 v8, v8, v17, vcc
	v_cndmask_b32_e32 v7, v7, v19, vcc
	s_andn2_b64 exec, exec, s[12:13]
	s_cbranch_execnz .LBB131_21
; %bb.22:                               ;   in Loop: Header=BB131_19 Depth=1
	s_or_b64 exec, exec, s[12:13]
.LBB131_23:                             ;   in Loop: Header=BB131_19 Depth=1
	s_or_b64 exec, exec, s[10:11]
	;;#ASMSTART
	v_max_f32 v9, v8, v8 quad_perm:[1,0,3,2] row_mask:0xf bank_mask:0xf bound_ctrl:1
	;;#ASMEND
	;;#ASMSTART
	v_max_f32 v10, v9, v9 quad_perm:[2,3,0,1] row_mask:0xf bank_mask:0xf bound_ctrl:1
	;;#ASMEND
	;;#ASMSTART
	v_max_f32 v9, v10, v10 row_half_mirror row_mask:0xf bank_mask:0xf bound_ctrl:1
	;;#ASMEND
	;;#ASMSTART
	v_max_f32 v10, v9, v9 row_mirror row_mask:0xf bank_mask:0xf bound_ctrl:1
	;;#ASMEND
	;;#ASMSTART
	v_max_f32 v9, v10, v10 row_ror:4 row_mask:0xf bank_mask:0xf bound_ctrl:1
	;;#ASMEND
	;;#ASMSTART
	v_max_f32 v10, v9, v9 row_ror:8 row_mask:0xf bank_mask:0xf bound_ctrl:1
	;;#ASMEND
	;;#ASMSTART
	v_max_f32 v9, v10, v10 row_bcast:15 row_mask:0xf bank_mask:0xf bound_ctrl:1
	;;#ASMEND
	;;#ASMSTART
	v_max_f32 v10, v9, v9 row_bcast:31 row_mask:0xf bank_mask:0xf bound_ctrl:1
	;;#ASMEND
	ds_bpermute_b32 v9, v5, v10
	s_waitcnt lgkmcnt(0)
	v_cmp_eq_f32_e32 vcc, v8, v9
	s_ff1_i32_b64 s10, vcc
	s_cmp_lg_u64 vcc, 0
	s_cselect_b32 s10, s10, 0
	s_and_b64 vcc, exec, s[8:9]
	v_readlane_b32 s10, v7, s10
	s_cbranch_vccz .LBB131_18
; %bb.24:                               ;   in Loop: Header=BB131_19 Depth=1
	s_ashr_i32 s11, s10, 31
	s_lshl_b64 s[12:13], s[10:11], 2
	s_add_u32 s12, s14, s12
	s_addc_u32 s13, s15, s13
	s_load_dword s11, s[12:13], 0x0
	s_waitcnt lgkmcnt(0)
	v_subrev_f32_e32 v9, s11, v9
	s_branch .LBB131_18
.LBB131_25:
	v_mov_b32_e32 v2, 0
	v_mov_b32_e32 v4, 0
.LBB131_26:
	v_cmp_gt_i32_e32 vcc, s21, v0
	s_and_saveexec_b64 s[0:1], vcc
	s_cbranch_execz .LBB131_29
; %bb.27:
	s_load_dword s2, s[4:5], 0x34
	v_max_f32_e32 v1, v4, v4
	v_max_f32_e32 v1, 0x1e3ce508, v1
	s_load_dword s3, s[4:5], 0x44
	s_waitcnt lgkmcnt(0)
	v_div_scale_f32 v4, s[0:1], v1, v1, s2
	s_load_dwordx2 s[0:1], s[4:5], 0x20
	v_rcp_f32_e32 v5, v4
	v_div_scale_f32 v6, vcc, s2, v1, s2
	s_and_b32 s3, s3, 0xffff
	v_fma_f32 v7, -v4, v5, 1.0
	v_fmac_f32_e32 v5, v7, v5
	v_mul_f32_e32 v7, v6, v5
	v_fma_f32 v8, -v4, v7, v6
	v_fmac_f32_e32 v7, v8, v5
	v_fma_f32 v4, -v4, v7, v6
	v_div_fmas_f32 v4, v4, v5, v7
	v_div_fixup_f32 v1, v4, v1, s2
	s_ashr_i32 s2, s6, 31
	s_waitcnt lgkmcnt(0)
	s_mul_i32 s1, s6, s1
	s_mul_hi_u32 s4, s6, s0
	s_add_i32 s1, s4, s1
	s_mul_i32 s2, s2, s0
	s_add_i32 s4, s1, s2
	v_mul_f32_e32 v1, v3, v1
	s_mul_i32 s2, s6, s0
	s_mov_b64 s[0:1], 0
	v_mov_b32_e32 v3, s4
	v_mov_b32_e32 v4, s17
	;; [unrolled: 1-line block ×3, first 2 shown]
.LBB131_28:                             ; =>This Inner Loop Header: Depth=1
	v_ashrrev_i32_e32 v7, 31, v0
	v_add_co_u32_e32 v6, vcc, s2, v0
	v_addc_co_u32_e32 v7, vcc, v3, v7, vcc
	v_add_u32_e32 v0, s3, v0
	v_cmp_le_i32_e32 vcc, s21, v0
	v_lshlrev_b64 v[6:7], 2, v[6:7]
	s_or_b64 s[0:1], vcc, s[0:1]
	v_add_co_u32_e32 v8, vcc, s16, v6
	v_addc_co_u32_e32 v9, vcc, v4, v7, vcc
	v_add_co_u32_e32 v6, vcc, s18, v6
	v_addc_co_u32_e32 v7, vcc, v5, v7, vcc
	global_store_dword v[8:9], v1, off
	global_store_dword v[6:7], v2, off
	s_andn2_b64 exec, exec, s[0:1]
	s_cbranch_execnz .LBB131_28
.LBB131_29:
	s_endpgm
	.section	.rodata,"a",@progbits
	.p2align	6, 0x0
	.amdhsa_kernel _ZN5aiter20topk_softplus_kernelI6__halffDv4_fLb1ELi0EEEvPKT_PKT0_PfPimiiif
		.amdhsa_group_segment_fixed_size 0
		.amdhsa_private_segment_fixed_size 0
		.amdhsa_kernarg_size 312
		.amdhsa_user_sgpr_count 6
		.amdhsa_user_sgpr_private_segment_buffer 1
		.amdhsa_user_sgpr_dispatch_ptr 0
		.amdhsa_user_sgpr_queue_ptr 0
		.amdhsa_user_sgpr_kernarg_segment_ptr 1
		.amdhsa_user_sgpr_dispatch_id 0
		.amdhsa_user_sgpr_flat_scratch_init 0
		.amdhsa_user_sgpr_kernarg_preload_length 0
		.amdhsa_user_sgpr_kernarg_preload_offset 0
		.amdhsa_user_sgpr_private_segment_size 0
		.amdhsa_uses_dynamic_stack 0
		.amdhsa_system_sgpr_private_segment_wavefront_offset 0
		.amdhsa_system_sgpr_workgroup_id_x 1
		.amdhsa_system_sgpr_workgroup_id_y 0
		.amdhsa_system_sgpr_workgroup_id_z 0
		.amdhsa_system_sgpr_workgroup_info 0
		.amdhsa_system_vgpr_workitem_id 0
		.amdhsa_next_free_vgpr 25
		.amdhsa_next_free_sgpr 45
		.amdhsa_accum_offset 28
		.amdhsa_reserve_vcc 1
		.amdhsa_reserve_flat_scratch 0
		.amdhsa_float_round_mode_32 0
		.amdhsa_float_round_mode_16_64 0
		.amdhsa_float_denorm_mode_32 3
		.amdhsa_float_denorm_mode_16_64 3
		.amdhsa_dx10_clamp 1
		.amdhsa_ieee_mode 1
		.amdhsa_fp16_overflow 0
		.amdhsa_tg_split 0
		.amdhsa_exception_fp_ieee_invalid_op 0
		.amdhsa_exception_fp_denorm_src 0
		.amdhsa_exception_fp_ieee_div_zero 0
		.amdhsa_exception_fp_ieee_overflow 0
		.amdhsa_exception_fp_ieee_underflow 0
		.amdhsa_exception_fp_ieee_inexact 0
		.amdhsa_exception_int_div_zero 0
	.end_amdhsa_kernel
	.section	.text._ZN5aiter20topk_softplus_kernelI6__halffDv4_fLb1ELi0EEEvPKT_PKT0_PfPimiiif,"axG",@progbits,_ZN5aiter20topk_softplus_kernelI6__halffDv4_fLb1ELi0EEEvPKT_PKT0_PfPimiiif,comdat
.Lfunc_end131:
	.size	_ZN5aiter20topk_softplus_kernelI6__halffDv4_fLb1ELi0EEEvPKT_PKT0_PfPimiiif, .Lfunc_end131-_ZN5aiter20topk_softplus_kernelI6__halffDv4_fLb1ELi0EEEvPKT_PKT0_PfPimiiif
                                        ; -- End function
	.section	.AMDGPU.csdata,"",@progbits
; Kernel info:
; codeLenInByte = 2552
; NumSgprs: 49
; NumVgprs: 25
; NumAgprs: 0
; TotalNumVgprs: 25
; ScratchSize: 0
; MemoryBound: 0
; FloatMode: 240
; IeeeMode: 1
; LDSByteSize: 0 bytes/workgroup (compile time only)
; SGPRBlocks: 6
; VGPRBlocks: 3
; NumSGPRsForWavesPerEU: 49
; NumVGPRsForWavesPerEU: 25
; AccumOffset: 28
; Occupancy: 8
; WaveLimiterHint : 0
; COMPUTE_PGM_RSRC2:SCRATCH_EN: 0
; COMPUTE_PGM_RSRC2:USER_SGPR: 6
; COMPUTE_PGM_RSRC2:TRAP_HANDLER: 0
; COMPUTE_PGM_RSRC2:TGID_X_EN: 1
; COMPUTE_PGM_RSRC2:TGID_Y_EN: 0
; COMPUTE_PGM_RSRC2:TGID_Z_EN: 0
; COMPUTE_PGM_RSRC2:TIDIG_COMP_CNT: 0
; COMPUTE_PGM_RSRC3_GFX90A:ACCUM_OFFSET: 6
; COMPUTE_PGM_RSRC3_GFX90A:TG_SPLIT: 0
	.section	.text._ZN5aiter20topk_softplus_kernelI6__halffDv4_fLb0ELi0EEEvPKT_PKT0_PfPimiiif,"axG",@progbits,_ZN5aiter20topk_softplus_kernelI6__halffDv4_fLb0ELi0EEEvPKT_PKT0_PfPimiiif,comdat
	.protected	_ZN5aiter20topk_softplus_kernelI6__halffDv4_fLb0ELi0EEEvPKT_PKT0_PfPimiiif ; -- Begin function _ZN5aiter20topk_softplus_kernelI6__halffDv4_fLb0ELi0EEEvPKT_PKT0_PfPimiiif
	.globl	_ZN5aiter20topk_softplus_kernelI6__halffDv4_fLb0ELi0EEEvPKT_PKT0_PfPimiiif
	.p2align	8
	.type	_ZN5aiter20topk_softplus_kernelI6__halffDv4_fLb0ELi0EEEvPKT_PKT0_PfPimiiif,@function
_ZN5aiter20topk_softplus_kernelI6__halffDv4_fLb0ELi0EEEvPKT_PKT0_PfPimiiif: ; @_ZN5aiter20topk_softplus_kernelI6__halffDv4_fLb0ELi0EEEvPKT_PKT0_PfPimiiif
; %bb.0:
	s_load_dwordx2 s[20:21], s[4:5], 0x28
	s_load_dwordx8 s[12:19], s[4:5], 0x0
	v_lshlrev_b32_e32 v1, 2, v0
	v_lshl_add_u32 v12, v0, 4, 0
	s_waitcnt lgkmcnt(0)
	s_ashr_i32 s0, s20, 31
	s_lshr_b32 s0, s0, 30
	s_add_i32 s0, s20, s0
	s_mul_i32 s22, s6, s20
	s_ashr_i32 s7, s0, 2
	s_ashr_i32 s23, s22, 31
	v_cmp_gt_i32_e64 s[0:1], s7, v0
	s_and_saveexec_b64 s[24:25], s[0:1]
	s_cbranch_execz .LBB132_11
; %bb.1:
	s_load_dword s8, s[4:5], 0x44
	s_cmp_lg_u64 s[14:15], 0
	s_cselect_b64 s[2:3], -1, 0
	v_lshlrev_b32_e32 v2, 3, v0
	s_mov_b64 s[26:27], 0
	s_waitcnt lgkmcnt(0)
	s_and_b32 s28, s8, 0xffff
	s_add_u32 s29, s14, 4
	s_addc_u32 s30, s15, 0
	s_add_u32 s31, s14, 8
	s_addc_u32 s33, s15, 0
	;; [unrolled: 2-line block ×3, first 2 shown]
	s_lshl_b64 s[8:9], s[22:23], 1
	s_add_u32 s8, s12, s8
	s_addc_u32 s9, s13, s9
	v_mov_b32_e32 v3, s9
	v_add_co_u32_e32 v6, vcc, s8, v2
	v_cndmask_b32_e64 v2, 0, 1, s[2:3]
	s_mov_b32 s36, 0
	v_addc_co_u32_e32 v7, vcc, 0, v3, vcc
	s_lshl_b32 s37, s28, 3
	v_lshlrev_b32_e32 v8, 2, v0
	s_lshl_b32 s38, s28, 2
	v_lshl_add_u32 v13, v0, 4, 0
	s_lshl_b32 s39, s28, 4
	v_mov_b32_e32 v9, 0
	s_movk_i32 s40, 0x4d00
	s_mov_b32 s41, 0x3fb8aa3b
	s_mov_b32 s42, 0xc2fc0000
	v_mov_b32_e32 v14, 0x1f800000
	v_mov_b32_e32 v15, 0x42800000
	s_mov_b32 s43, 0x800000
	v_mov_b32_e32 v16, 0x4f800000
	v_mov_b32_e32 v17, 0x42000000
	s_mov_b32 s44, 0xf800000
	v_mov_b32_e32 v18, 0x260
	v_cmp_ne_u32_e64 s[2:3], 1, v2
	v_mov_b32_e32 v19, v0
	s_branch .LBB132_3
.LBB132_2:                              ;   in Loop: Header=BB132_3 Depth=1
	ds_write_b128 v13, v[2:5]
	v_mov_b32_e32 v2, s36
	v_add_co_u32_e32 v6, vcc, s37, v6
	v_add_u32_e32 v19, s28, v19
	v_addc_co_u32_e32 v7, vcc, v7, v2, vcc
	v_cmp_le_i32_e32 vcc, s7, v19
	v_add_u32_e32 v8, s38, v8
	s_or_b64 s[26:27], vcc, s[26:27]
	v_add_u32_e32 v13, s39, v13
	s_andn2_b64 exec, exec, s[26:27]
	s_cbranch_execz .LBB132_11
.LBB132_3:                              ; =>This Inner Loop Header: Depth=1
	global_load_dwordx2 v[4:5], v[6:7], off
	s_waitcnt vmcnt(0)
	v_cvt_f32_f16_e32 v2, v4
	v_mul_f32_e32 v3, 0x3fb8aa3b, v2
	v_cmp_gt_f32_e32 vcc, s42, v3
	v_cndmask_b32_e32 v10, 0, v15, vcc
	v_fma_mix_f32 v10, v4, s41, v10 op_sel_hi:[1,0,0]
	v_exp_f32_e32 v10, v10
	v_cndmask_b32_e32 v3, 1.0, v14, vcc
	v_fma_f32 v3, v10, v3, 1.0
	v_cmp_gt_f32_e32 vcc, s43, v3
	v_cndmask_b32_e32 v10, 1.0, v16, vcc
	v_mul_f32_e32 v3, v3, v10
	v_log_f32_e32 v3, v3
	v_cndmask_b32_e32 v10, 0, v17, vcc
	v_cmp_lt_f16_e32 vcc, s40, v4
	v_sub_f32_e32 v3, v3, v10
	v_mul_f32_e32 v3, 0x3f317218, v3
	v_cndmask_b32_e32 v2, v3, v2, vcc
	v_mul_f32_e32 v3, 0x4f800000, v2
	v_cmp_gt_f32_e64 s[8:9], s44, v2
	v_cndmask_b32_e64 v2, v2, v3, s[8:9]
	v_sqrt_f32_e32 v3, v2
	s_and_b64 vcc, exec, s[2:3]
	v_add_u32_e32 v10, -1, v3
	v_add_u32_e32 v11, 1, v3
	v_fma_f32 v20, -v10, v3, v2
	v_fma_f32 v21, -v11, v3, v2
	v_cmp_ge_f32_e64 s[10:11], 0, v20
	v_cndmask_b32_e64 v3, v3, v10, s[10:11]
	v_cmp_lt_f32_e64 s[10:11], 0, v21
	v_cndmask_b32_e64 v3, v3, v11, s[10:11]
	v_mul_f32_e32 v10, 0x37800000, v3
	v_cndmask_b32_e64 v3, v3, v10, s[8:9]
	v_cmp_class_f32_e64 s[8:9], v2, v18
	v_cndmask_b32_e64 v2, v3, v2, s[8:9]
	v_lshlrev_b64 v[10:11], 2, v[8:9]
	s_cbranch_vccnz .LBB132_5
; %bb.4:                                ;   in Loop: Header=BB132_3 Depth=1
	v_mov_b32_e32 v3, s15
	v_add_co_u32_e32 v20, vcc, s14, v10
	v_addc_co_u32_e32 v21, vcc, v3, v11, vcc
	global_load_dword v3, v[20:21], off
	s_waitcnt vmcnt(0)
	v_add_f32_e32 v2, v2, v3
.LBB132_5:                              ;   in Loop: Header=BB132_3 Depth=1
	v_cvt_f32_f16_sdwa v3, v4 dst_sel:DWORD dst_unused:UNUSED_PAD src0_sel:WORD_1
	v_mul_f32_e32 v20, 0x3fb8aa3b, v3
	v_cmp_gt_f32_e32 vcc, s42, v20
	v_cndmask_b32_e32 v21, 0, v15, vcc
	v_fma_mix_f32 v21, v4, s41, v21 op_sel:[1,0,0] op_sel_hi:[1,0,0]
	v_exp_f32_e32 v21, v21
	v_cndmask_b32_e32 v20, 1.0, v14, vcc
	v_fma_f32 v20, v21, v20, 1.0
	v_cmp_gt_f32_e32 vcc, s43, v20
	v_cndmask_b32_e32 v21, 1.0, v16, vcc
	v_mul_f32_e32 v20, v20, v21
	v_log_f32_e32 v20, v20
	v_cndmask_b32_e32 v21, 0, v17, vcc
	v_cmp_gt_f16_sdwa vcc, v4, s40 src0_sel:WORD_1 src1_sel:DWORD
	v_sub_f32_e32 v20, v20, v21
	v_mul_f32_e32 v20, 0x3f317218, v20
	v_cndmask_b32_e32 v3, v20, v3, vcc
	v_mul_f32_e32 v4, 0x4f800000, v3
	v_cmp_gt_f32_e64 s[8:9], s44, v3
	v_cndmask_b32_e64 v3, v3, v4, s[8:9]
	v_sqrt_f32_e32 v4, v3
	s_and_b64 vcc, exec, s[2:3]
	v_add_u32_e32 v20, -1, v4
	v_add_u32_e32 v21, 1, v4
	v_fma_f32 v22, -v20, v4, v3
	v_fma_f32 v23, -v21, v4, v3
	v_cmp_ge_f32_e64 s[10:11], 0, v22
	v_cndmask_b32_e64 v4, v4, v20, s[10:11]
	v_cmp_lt_f32_e64 s[10:11], 0, v23
	v_cndmask_b32_e64 v4, v4, v21, s[10:11]
	v_mul_f32_e32 v20, 0x37800000, v4
	v_cndmask_b32_e64 v4, v4, v20, s[8:9]
	v_cmp_class_f32_e64 s[8:9], v3, v18
	v_cndmask_b32_e64 v3, v4, v3, s[8:9]
	s_cbranch_vccnz .LBB132_7
; %bb.6:                                ;   in Loop: Header=BB132_3 Depth=1
	v_mov_b32_e32 v4, s30
	v_add_co_u32_e32 v20, vcc, s29, v10
	v_addc_co_u32_e32 v21, vcc, v4, v11, vcc
	global_load_dword v4, v[20:21], off
	s_waitcnt vmcnt(0)
	v_add_f32_e32 v3, v3, v4
.LBB132_7:                              ;   in Loop: Header=BB132_3 Depth=1
	v_cvt_f32_f16_e32 v4, v5
	v_mul_f32_e32 v20, 0x3fb8aa3b, v4
	v_cmp_gt_f32_e32 vcc, s42, v20
	v_cndmask_b32_e32 v21, 0, v15, vcc
	v_fma_mix_f32 v21, v5, s41, v21 op_sel_hi:[1,0,0]
	v_exp_f32_e32 v21, v21
	v_cndmask_b32_e32 v20, 1.0, v14, vcc
	v_fma_f32 v20, v21, v20, 1.0
	v_cmp_gt_f32_e32 vcc, s43, v20
	v_cndmask_b32_e32 v21, 1.0, v16, vcc
	v_mul_f32_e32 v20, v20, v21
	v_log_f32_e32 v20, v20
	v_cndmask_b32_e32 v21, 0, v17, vcc
	v_cmp_lt_f16_e32 vcc, s40, v5
	v_sub_f32_e32 v20, v20, v21
	v_mul_f32_e32 v20, 0x3f317218, v20
	v_cndmask_b32_e32 v4, v20, v4, vcc
	v_mul_f32_e32 v20, 0x4f800000, v4
	v_cmp_gt_f32_e64 s[8:9], s44, v4
	v_cndmask_b32_e64 v4, v4, v20, s[8:9]
	v_sqrt_f32_e32 v20, v4
	s_and_b64 vcc, exec, s[2:3]
	v_add_u32_e32 v21, -1, v20
	v_add_u32_e32 v22, 1, v20
	v_fma_f32 v23, -v21, v20, v4
	v_fma_f32 v24, -v22, v20, v4
	v_cmp_ge_f32_e64 s[10:11], 0, v23
	v_cndmask_b32_e64 v20, v20, v21, s[10:11]
	v_cmp_lt_f32_e64 s[10:11], 0, v24
	v_cndmask_b32_e64 v20, v20, v22, s[10:11]
	v_mul_f32_e32 v21, 0x37800000, v20
	v_cndmask_b32_e64 v20, v20, v21, s[8:9]
	v_cmp_class_f32_e64 s[8:9], v4, v18
	v_cndmask_b32_e64 v4, v20, v4, s[8:9]
	s_cbranch_vccnz .LBB132_9
; %bb.8:                                ;   in Loop: Header=BB132_3 Depth=1
	v_mov_b32_e32 v21, s33
	v_add_co_u32_e32 v20, vcc, s31, v10
	v_addc_co_u32_e32 v21, vcc, v21, v11, vcc
	global_load_dword v20, v[20:21], off
	s_waitcnt vmcnt(0)
	v_add_f32_e32 v4, v4, v20
.LBB132_9:                              ;   in Loop: Header=BB132_3 Depth=1
	v_cvt_f32_f16_sdwa v20, v5 dst_sel:DWORD dst_unused:UNUSED_PAD src0_sel:WORD_1
	v_mul_f32_e32 v21, 0x3fb8aa3b, v20
	v_cmp_gt_f32_e32 vcc, s42, v21
	v_cndmask_b32_e32 v22, 0, v15, vcc
	v_fma_mix_f32 v22, v5, s41, v22 op_sel:[1,0,0] op_sel_hi:[1,0,0]
	v_exp_f32_e32 v22, v22
	v_cndmask_b32_e32 v21, 1.0, v14, vcc
	v_fma_f32 v21, v22, v21, 1.0
	v_cmp_gt_f32_e32 vcc, s43, v21
	v_cndmask_b32_e32 v22, 1.0, v16, vcc
	v_mul_f32_e32 v21, v21, v22
	v_log_f32_e32 v21, v21
	v_cndmask_b32_e32 v22, 0, v17, vcc
	v_cmp_gt_f16_sdwa vcc, v5, s40 src0_sel:WORD_1 src1_sel:DWORD
	v_sub_f32_e32 v21, v21, v22
	v_mul_f32_e32 v21, 0x3f317218, v21
	v_cndmask_b32_e32 v5, v21, v20, vcc
	v_mul_f32_e32 v20, 0x4f800000, v5
	v_cmp_gt_f32_e64 s[8:9], s44, v5
	v_cndmask_b32_e64 v5, v5, v20, s[8:9]
	v_sqrt_f32_e32 v20, v5
	s_and_b64 vcc, exec, s[2:3]
	v_add_u32_e32 v21, -1, v20
	v_add_u32_e32 v22, 1, v20
	v_fma_f32 v23, -v21, v20, v5
	v_fma_f32 v24, -v22, v20, v5
	v_cmp_ge_f32_e64 s[10:11], 0, v23
	v_cndmask_b32_e64 v20, v20, v21, s[10:11]
	v_cmp_lt_f32_e64 s[10:11], 0, v24
	v_cndmask_b32_e64 v20, v20, v22, s[10:11]
	v_mul_f32_e32 v21, 0x37800000, v20
	v_cndmask_b32_e64 v20, v20, v21, s[8:9]
	v_cmp_class_f32_e64 s[8:9], v5, v18
	v_cndmask_b32_e64 v5, v20, v5, s[8:9]
	s_cbranch_vccnz .LBB132_2
; %bb.10:                               ;   in Loop: Header=BB132_3 Depth=1
	v_mov_b32_e32 v20, s35
	v_add_co_u32_e32 v10, vcc, s34, v10
	v_addc_co_u32_e32 v11, vcc, v20, v11, vcc
	global_load_dword v10, v[10:11], off
	s_waitcnt vmcnt(0)
	v_add_f32_e32 v5, v5, v10
	s_branch .LBB132_2
.LBB132_11:
	s_or_b64 exec, exec, s[24:25]
	v_lshl_add_u32 v2, s7, 2, v0
	v_cmp_gt_i32_e32 vcc, s20, v2
	s_and_saveexec_b64 s[10:11], vcc
	s_cbranch_execz .LBB132_16
; %bb.12:
	s_load_dword s8, s[4:5], 0x44
	s_lshl_b64 s[2:3], s[22:23], 1
	s_add_u32 s22, s12, s2
	s_addc_u32 s9, s13, s3
	s_cmp_lg_u64 s[14:15], 0
	s_cselect_b64 s[2:3], -1, 0
	s_waitcnt lgkmcnt(0)
	s_and_b32 s23, s8, 0xffff
	s_lshl_b32 s8, s7, 4
	s_add_i32 s8, s8, 0
	v_cndmask_b32_e64 v3, 0, 1, s[2:3]
	s_mov_b64 s[12:13], 0
	v_lshl_add_u32 v4, v0, 2, s8
	s_lshl_b32 s24, s23, 2
	v_mov_b32_e32 v5, s9
	s_movk_i32 s25, 0x4d00
	s_mov_b32 s26, 0x3fb8aa3b
	s_mov_b32 s27, 0xc2fc0000
	v_mov_b32_e32 v6, 0x42800000
	v_mov_b32_e32 v7, 0x1f800000
	s_mov_b32 s28, 0x800000
	v_mov_b32_e32 v8, 0x4f800000
	v_mov_b32_e32 v9, 0x42000000
	s_mov_b32 s29, 0xf800000
	v_mov_b32_e32 v10, 0x260
	v_cmp_ne_u32_e64 s[2:3], 1, v3
	s_branch .LBB132_14
.LBB132_13:                             ;   in Loop: Header=BB132_14 Depth=1
	v_add_u32_e32 v2, s23, v2
	v_cmp_le_i32_e32 vcc, s20, v2
	s_or_b64 s[12:13], vcc, s[12:13]
	v_add_u32_e32 v4, s24, v4
	s_andn2_b64 exec, exec, s[12:13]
	s_cbranch_execz .LBB132_16
.LBB132_14:                             ; =>This Inner Loop Header: Depth=1
	v_ashrrev_i32_e32 v3, 31, v2
	v_lshlrev_b64 v[14:15], 1, v[2:3]
	v_add_co_u32_e32 v14, vcc, s22, v14
	v_addc_co_u32_e32 v15, vcc, v5, v15, vcc
	global_load_ushort v11, v[14:15], off
	s_waitcnt vmcnt(0)
	v_cvt_f32_f16_e32 v13, v11
	v_mul_f32_e32 v14, 0x3fb8aa3b, v13
	v_cmp_gt_f32_e32 vcc, s27, v14
	v_cndmask_b32_e32 v14, 0, v6, vcc
	v_fma_mix_f32 v14, v11, s26, v14 op_sel_hi:[1,0,0]
	v_exp_f32_e32 v14, v14
	v_cndmask_b32_e32 v15, 1.0, v7, vcc
	v_fma_f32 v14, v14, v15, 1.0
	v_cmp_gt_f32_e32 vcc, s28, v14
	v_cndmask_b32_e32 v15, 1.0, v8, vcc
	v_mul_f32_e32 v14, v14, v15
	v_log_f32_e32 v14, v14
	v_cndmask_b32_e32 v15, 0, v9, vcc
	v_cmp_lt_f16_e32 vcc, s25, v11
	v_sub_f32_e32 v14, v14, v15
	v_mul_f32_e32 v14, 0x3f317218, v14
	v_cndmask_b32_e32 v11, v14, v13, vcc
	v_mul_f32_e32 v13, 0x4f800000, v11
	v_cmp_gt_f32_e32 vcc, s29, v11
	v_cndmask_b32_e32 v11, v11, v13, vcc
	v_sqrt_f32_e32 v13, v11
	v_add_u32_e32 v14, -1, v13
	v_add_u32_e32 v15, 1, v13
	v_fma_f32 v16, -v14, v13, v11
	v_fma_f32 v17, -v15, v13, v11
	v_cmp_ge_f32_e64 s[8:9], 0, v16
	v_cndmask_b32_e64 v13, v13, v14, s[8:9]
	v_cmp_lt_f32_e64 s[8:9], 0, v17
	v_cndmask_b32_e64 v13, v13, v15, s[8:9]
	v_mul_f32_e32 v14, 0x37800000, v13
	v_cndmask_b32_e32 v13, v13, v14, vcc
	v_cmp_class_f32_e32 vcc, v11, v10
	v_cndmask_b32_e32 v11, v13, v11, vcc
	s_and_b64 vcc, exec, s[2:3]
	ds_write_b32 v4, v11
	s_cbranch_vccnz .LBB132_13
; %bb.15:                               ;   in Loop: Header=BB132_14 Depth=1
	v_lshlrev_b64 v[14:15], 2, v[2:3]
	v_mov_b32_e32 v3, s15
	v_add_co_u32_e32 v14, vcc, s14, v14
	v_addc_co_u32_e32 v15, vcc, v3, v15, vcc
	global_load_dword v3, v[14:15], off
	s_waitcnt vmcnt(0)
	v_add_f32_e32 v3, v11, v3
	ds_write_b32 v4, v3
	s_branch .LBB132_13
.LBB132_16:
	s_or_b64 exec, exec, s[10:11]
	s_cmp_lt_i32 s21, 1
	s_waitcnt lgkmcnt(0)
	s_barrier
	s_cbranch_scc1 .LBB132_25
; %bb.17:
	s_add_u32 s2, s4, 56
	s_addc_u32 s3, s5, 0
	v_mbcnt_lo_u32_b32 v4, -1, 0
	s_cmp_lg_u64 s[14:15], 0
	v_mbcnt_hi_u32_b32 v4, -1, v4
	v_bfrev_b32_e32 v5, 0.5
	s_cselect_b64 s[8:9], -1, 0
	s_mov_b32 s20, 0
	v_mov_b32_e32 v2, 0
	v_mov_b32_e32 v3, 0
	v_lshl_or_b32 v4, v4, 2, v5
	v_mov_b32_e32 v5, 0xff800000
	s_branch .LBB132_19
.LBB132_18:                             ;   in Loop: Header=BB132_19 Depth=1
	s_lshl_b32 s11, s10, 2
	s_add_i32 s11, s11, 0
	v_mov_b32_e32 v6, s11
	ds_write_b32 v6, v5
	v_mov_b32_e32 v6, s10
	v_cmp_eq_u32_e32 vcc, s20, v0
	s_add_i32 s20, s20, 1
	v_cndmask_b32_e32 v2, v2, v6, vcc
	s_cmp_eq_u32 s20, s21
	v_cndmask_b32_e32 v3, v3, v8, vcc
	s_cbranch_scc1 .LBB132_26
.LBB132_19:                             ; =>This Loop Header: Depth=1
                                        ;     Child Loop BB132_21 Depth 2
	v_mov_b32_e32 v6, s20
	v_mov_b32_e32 v7, 0xff800000
	s_and_saveexec_b64 s[10:11], s[0:1]
	s_cbranch_execz .LBB132_23
; %bb.20:                               ;   in Loop: Header=BB132_19 Depth=1
	s_load_dword s22, s[2:3], 0xc
	s_mov_b64 s[12:13], 0
	v_mov_b32_e32 v6, s20
	v_mov_b32_e32 v7, 0xff800000
	;; [unrolled: 1-line block ×3, first 2 shown]
	s_waitcnt lgkmcnt(0)
	s_and_b32 s22, s22, 0xffff
	s_lshl_b32 s23, s22, 2
	s_lshl_b32 s24, s22, 4
	v_mov_b32_e32 v9, v1
	v_mov_b32_e32 v10, v0
.LBB132_21:                             ;   Parent Loop BB132_19 Depth=1
                                        ; =>  This Inner Loop Header: Depth=2
	ds_read_b128 v[14:17], v8
	v_add_u32_e32 v10, s22, v10
	v_cmp_le_i32_e32 vcc, s7, v10
	s_or_b64 s[12:13], vcc, s[12:13]
	v_add_u32_e32 v11, 1, v9
	s_waitcnt lgkmcnt(0)
	v_cmp_gt_f32_e32 vcc, v14, v7
	v_cndmask_b32_e32 v7, v7, v14, vcc
	v_cndmask_b32_e32 v6, v6, v9, vcc
	v_cmp_gt_f32_e32 vcc, v15, v7
	v_cndmask_b32_e32 v7, v7, v15, vcc
	v_cndmask_b32_e32 v6, v6, v11, vcc
	v_cmp_gt_f32_e32 vcc, v16, v7
	v_add_u32_e32 v13, 2, v9
	v_cndmask_b32_e32 v7, v7, v16, vcc
	v_add_u32_e32 v18, 3, v9
	v_cndmask_b32_e32 v6, v6, v13, vcc
	v_cmp_gt_f32_e32 vcc, v17, v7
	v_add_u32_e32 v8, s24, v8
	v_add_u32_e32 v9, s23, v9
	v_cndmask_b32_e32 v7, v7, v17, vcc
	v_cndmask_b32_e32 v6, v6, v18, vcc
	s_andn2_b64 exec, exec, s[12:13]
	s_cbranch_execnz .LBB132_21
; %bb.22:                               ;   in Loop: Header=BB132_19 Depth=1
	s_or_b64 exec, exec, s[12:13]
.LBB132_23:                             ;   in Loop: Header=BB132_19 Depth=1
	s_or_b64 exec, exec, s[10:11]
	;;#ASMSTART
	v_max_f32 v8, v7, v7 quad_perm:[1,0,3,2] row_mask:0xf bank_mask:0xf bound_ctrl:1
	;;#ASMEND
	;;#ASMSTART
	v_max_f32 v9, v8, v8 quad_perm:[2,3,0,1] row_mask:0xf bank_mask:0xf bound_ctrl:1
	;;#ASMEND
	;;#ASMSTART
	v_max_f32 v8, v9, v9 row_half_mirror row_mask:0xf bank_mask:0xf bound_ctrl:1
	;;#ASMEND
	;;#ASMSTART
	v_max_f32 v9, v8, v8 row_mirror row_mask:0xf bank_mask:0xf bound_ctrl:1
	;;#ASMEND
	;;#ASMSTART
	v_max_f32 v8, v9, v9 row_ror:4 row_mask:0xf bank_mask:0xf bound_ctrl:1
	;;#ASMEND
	;;#ASMSTART
	v_max_f32 v9, v8, v8 row_ror:8 row_mask:0xf bank_mask:0xf bound_ctrl:1
	;;#ASMEND
	;;#ASMSTART
	v_max_f32 v8, v9, v9 row_bcast:15 row_mask:0xf bank_mask:0xf bound_ctrl:1
	;;#ASMEND
	;;#ASMSTART
	v_max_f32 v9, v8, v8 row_bcast:31 row_mask:0xf bank_mask:0xf bound_ctrl:1
	;;#ASMEND
	ds_bpermute_b32 v8, v4, v9
	s_waitcnt lgkmcnt(0)
	v_cmp_eq_f32_e32 vcc, v7, v8
	s_ff1_i32_b64 s10, vcc
	s_cmp_lg_u64 vcc, 0
	s_cselect_b32 s10, s10, 0
	s_and_b64 vcc, exec, s[8:9]
	v_readlane_b32 s10, v6, s10
	s_cbranch_vccz .LBB132_18
; %bb.24:                               ;   in Loop: Header=BB132_19 Depth=1
	s_ashr_i32 s11, s10, 31
	s_lshl_b64 s[12:13], s[10:11], 2
	s_add_u32 s12, s14, s12
	s_addc_u32 s13, s15, s13
	s_load_dword s11, s[12:13], 0x0
	s_waitcnt lgkmcnt(0)
	v_subrev_f32_e32 v8, s11, v8
	s_branch .LBB132_18
.LBB132_25:
	v_mov_b32_e32 v3, 0
	v_mov_b32_e32 v2, 0
.LBB132_26:
	v_cmp_gt_i32_e32 vcc, s21, v0
	s_and_saveexec_b64 s[0:1], vcc
	s_cbranch_execz .LBB132_29
; %bb.27:
	s_load_dword s2, s[4:5], 0x34
	s_load_dwordx2 s[0:1], s[4:5], 0x20
	s_ashr_i32 s3, s6, 31
	s_load_dword s4, s[4:5], 0x44
	v_mov_b32_e32 v4, s17
	s_waitcnt lgkmcnt(0)
	v_mul_f32_e32 v1, s2, v3
	s_mul_i32 s1, s6, s1
	s_mul_hi_u32 s2, s6, s0
	s_add_i32 s1, s2, s1
	s_mul_i32 s3, s3, s0
	s_add_i32 s5, s1, s3
	s_mul_i32 s2, s6, s0
	s_and_b32 s3, s4, 0xffff
	s_mov_b64 s[0:1], 0
	v_mov_b32_e32 v3, s5
	v_mov_b32_e32 v5, s19
.LBB132_28:                             ; =>This Inner Loop Header: Depth=1
	v_ashrrev_i32_e32 v7, 31, v0
	v_add_co_u32_e32 v6, vcc, s2, v0
	v_addc_co_u32_e32 v7, vcc, v3, v7, vcc
	v_add_u32_e32 v0, s3, v0
	v_cmp_le_i32_e32 vcc, s21, v0
	v_lshlrev_b64 v[6:7], 2, v[6:7]
	s_or_b64 s[0:1], vcc, s[0:1]
	v_add_co_u32_e32 v8, vcc, s16, v6
	v_addc_co_u32_e32 v9, vcc, v4, v7, vcc
	v_add_co_u32_e32 v6, vcc, s18, v6
	v_addc_co_u32_e32 v7, vcc, v5, v7, vcc
	global_store_dword v[8:9], v1, off
	global_store_dword v[6:7], v2, off
	s_andn2_b64 exec, exec, s[0:1]
	s_cbranch_execnz .LBB132_28
.LBB132_29:
	s_endpgm
	.section	.rodata,"a",@progbits
	.p2align	6, 0x0
	.amdhsa_kernel _ZN5aiter20topk_softplus_kernelI6__halffDv4_fLb0ELi0EEEvPKT_PKT0_PfPimiiif
		.amdhsa_group_segment_fixed_size 0
		.amdhsa_private_segment_fixed_size 0
		.amdhsa_kernarg_size 312
		.amdhsa_user_sgpr_count 6
		.amdhsa_user_sgpr_private_segment_buffer 1
		.amdhsa_user_sgpr_dispatch_ptr 0
		.amdhsa_user_sgpr_queue_ptr 0
		.amdhsa_user_sgpr_kernarg_segment_ptr 1
		.amdhsa_user_sgpr_dispatch_id 0
		.amdhsa_user_sgpr_flat_scratch_init 0
		.amdhsa_user_sgpr_kernarg_preload_length 0
		.amdhsa_user_sgpr_kernarg_preload_offset 0
		.amdhsa_user_sgpr_private_segment_size 0
		.amdhsa_uses_dynamic_stack 0
		.amdhsa_system_sgpr_private_segment_wavefront_offset 0
		.amdhsa_system_sgpr_workgroup_id_x 1
		.amdhsa_system_sgpr_workgroup_id_y 0
		.amdhsa_system_sgpr_workgroup_id_z 0
		.amdhsa_system_sgpr_workgroup_info 0
		.amdhsa_system_vgpr_workitem_id 0
		.amdhsa_next_free_vgpr 25
		.amdhsa_next_free_sgpr 45
		.amdhsa_accum_offset 28
		.amdhsa_reserve_vcc 1
		.amdhsa_reserve_flat_scratch 0
		.amdhsa_float_round_mode_32 0
		.amdhsa_float_round_mode_16_64 0
		.amdhsa_float_denorm_mode_32 3
		.amdhsa_float_denorm_mode_16_64 3
		.amdhsa_dx10_clamp 1
		.amdhsa_ieee_mode 1
		.amdhsa_fp16_overflow 0
		.amdhsa_tg_split 0
		.amdhsa_exception_fp_ieee_invalid_op 0
		.amdhsa_exception_fp_denorm_src 0
		.amdhsa_exception_fp_ieee_div_zero 0
		.amdhsa_exception_fp_ieee_overflow 0
		.amdhsa_exception_fp_ieee_underflow 0
		.amdhsa_exception_fp_ieee_inexact 0
		.amdhsa_exception_int_div_zero 0
	.end_amdhsa_kernel
	.section	.text._ZN5aiter20topk_softplus_kernelI6__halffDv4_fLb0ELi0EEEvPKT_PKT0_PfPimiiif,"axG",@progbits,_ZN5aiter20topk_softplus_kernelI6__halffDv4_fLb0ELi0EEEvPKT_PKT0_PfPimiiif,comdat
.Lfunc_end132:
	.size	_ZN5aiter20topk_softplus_kernelI6__halffDv4_fLb0ELi0EEEvPKT_PKT0_PfPimiiif, .Lfunc_end132-_ZN5aiter20topk_softplus_kernelI6__halffDv4_fLb0ELi0EEEvPKT_PKT0_PfPimiiif
                                        ; -- End function
	.section	.AMDGPU.csdata,"",@progbits
; Kernel info:
; codeLenInByte = 2452
; NumSgprs: 49
; NumVgprs: 25
; NumAgprs: 0
; TotalNumVgprs: 25
; ScratchSize: 0
; MemoryBound: 0
; FloatMode: 240
; IeeeMode: 1
; LDSByteSize: 0 bytes/workgroup (compile time only)
; SGPRBlocks: 6
; VGPRBlocks: 3
; NumSGPRsForWavesPerEU: 49
; NumVGPRsForWavesPerEU: 25
; AccumOffset: 28
; Occupancy: 8
; WaveLimiterHint : 0
; COMPUTE_PGM_RSRC2:SCRATCH_EN: 0
; COMPUTE_PGM_RSRC2:USER_SGPR: 6
; COMPUTE_PGM_RSRC2:TRAP_HANDLER: 0
; COMPUTE_PGM_RSRC2:TGID_X_EN: 1
; COMPUTE_PGM_RSRC2:TGID_Y_EN: 0
; COMPUTE_PGM_RSRC2:TGID_Z_EN: 0
; COMPUTE_PGM_RSRC2:TIDIG_COMP_CNT: 0
; COMPUTE_PGM_RSRC3_GFX90A:ACCUM_OFFSET: 6
; COMPUTE_PGM_RSRC3_GFX90A:TG_SPLIT: 0
	.section	.text._ZN5aiter20topk_softplus_kernelI6__halffDv2_fLb1ELi0EEEvPKT_PKT0_PfPimiiif,"axG",@progbits,_ZN5aiter20topk_softplus_kernelI6__halffDv2_fLb1ELi0EEEvPKT_PKT0_PfPimiiif,comdat
	.protected	_ZN5aiter20topk_softplus_kernelI6__halffDv2_fLb1ELi0EEEvPKT_PKT0_PfPimiiif ; -- Begin function _ZN5aiter20topk_softplus_kernelI6__halffDv2_fLb1ELi0EEEvPKT_PKT0_PfPimiiif
	.globl	_ZN5aiter20topk_softplus_kernelI6__halffDv2_fLb1ELi0EEEvPKT_PKT0_PfPimiiif
	.p2align	8
	.type	_ZN5aiter20topk_softplus_kernelI6__halffDv2_fLb1ELi0EEEvPKT_PKT0_PfPimiiif,@function
_ZN5aiter20topk_softplus_kernelI6__halffDv2_fLb1ELi0EEEvPKT_PKT0_PfPimiiif: ; @_ZN5aiter20topk_softplus_kernelI6__halffDv2_fLb1ELi0EEEvPKT_PKT0_PfPimiiif
; %bb.0:
	s_load_dwordx2 s[20:21], s[4:5], 0x28
	s_load_dwordx8 s[12:19], s[4:5], 0x0
	s_waitcnt lgkmcnt(0)
	s_lshr_b32 s0, s20, 31
	s_add_i32 s0, s20, s0
	s_mul_i32 s22, s6, s20
	s_ashr_i32 s7, s0, 1
	s_ashr_i32 s23, s22, 31
	v_cmp_gt_i32_e64 s[0:1], s7, v0
	s_and_saveexec_b64 s[24:25], s[0:1]
	s_cbranch_execz .LBB133_7
; %bb.1:
	s_load_dword s8, s[4:5], 0x44
	s_cmp_lg_u64 s[14:15], 0
	s_cselect_b64 s[2:3], -1, 0
	v_lshlrev_b32_e32 v1, 2, v0
	v_mov_b32_e32 v4, s15
	s_waitcnt lgkmcnt(0)
	s_and_b32 s28, s8, 0xffff
	s_lshl_b64 s[8:9], s[22:23], 1
	s_add_u32 s8, s12, s8
	s_addc_u32 s9, s13, s9
	v_mov_b32_e32 v3, s9
	v_add_co_u32_e32 v2, vcc, s8, v1
	v_addc_co_u32_e32 v3, vcc, 0, v3, vcc
	v_lshlrev_b32_e32 v1, 3, v0
	v_add_co_u32_e32 v5, vcc, s14, v1
	v_addc_co_u32_e32 v6, vcc, 0, v4, vcc
	v_add_co_u32_e32 v4, vcc, 4, v5
	s_mov_b32 s10, 0
	v_addc_co_u32_e32 v5, vcc, 0, v6, vcc
	v_cndmask_b32_e64 v6, 0, 1, s[2:3]
	s_mov_b64 s[26:27], 0
	s_lshl_b32 s29, s28, 2
	s_lshl_b32 s30, s28, 3
	v_add_u32_e32 v1, 0, v1
	s_movk_i32 s31, 0x4d00
	s_mov_b32 s33, 0x3fb8aa3b
	s_mov_b32 s34, 0xc2fc0000
	v_mov_b32_e32 v8, 0x1f800000
	v_mov_b32_e32 v9, 0x42800000
	s_mov_b32 s35, 0x800000
	v_mov_b32_e32 v10, 0x4f800000
	v_mov_b32_e32 v11, 0x42000000
	s_mov_b32 s36, 0xf800000
	v_mov_b32_e32 v12, 0x260
	v_cmp_ne_u32_e64 s[2:3], 1, v6
	v_mov_b32_e32 v13, s10
	v_mov_b32_e32 v14, s10
	;; [unrolled: 1-line block ×3, first 2 shown]
	s_branch .LBB133_3
.LBB133_2:                              ;   in Loop: Header=BB133_3 Depth=1
	v_add_co_u32_e32 v2, vcc, s29, v2
	v_addc_co_u32_e32 v3, vcc, v3, v13, vcc
	v_add_co_u32_e32 v4, vcc, s30, v4
	v_add_u32_e32 v15, s28, v15
	v_addc_co_u32_e32 v5, vcc, v5, v14, vcc
	v_cmp_le_i32_e32 vcc, s7, v15
	ds_write_b64 v1, v[6:7]
	s_or_b64 s[26:27], vcc, s[26:27]
	v_add_u32_e32 v1, s30, v1
	s_andn2_b64 exec, exec, s[26:27]
	s_cbranch_execz .LBB133_7
.LBB133_3:                              ; =>This Inner Loop Header: Depth=1
	global_load_dword v7, v[2:3], off
	s_waitcnt vmcnt(0)
	v_cvt_f32_f16_e32 v6, v7
	v_mul_f32_e32 v16, 0x3fb8aa3b, v6
	v_cmp_gt_f32_e32 vcc, s34, v16
	v_cndmask_b32_e32 v17, 0, v9, vcc
	v_fma_mix_f32 v17, v7, s33, v17 op_sel_hi:[1,0,0]
	v_exp_f32_e32 v17, v17
	v_cndmask_b32_e32 v16, 1.0, v8, vcc
	v_fma_f32 v16, v17, v16, 1.0
	v_cmp_gt_f32_e32 vcc, s35, v16
	v_cndmask_b32_e32 v17, 1.0, v10, vcc
	v_mul_f32_e32 v16, v16, v17
	v_log_f32_e32 v16, v16
	v_cndmask_b32_e32 v17, 0, v11, vcc
	v_cmp_lt_f16_e32 vcc, s31, v7
	v_sub_f32_e32 v16, v16, v17
	v_mul_f32_e32 v16, 0x3f317218, v16
	v_cndmask_b32_e32 v6, v16, v6, vcc
	v_mul_f32_e32 v16, 0x4f800000, v6
	v_cmp_gt_f32_e64 s[8:9], s36, v6
	v_cndmask_b32_e64 v6, v6, v16, s[8:9]
	v_sqrt_f32_e32 v16, v6
	s_and_b64 vcc, exec, s[2:3]
	v_add_u32_e32 v17, -1, v16
	v_add_u32_e32 v18, 1, v16
	v_fma_f32 v19, -v17, v16, v6
	v_fma_f32 v20, -v18, v16, v6
	v_cmp_ge_f32_e64 s[10:11], 0, v19
	v_cndmask_b32_e64 v16, v16, v17, s[10:11]
	v_cmp_lt_f32_e64 s[10:11], 0, v20
	v_cndmask_b32_e64 v16, v16, v18, s[10:11]
	v_mul_f32_e32 v17, 0x37800000, v16
	v_cndmask_b32_e64 v16, v16, v17, s[8:9]
	v_cmp_class_f32_e64 s[8:9], v6, v12
	v_cndmask_b32_e64 v6, v16, v6, s[8:9]
	s_cbranch_vccnz .LBB133_5
; %bb.4:                                ;   in Loop: Header=BB133_3 Depth=1
	global_load_dword v16, v[4:5], off offset:-4
	s_waitcnt vmcnt(0)
	v_add_f32_e32 v6, v6, v16
.LBB133_5:                              ;   in Loop: Header=BB133_3 Depth=1
	v_cvt_f32_f16_sdwa v16, v7 dst_sel:DWORD dst_unused:UNUSED_PAD src0_sel:WORD_1
	v_mul_f32_e32 v17, 0x3fb8aa3b, v16
	v_cmp_gt_f32_e32 vcc, s34, v17
	v_cndmask_b32_e32 v18, 0, v9, vcc
	v_fma_mix_f32 v18, v7, s33, v18 op_sel:[1,0,0] op_sel_hi:[1,0,0]
	v_exp_f32_e32 v18, v18
	v_cndmask_b32_e32 v17, 1.0, v8, vcc
	v_fma_f32 v17, v18, v17, 1.0
	v_cmp_gt_f32_e32 vcc, s35, v17
	v_cndmask_b32_e32 v18, 1.0, v10, vcc
	v_mul_f32_e32 v17, v17, v18
	v_log_f32_e32 v17, v17
	v_cndmask_b32_e32 v18, 0, v11, vcc
	v_cmp_gt_f16_sdwa vcc, v7, s31 src0_sel:WORD_1 src1_sel:DWORD
	v_sub_f32_e32 v17, v17, v18
	v_mul_f32_e32 v17, 0x3f317218, v17
	v_cndmask_b32_e32 v7, v17, v16, vcc
	v_mul_f32_e32 v16, 0x4f800000, v7
	v_cmp_gt_f32_e64 s[8:9], s36, v7
	v_cndmask_b32_e64 v7, v7, v16, s[8:9]
	v_sqrt_f32_e32 v16, v7
	s_and_b64 vcc, exec, s[2:3]
	v_add_u32_e32 v17, -1, v16
	v_add_u32_e32 v18, 1, v16
	v_fma_f32 v19, -v17, v16, v7
	v_fma_f32 v20, -v18, v16, v7
	v_cmp_ge_f32_e64 s[10:11], 0, v19
	v_cndmask_b32_e64 v16, v16, v17, s[10:11]
	v_cmp_lt_f32_e64 s[10:11], 0, v20
	v_cndmask_b32_e64 v16, v16, v18, s[10:11]
	v_mul_f32_e32 v17, 0x37800000, v16
	v_cndmask_b32_e64 v16, v16, v17, s[8:9]
	v_cmp_class_f32_e64 s[8:9], v7, v12
	v_cndmask_b32_e64 v7, v16, v7, s[8:9]
	s_cbranch_vccnz .LBB133_2
; %bb.6:                                ;   in Loop: Header=BB133_3 Depth=1
	global_load_dword v16, v[4:5], off
	s_waitcnt vmcnt(0)
	v_add_f32_e32 v7, v7, v16
	s_branch .LBB133_2
.LBB133_7:
	s_or_b64 exec, exec, s[24:25]
	v_lshl_add_u32 v2, s7, 1, v0
	v_cmp_gt_i32_e32 vcc, s20, v2
	s_and_saveexec_b64 s[10:11], vcc
	s_cbranch_execz .LBB133_12
; %bb.8:
	s_load_dword s8, s[4:5], 0x44
	s_lshl_b64 s[2:3], s[22:23], 1
	s_add_u32 s22, s12, s2
	s_addc_u32 s9, s13, s3
	s_cmp_lg_u64 s[14:15], 0
	s_cselect_b64 s[2:3], -1, 0
	s_waitcnt lgkmcnt(0)
	s_and_b32 s23, s8, 0xffff
	s_lshl_b32 s8, s7, 3
	s_add_i32 s8, s8, 0
	v_cndmask_b32_e64 v3, 0, 1, s[2:3]
	s_mov_b64 s[12:13], 0
	v_lshl_add_u32 v1, v0, 2, s8
	s_lshl_b32 s24, s23, 2
	v_mov_b32_e32 v4, s9
	s_movk_i32 s25, 0x4d00
	s_mov_b32 s26, 0x3fb8aa3b
	s_mov_b32 s27, 0xc2fc0000
	v_mov_b32_e32 v5, 0x42800000
	v_mov_b32_e32 v6, 0x1f800000
	s_mov_b32 s28, 0x800000
	v_mov_b32_e32 v7, 0x4f800000
	v_mov_b32_e32 v8, 0x42000000
	s_mov_b32 s29, 0xf800000
	v_mov_b32_e32 v9, 0x260
	v_cmp_ne_u32_e64 s[2:3], 1, v3
	s_branch .LBB133_10
.LBB133_9:                              ;   in Loop: Header=BB133_10 Depth=1
	v_add_u32_e32 v2, s23, v2
	v_cmp_le_i32_e32 vcc, s20, v2
	s_or_b64 s[12:13], vcc, s[12:13]
	v_add_u32_e32 v1, s24, v1
	s_andn2_b64 exec, exec, s[12:13]
	s_cbranch_execz .LBB133_12
.LBB133_10:                             ; =>This Inner Loop Header: Depth=1
	v_ashrrev_i32_e32 v3, 31, v2
	v_lshlrev_b64 v[10:11], 1, v[2:3]
	v_add_co_u32_e32 v10, vcc, s22, v10
	v_addc_co_u32_e32 v11, vcc, v4, v11, vcc
	global_load_ushort v10, v[10:11], off
	s_waitcnt vmcnt(0)
	v_cvt_f32_f16_e32 v11, v10
	v_mul_f32_e32 v12, 0x3fb8aa3b, v11
	v_cmp_gt_f32_e32 vcc, s27, v12
	v_cndmask_b32_e32 v12, 0, v5, vcc
	v_fma_mix_f32 v12, v10, s26, v12 op_sel_hi:[1,0,0]
	v_exp_f32_e32 v12, v12
	v_cndmask_b32_e32 v13, 1.0, v6, vcc
	v_fma_f32 v12, v12, v13, 1.0
	v_cmp_gt_f32_e32 vcc, s28, v12
	v_cndmask_b32_e32 v13, 1.0, v7, vcc
	v_mul_f32_e32 v12, v12, v13
	v_log_f32_e32 v12, v12
	v_cndmask_b32_e32 v13, 0, v8, vcc
	v_cmp_lt_f16_e32 vcc, s25, v10
	v_sub_f32_e32 v12, v12, v13
	v_mul_f32_e32 v12, 0x3f317218, v12
	v_cndmask_b32_e32 v10, v12, v11, vcc
	v_mul_f32_e32 v11, 0x4f800000, v10
	v_cmp_gt_f32_e32 vcc, s29, v10
	v_cndmask_b32_e32 v10, v10, v11, vcc
	v_sqrt_f32_e32 v11, v10
	v_add_u32_e32 v12, -1, v11
	v_add_u32_e32 v13, 1, v11
	v_fma_f32 v14, -v12, v11, v10
	v_fma_f32 v15, -v13, v11, v10
	v_cmp_ge_f32_e64 s[8:9], 0, v14
	v_cndmask_b32_e64 v11, v11, v12, s[8:9]
	v_cmp_lt_f32_e64 s[8:9], 0, v15
	v_cndmask_b32_e64 v11, v11, v13, s[8:9]
	v_mul_f32_e32 v12, 0x37800000, v11
	v_cndmask_b32_e32 v11, v11, v12, vcc
	v_cmp_class_f32_e32 vcc, v10, v9
	v_cndmask_b32_e32 v10, v11, v10, vcc
	s_and_b64 vcc, exec, s[2:3]
	ds_write_b32 v1, v10
	s_cbranch_vccnz .LBB133_9
; %bb.11:                               ;   in Loop: Header=BB133_10 Depth=1
	v_lshlrev_b64 v[12:13], 2, v[2:3]
	v_mov_b32_e32 v3, s15
	v_add_co_u32_e32 v12, vcc, s14, v12
	v_addc_co_u32_e32 v13, vcc, v3, v13, vcc
	global_load_dword v3, v[12:13], off
	s_waitcnt vmcnt(0)
	v_add_f32_e32 v3, v10, v3
	ds_write_b32 v1, v3
	s_branch .LBB133_9
.LBB133_12:
	s_or_b64 exec, exec, s[10:11]
	s_cmp_lt_i32 s21, 1
	v_mov_b32_e32 v2, 0
	s_waitcnt lgkmcnt(0)
	s_barrier
	s_cbranch_scc1 .LBB133_21
; %bb.13:
	s_add_u32 s2, s4, 56
	s_addc_u32 s3, s5, 0
	v_mbcnt_lo_u32_b32 v1, -1, 0
	s_cmp_lg_u64 s[14:15], 0
	v_mbcnt_hi_u32_b32 v1, -1, v1
	v_bfrev_b32_e32 v3, 0.5
	s_cselect_b64 s[8:9], -1, 0
	v_lshlrev_b32_e32 v4, 1, v0
	v_lshl_add_u32 v5, v0, 3, 0
	s_mov_b32 s20, 0
	v_mov_b32_e32 v2, 0
	v_lshl_or_b32 v6, v1, 2, v3
	v_mov_b32_e32 v7, 0xff800000
	v_mov_b32_e32 v1, 0
	;; [unrolled: 1-line block ×3, first 2 shown]
	s_branch .LBB133_15
.LBB133_14:                             ;   in Loop: Header=BB133_15 Depth=1
	s_lshl_b32 s11, s10, 2
	s_add_i32 s11, s11, 0
	v_mov_b32_e32 v8, s11
	ds_write_b32 v8, v7
	v_mov_b32_e32 v8, s10
	v_cmp_eq_u32_e32 vcc, s20, v0
	s_add_i32 s20, s20, 1
	v_cndmask_b32_e32 v1, v1, v8, vcc
	v_cndmask_b32_e32 v2, v2, v10, vcc
	s_cmp_eq_u32 s20, s21
	v_add_f32_e32 v3, v3, v10
	s_cbranch_scc1 .LBB133_22
.LBB133_15:                             ; =>This Loop Header: Depth=1
                                        ;     Child Loop BB133_17 Depth 2
	v_mov_b32_e32 v8, s20
	v_mov_b32_e32 v9, 0xff800000
	s_and_saveexec_b64 s[10:11], s[0:1]
	s_cbranch_execz .LBB133_19
; %bb.16:                               ;   in Loop: Header=BB133_15 Depth=1
	s_load_dword s22, s[2:3], 0xc
	s_mov_b64 s[12:13], 0
	v_mov_b32_e32 v8, s20
	v_mov_b32_e32 v9, 0xff800000
	;; [unrolled: 1-line block ×3, first 2 shown]
	s_waitcnt lgkmcnt(0)
	s_and_b32 s22, s22, 0xffff
	s_lshl_b32 s23, s22, 1
	s_lshl_b32 s24, s22, 3
	v_mov_b32_e32 v11, v4
	v_mov_b32_e32 v12, v0
.LBB133_17:                             ;   Parent Loop BB133_15 Depth=1
                                        ; =>  This Inner Loop Header: Depth=2
	ds_read_b64 v[14:15], v10
	v_add_u32_e32 v12, s22, v12
	v_cmp_le_i32_e32 vcc, s7, v12
	s_or_b64 s[12:13], vcc, s[12:13]
	v_add_u32_e32 v13, 1, v11
	s_waitcnt lgkmcnt(0)
	v_cmp_gt_f32_e32 vcc, v14, v9
	v_cndmask_b32_e32 v9, v9, v14, vcc
	v_cndmask_b32_e32 v8, v8, v11, vcc
	v_cmp_gt_f32_e32 vcc, v15, v9
	v_add_u32_e32 v10, s24, v10
	v_cndmask_b32_e32 v9, v9, v15, vcc
	v_add_u32_e32 v11, s23, v11
	v_cndmask_b32_e32 v8, v8, v13, vcc
	s_andn2_b64 exec, exec, s[12:13]
	s_cbranch_execnz .LBB133_17
; %bb.18:                               ;   in Loop: Header=BB133_15 Depth=1
	s_or_b64 exec, exec, s[12:13]
.LBB133_19:                             ;   in Loop: Header=BB133_15 Depth=1
	s_or_b64 exec, exec, s[10:11]
	;;#ASMSTART
	v_max_f32 v10, v9, v9 quad_perm:[1,0,3,2] row_mask:0xf bank_mask:0xf bound_ctrl:1
	;;#ASMEND
	;;#ASMSTART
	v_max_f32 v11, v10, v10 quad_perm:[2,3,0,1] row_mask:0xf bank_mask:0xf bound_ctrl:1
	;;#ASMEND
	;;#ASMSTART
	v_max_f32 v10, v11, v11 row_half_mirror row_mask:0xf bank_mask:0xf bound_ctrl:1
	;;#ASMEND
	;;#ASMSTART
	v_max_f32 v11, v10, v10 row_mirror row_mask:0xf bank_mask:0xf bound_ctrl:1
	;;#ASMEND
	;;#ASMSTART
	v_max_f32 v10, v11, v11 row_ror:4 row_mask:0xf bank_mask:0xf bound_ctrl:1
	;;#ASMEND
	;;#ASMSTART
	v_max_f32 v11, v10, v10 row_ror:8 row_mask:0xf bank_mask:0xf bound_ctrl:1
	;;#ASMEND
	;;#ASMSTART
	v_max_f32 v10, v11, v11 row_bcast:15 row_mask:0xf bank_mask:0xf bound_ctrl:1
	;;#ASMEND
	;;#ASMSTART
	v_max_f32 v11, v10, v10 row_bcast:31 row_mask:0xf bank_mask:0xf bound_ctrl:1
	;;#ASMEND
	ds_bpermute_b32 v10, v6, v11
	s_waitcnt lgkmcnt(0)
	v_cmp_eq_f32_e32 vcc, v9, v10
	s_ff1_i32_b64 s10, vcc
	s_cmp_lg_u64 vcc, 0
	s_cselect_b32 s10, s10, 0
	s_and_b64 vcc, exec, s[8:9]
	v_readlane_b32 s10, v8, s10
	s_cbranch_vccz .LBB133_14
; %bb.20:                               ;   in Loop: Header=BB133_15 Depth=1
	s_ashr_i32 s11, s10, 31
	s_lshl_b64 s[12:13], s[10:11], 2
	s_add_u32 s12, s14, s12
	s_addc_u32 s13, s15, s13
	s_load_dword s11, s[12:13], 0x0
	s_waitcnt lgkmcnt(0)
	v_subrev_f32_e32 v10, s11, v10
	s_branch .LBB133_14
.LBB133_21:
	v_mov_b32_e32 v1, 0
	v_mov_b32_e32 v3, 0
.LBB133_22:
	v_cmp_gt_i32_e32 vcc, s21, v0
	s_and_saveexec_b64 s[0:1], vcc
	s_cbranch_execz .LBB133_25
; %bb.23:
	s_load_dword s2, s[4:5], 0x34
	v_max_f32_e32 v3, v3, v3
	v_max_f32_e32 v3, 0x1e3ce508, v3
	s_load_dword s3, s[4:5], 0x44
	s_waitcnt lgkmcnt(0)
	v_div_scale_f32 v4, s[0:1], v3, v3, s2
	s_load_dwordx2 s[0:1], s[4:5], 0x20
	v_rcp_f32_e32 v5, v4
	v_div_scale_f32 v6, vcc, s2, v3, s2
	s_and_b32 s3, s3, 0xffff
	v_fma_f32 v7, -v4, v5, 1.0
	v_fmac_f32_e32 v5, v7, v5
	v_mul_f32_e32 v7, v6, v5
	v_fma_f32 v8, -v4, v7, v6
	v_fmac_f32_e32 v7, v8, v5
	v_fma_f32 v4, -v4, v7, v6
	v_div_fmas_f32 v4, v4, v5, v7
	v_div_fixup_f32 v3, v4, v3, s2
	s_ashr_i32 s2, s6, 31
	s_waitcnt lgkmcnt(0)
	s_mul_i32 s1, s6, s1
	s_mul_hi_u32 s4, s6, s0
	s_add_i32 s1, s4, s1
	s_mul_i32 s2, s2, s0
	s_add_i32 s4, s1, s2
	v_mul_f32_e32 v2, v2, v3
	s_mul_i32 s2, s6, s0
	s_mov_b64 s[0:1], 0
	v_mov_b32_e32 v3, s4
	v_mov_b32_e32 v4, s17
	;; [unrolled: 1-line block ×3, first 2 shown]
.LBB133_24:                             ; =>This Inner Loop Header: Depth=1
	v_ashrrev_i32_e32 v7, 31, v0
	v_add_co_u32_e32 v6, vcc, s2, v0
	v_addc_co_u32_e32 v7, vcc, v3, v7, vcc
	v_add_u32_e32 v0, s3, v0
	v_cmp_le_i32_e32 vcc, s21, v0
	v_lshlrev_b64 v[6:7], 2, v[6:7]
	s_or_b64 s[0:1], vcc, s[0:1]
	v_add_co_u32_e32 v8, vcc, s16, v6
	v_addc_co_u32_e32 v9, vcc, v4, v7, vcc
	v_add_co_u32_e32 v6, vcc, s18, v6
	v_addc_co_u32_e32 v7, vcc, v5, v7, vcc
	global_store_dword v[8:9], v2, off
	global_store_dword v[6:7], v1, off
	s_andn2_b64 exec, exec, s[0:1]
	s_cbranch_execnz .LBB133_24
.LBB133_25:
	s_endpgm
	.section	.rodata,"a",@progbits
	.p2align	6, 0x0
	.amdhsa_kernel _ZN5aiter20topk_softplus_kernelI6__halffDv2_fLb1ELi0EEEvPKT_PKT0_PfPimiiif
		.amdhsa_group_segment_fixed_size 0
		.amdhsa_private_segment_fixed_size 0
		.amdhsa_kernarg_size 312
		.amdhsa_user_sgpr_count 6
		.amdhsa_user_sgpr_private_segment_buffer 1
		.amdhsa_user_sgpr_dispatch_ptr 0
		.amdhsa_user_sgpr_queue_ptr 0
		.amdhsa_user_sgpr_kernarg_segment_ptr 1
		.amdhsa_user_sgpr_dispatch_id 0
		.amdhsa_user_sgpr_flat_scratch_init 0
		.amdhsa_user_sgpr_kernarg_preload_length 0
		.amdhsa_user_sgpr_kernarg_preload_offset 0
		.amdhsa_user_sgpr_private_segment_size 0
		.amdhsa_uses_dynamic_stack 0
		.amdhsa_system_sgpr_private_segment_wavefront_offset 0
		.amdhsa_system_sgpr_workgroup_id_x 1
		.amdhsa_system_sgpr_workgroup_id_y 0
		.amdhsa_system_sgpr_workgroup_id_z 0
		.amdhsa_system_sgpr_workgroup_info 0
		.amdhsa_system_vgpr_workitem_id 0
		.amdhsa_next_free_vgpr 21
		.amdhsa_next_free_sgpr 37
		.amdhsa_accum_offset 24
		.amdhsa_reserve_vcc 1
		.amdhsa_reserve_flat_scratch 0
		.amdhsa_float_round_mode_32 0
		.amdhsa_float_round_mode_16_64 0
		.amdhsa_float_denorm_mode_32 3
		.amdhsa_float_denorm_mode_16_64 3
		.amdhsa_dx10_clamp 1
		.amdhsa_ieee_mode 1
		.amdhsa_fp16_overflow 0
		.amdhsa_tg_split 0
		.amdhsa_exception_fp_ieee_invalid_op 0
		.amdhsa_exception_fp_denorm_src 0
		.amdhsa_exception_fp_ieee_div_zero 0
		.amdhsa_exception_fp_ieee_overflow 0
		.amdhsa_exception_fp_ieee_underflow 0
		.amdhsa_exception_fp_ieee_inexact 0
		.amdhsa_exception_int_div_zero 0
	.end_amdhsa_kernel
	.section	.text._ZN5aiter20topk_softplus_kernelI6__halffDv2_fLb1ELi0EEEvPKT_PKT0_PfPimiiif,"axG",@progbits,_ZN5aiter20topk_softplus_kernelI6__halffDv2_fLb1ELi0EEEvPKT_PKT0_PfPimiiif,comdat
.Lfunc_end133:
	.size	_ZN5aiter20topk_softplus_kernelI6__halffDv2_fLb1ELi0EEEvPKT_PKT0_PfPimiiif, .Lfunc_end133-_ZN5aiter20topk_softplus_kernelI6__halffDv2_fLb1ELi0EEEvPKT_PKT0_PfPimiiif
                                        ; -- End function
	.section	.AMDGPU.csdata,"",@progbits
; Kernel info:
; codeLenInByte = 1996
; NumSgprs: 41
; NumVgprs: 21
; NumAgprs: 0
; TotalNumVgprs: 21
; ScratchSize: 0
; MemoryBound: 0
; FloatMode: 240
; IeeeMode: 1
; LDSByteSize: 0 bytes/workgroup (compile time only)
; SGPRBlocks: 5
; VGPRBlocks: 2
; NumSGPRsForWavesPerEU: 41
; NumVGPRsForWavesPerEU: 21
; AccumOffset: 24
; Occupancy: 8
; WaveLimiterHint : 0
; COMPUTE_PGM_RSRC2:SCRATCH_EN: 0
; COMPUTE_PGM_RSRC2:USER_SGPR: 6
; COMPUTE_PGM_RSRC2:TRAP_HANDLER: 0
; COMPUTE_PGM_RSRC2:TGID_X_EN: 1
; COMPUTE_PGM_RSRC2:TGID_Y_EN: 0
; COMPUTE_PGM_RSRC2:TGID_Z_EN: 0
; COMPUTE_PGM_RSRC2:TIDIG_COMP_CNT: 0
; COMPUTE_PGM_RSRC3_GFX90A:ACCUM_OFFSET: 5
; COMPUTE_PGM_RSRC3_GFX90A:TG_SPLIT: 0
	.section	.text._ZN5aiter20topk_softplus_kernelI6__halffDv2_fLb0ELi0EEEvPKT_PKT0_PfPimiiif,"axG",@progbits,_ZN5aiter20topk_softplus_kernelI6__halffDv2_fLb0ELi0EEEvPKT_PKT0_PfPimiiif,comdat
	.protected	_ZN5aiter20topk_softplus_kernelI6__halffDv2_fLb0ELi0EEEvPKT_PKT0_PfPimiiif ; -- Begin function _ZN5aiter20topk_softplus_kernelI6__halffDv2_fLb0ELi0EEEvPKT_PKT0_PfPimiiif
	.globl	_ZN5aiter20topk_softplus_kernelI6__halffDv2_fLb0ELi0EEEvPKT_PKT0_PfPimiiif
	.p2align	8
	.type	_ZN5aiter20topk_softplus_kernelI6__halffDv2_fLb0ELi0EEEvPKT_PKT0_PfPimiiif,@function
_ZN5aiter20topk_softplus_kernelI6__halffDv2_fLb0ELi0EEEvPKT_PKT0_PfPimiiif: ; @_ZN5aiter20topk_softplus_kernelI6__halffDv2_fLb0ELi0EEEvPKT_PKT0_PfPimiiif
; %bb.0:
	s_load_dwordx2 s[20:21], s[4:5], 0x28
	s_load_dwordx8 s[12:19], s[4:5], 0x0
	s_waitcnt lgkmcnt(0)
	s_lshr_b32 s0, s20, 31
	s_add_i32 s0, s20, s0
	s_mul_i32 s22, s6, s20
	s_ashr_i32 s7, s0, 1
	s_ashr_i32 s23, s22, 31
	v_cmp_gt_i32_e64 s[0:1], s7, v0
	s_and_saveexec_b64 s[24:25], s[0:1]
	s_cbranch_execz .LBB134_7
; %bb.1:
	s_load_dword s8, s[4:5], 0x44
	s_cmp_lg_u64 s[14:15], 0
	s_cselect_b64 s[2:3], -1, 0
	v_lshlrev_b32_e32 v1, 2, v0
	v_mov_b32_e32 v4, s15
	s_waitcnt lgkmcnt(0)
	s_and_b32 s28, s8, 0xffff
	s_lshl_b64 s[8:9], s[22:23], 1
	s_add_u32 s8, s12, s8
	s_addc_u32 s9, s13, s9
	v_mov_b32_e32 v3, s9
	v_add_co_u32_e32 v2, vcc, s8, v1
	v_addc_co_u32_e32 v3, vcc, 0, v3, vcc
	v_lshlrev_b32_e32 v1, 3, v0
	v_add_co_u32_e32 v5, vcc, s14, v1
	v_addc_co_u32_e32 v6, vcc, 0, v4, vcc
	v_add_co_u32_e32 v4, vcc, 4, v5
	s_mov_b32 s10, 0
	v_addc_co_u32_e32 v5, vcc, 0, v6, vcc
	v_cndmask_b32_e64 v6, 0, 1, s[2:3]
	s_mov_b64 s[26:27], 0
	s_lshl_b32 s29, s28, 2
	s_lshl_b32 s30, s28, 3
	v_add_u32_e32 v1, 0, v1
	s_movk_i32 s31, 0x4d00
	s_mov_b32 s33, 0x3fb8aa3b
	s_mov_b32 s34, 0xc2fc0000
	v_mov_b32_e32 v8, 0x1f800000
	v_mov_b32_e32 v9, 0x42800000
	s_mov_b32 s35, 0x800000
	v_mov_b32_e32 v10, 0x4f800000
	v_mov_b32_e32 v11, 0x42000000
	s_mov_b32 s36, 0xf800000
	v_mov_b32_e32 v12, 0x260
	v_cmp_ne_u32_e64 s[2:3], 1, v6
	v_mov_b32_e32 v13, s10
	v_mov_b32_e32 v14, s10
	;; [unrolled: 1-line block ×3, first 2 shown]
	s_branch .LBB134_3
.LBB134_2:                              ;   in Loop: Header=BB134_3 Depth=1
	v_add_co_u32_e32 v2, vcc, s29, v2
	v_addc_co_u32_e32 v3, vcc, v3, v13, vcc
	v_add_co_u32_e32 v4, vcc, s30, v4
	v_add_u32_e32 v15, s28, v15
	v_addc_co_u32_e32 v5, vcc, v5, v14, vcc
	v_cmp_le_i32_e32 vcc, s7, v15
	ds_write_b64 v1, v[6:7]
	s_or_b64 s[26:27], vcc, s[26:27]
	v_add_u32_e32 v1, s30, v1
	s_andn2_b64 exec, exec, s[26:27]
	s_cbranch_execz .LBB134_7
.LBB134_3:                              ; =>This Inner Loop Header: Depth=1
	global_load_dword v7, v[2:3], off
	s_waitcnt vmcnt(0)
	v_cvt_f32_f16_e32 v6, v7
	v_mul_f32_e32 v16, 0x3fb8aa3b, v6
	v_cmp_gt_f32_e32 vcc, s34, v16
	v_cndmask_b32_e32 v17, 0, v9, vcc
	v_fma_mix_f32 v17, v7, s33, v17 op_sel_hi:[1,0,0]
	v_exp_f32_e32 v17, v17
	v_cndmask_b32_e32 v16, 1.0, v8, vcc
	v_fma_f32 v16, v17, v16, 1.0
	v_cmp_gt_f32_e32 vcc, s35, v16
	v_cndmask_b32_e32 v17, 1.0, v10, vcc
	v_mul_f32_e32 v16, v16, v17
	v_log_f32_e32 v16, v16
	v_cndmask_b32_e32 v17, 0, v11, vcc
	v_cmp_lt_f16_e32 vcc, s31, v7
	v_sub_f32_e32 v16, v16, v17
	v_mul_f32_e32 v16, 0x3f317218, v16
	v_cndmask_b32_e32 v6, v16, v6, vcc
	v_mul_f32_e32 v16, 0x4f800000, v6
	v_cmp_gt_f32_e64 s[8:9], s36, v6
	v_cndmask_b32_e64 v6, v6, v16, s[8:9]
	v_sqrt_f32_e32 v16, v6
	s_and_b64 vcc, exec, s[2:3]
	v_add_u32_e32 v17, -1, v16
	v_add_u32_e32 v18, 1, v16
	v_fma_f32 v19, -v17, v16, v6
	v_fma_f32 v20, -v18, v16, v6
	v_cmp_ge_f32_e64 s[10:11], 0, v19
	v_cndmask_b32_e64 v16, v16, v17, s[10:11]
	v_cmp_lt_f32_e64 s[10:11], 0, v20
	v_cndmask_b32_e64 v16, v16, v18, s[10:11]
	v_mul_f32_e32 v17, 0x37800000, v16
	v_cndmask_b32_e64 v16, v16, v17, s[8:9]
	v_cmp_class_f32_e64 s[8:9], v6, v12
	v_cndmask_b32_e64 v6, v16, v6, s[8:9]
	s_cbranch_vccnz .LBB134_5
; %bb.4:                                ;   in Loop: Header=BB134_3 Depth=1
	global_load_dword v16, v[4:5], off offset:-4
	s_waitcnt vmcnt(0)
	v_add_f32_e32 v6, v6, v16
.LBB134_5:                              ;   in Loop: Header=BB134_3 Depth=1
	v_cvt_f32_f16_sdwa v16, v7 dst_sel:DWORD dst_unused:UNUSED_PAD src0_sel:WORD_1
	v_mul_f32_e32 v17, 0x3fb8aa3b, v16
	v_cmp_gt_f32_e32 vcc, s34, v17
	v_cndmask_b32_e32 v18, 0, v9, vcc
	v_fma_mix_f32 v18, v7, s33, v18 op_sel:[1,0,0] op_sel_hi:[1,0,0]
	v_exp_f32_e32 v18, v18
	v_cndmask_b32_e32 v17, 1.0, v8, vcc
	v_fma_f32 v17, v18, v17, 1.0
	v_cmp_gt_f32_e32 vcc, s35, v17
	v_cndmask_b32_e32 v18, 1.0, v10, vcc
	v_mul_f32_e32 v17, v17, v18
	v_log_f32_e32 v17, v17
	v_cndmask_b32_e32 v18, 0, v11, vcc
	v_cmp_gt_f16_sdwa vcc, v7, s31 src0_sel:WORD_1 src1_sel:DWORD
	v_sub_f32_e32 v17, v17, v18
	v_mul_f32_e32 v17, 0x3f317218, v17
	v_cndmask_b32_e32 v7, v17, v16, vcc
	v_mul_f32_e32 v16, 0x4f800000, v7
	v_cmp_gt_f32_e64 s[8:9], s36, v7
	v_cndmask_b32_e64 v7, v7, v16, s[8:9]
	v_sqrt_f32_e32 v16, v7
	s_and_b64 vcc, exec, s[2:3]
	v_add_u32_e32 v17, -1, v16
	v_add_u32_e32 v18, 1, v16
	v_fma_f32 v19, -v17, v16, v7
	v_fma_f32 v20, -v18, v16, v7
	v_cmp_ge_f32_e64 s[10:11], 0, v19
	v_cndmask_b32_e64 v16, v16, v17, s[10:11]
	v_cmp_lt_f32_e64 s[10:11], 0, v20
	v_cndmask_b32_e64 v16, v16, v18, s[10:11]
	v_mul_f32_e32 v17, 0x37800000, v16
	v_cndmask_b32_e64 v16, v16, v17, s[8:9]
	v_cmp_class_f32_e64 s[8:9], v7, v12
	v_cndmask_b32_e64 v7, v16, v7, s[8:9]
	s_cbranch_vccnz .LBB134_2
; %bb.6:                                ;   in Loop: Header=BB134_3 Depth=1
	global_load_dword v16, v[4:5], off
	s_waitcnt vmcnt(0)
	v_add_f32_e32 v7, v7, v16
	s_branch .LBB134_2
.LBB134_7:
	s_or_b64 exec, exec, s[24:25]
	v_lshl_add_u32 v2, s7, 1, v0
	v_cmp_gt_i32_e32 vcc, s20, v2
	s_and_saveexec_b64 s[10:11], vcc
	s_cbranch_execz .LBB134_12
; %bb.8:
	s_load_dword s8, s[4:5], 0x44
	s_lshl_b64 s[2:3], s[22:23], 1
	s_add_u32 s22, s12, s2
	s_addc_u32 s9, s13, s3
	s_cmp_lg_u64 s[14:15], 0
	s_cselect_b64 s[2:3], -1, 0
	s_waitcnt lgkmcnt(0)
	s_and_b32 s23, s8, 0xffff
	s_lshl_b32 s8, s7, 3
	s_add_i32 s8, s8, 0
	v_cndmask_b32_e64 v3, 0, 1, s[2:3]
	s_mov_b64 s[12:13], 0
	v_lshl_add_u32 v1, v0, 2, s8
	s_lshl_b32 s24, s23, 2
	v_mov_b32_e32 v4, s9
	s_movk_i32 s25, 0x4d00
	s_mov_b32 s26, 0x3fb8aa3b
	s_mov_b32 s27, 0xc2fc0000
	v_mov_b32_e32 v5, 0x42800000
	v_mov_b32_e32 v6, 0x1f800000
	s_mov_b32 s28, 0x800000
	v_mov_b32_e32 v7, 0x4f800000
	v_mov_b32_e32 v8, 0x42000000
	s_mov_b32 s29, 0xf800000
	v_mov_b32_e32 v9, 0x260
	v_cmp_ne_u32_e64 s[2:3], 1, v3
	s_branch .LBB134_10
.LBB134_9:                              ;   in Loop: Header=BB134_10 Depth=1
	v_add_u32_e32 v2, s23, v2
	v_cmp_le_i32_e32 vcc, s20, v2
	s_or_b64 s[12:13], vcc, s[12:13]
	v_add_u32_e32 v1, s24, v1
	s_andn2_b64 exec, exec, s[12:13]
	s_cbranch_execz .LBB134_12
.LBB134_10:                             ; =>This Inner Loop Header: Depth=1
	v_ashrrev_i32_e32 v3, 31, v2
	v_lshlrev_b64 v[10:11], 1, v[2:3]
	v_add_co_u32_e32 v10, vcc, s22, v10
	v_addc_co_u32_e32 v11, vcc, v4, v11, vcc
	global_load_ushort v10, v[10:11], off
	s_waitcnt vmcnt(0)
	v_cvt_f32_f16_e32 v11, v10
	v_mul_f32_e32 v12, 0x3fb8aa3b, v11
	v_cmp_gt_f32_e32 vcc, s27, v12
	v_cndmask_b32_e32 v12, 0, v5, vcc
	v_fma_mix_f32 v12, v10, s26, v12 op_sel_hi:[1,0,0]
	v_exp_f32_e32 v12, v12
	v_cndmask_b32_e32 v13, 1.0, v6, vcc
	v_fma_f32 v12, v12, v13, 1.0
	v_cmp_gt_f32_e32 vcc, s28, v12
	v_cndmask_b32_e32 v13, 1.0, v7, vcc
	v_mul_f32_e32 v12, v12, v13
	v_log_f32_e32 v12, v12
	v_cndmask_b32_e32 v13, 0, v8, vcc
	v_cmp_lt_f16_e32 vcc, s25, v10
	v_sub_f32_e32 v12, v12, v13
	v_mul_f32_e32 v12, 0x3f317218, v12
	v_cndmask_b32_e32 v10, v12, v11, vcc
	v_mul_f32_e32 v11, 0x4f800000, v10
	v_cmp_gt_f32_e32 vcc, s29, v10
	v_cndmask_b32_e32 v10, v10, v11, vcc
	v_sqrt_f32_e32 v11, v10
	v_add_u32_e32 v12, -1, v11
	v_add_u32_e32 v13, 1, v11
	v_fma_f32 v14, -v12, v11, v10
	v_fma_f32 v15, -v13, v11, v10
	v_cmp_ge_f32_e64 s[8:9], 0, v14
	v_cndmask_b32_e64 v11, v11, v12, s[8:9]
	v_cmp_lt_f32_e64 s[8:9], 0, v15
	v_cndmask_b32_e64 v11, v11, v13, s[8:9]
	v_mul_f32_e32 v12, 0x37800000, v11
	v_cndmask_b32_e32 v11, v11, v12, vcc
	v_cmp_class_f32_e32 vcc, v10, v9
	v_cndmask_b32_e32 v10, v11, v10, vcc
	s_and_b64 vcc, exec, s[2:3]
	ds_write_b32 v1, v10
	s_cbranch_vccnz .LBB134_9
; %bb.11:                               ;   in Loop: Header=BB134_10 Depth=1
	v_lshlrev_b64 v[12:13], 2, v[2:3]
	v_mov_b32_e32 v3, s15
	v_add_co_u32_e32 v12, vcc, s14, v12
	v_addc_co_u32_e32 v13, vcc, v3, v13, vcc
	global_load_dword v3, v[12:13], off
	s_waitcnt vmcnt(0)
	v_add_f32_e32 v3, v10, v3
	ds_write_b32 v1, v3
	s_branch .LBB134_9
.LBB134_12:
	s_or_b64 exec, exec, s[10:11]
	s_cmp_lt_i32 s21, 1
	s_waitcnt lgkmcnt(0)
	s_barrier
	s_cbranch_scc1 .LBB134_21
; %bb.13:
	s_add_u32 s2, s4, 56
	s_addc_u32 s3, s5, 0
	v_mbcnt_lo_u32_b32 v5, -1, 0
	s_cmp_lg_u64 s[14:15], 0
	v_mbcnt_hi_u32_b32 v5, -1, v5
	v_bfrev_b32_e32 v6, 0.5
	s_cselect_b64 s[8:9], -1, 0
	v_lshlrev_b32_e32 v3, 1, v0
	s_mov_b32 s20, 0
	v_mov_b32_e32 v1, 0
	v_lshl_add_u32 v4, v0, 3, 0
	v_mov_b32_e32 v2, 0
	v_lshl_or_b32 v5, v5, 2, v6
	v_mov_b32_e32 v6, 0xff800000
	s_branch .LBB134_15
.LBB134_14:                             ;   in Loop: Header=BB134_15 Depth=1
	s_lshl_b32 s11, s10, 2
	s_add_i32 s11, s11, 0
	v_mov_b32_e32 v7, s11
	ds_write_b32 v7, v6
	v_mov_b32_e32 v7, s10
	v_cmp_eq_u32_e32 vcc, s20, v0
	s_add_i32 s20, s20, 1
	v_cndmask_b32_e32 v1, v1, v7, vcc
	s_cmp_eq_u32 s20, s21
	v_cndmask_b32_e32 v2, v2, v9, vcc
	s_cbranch_scc1 .LBB134_22
.LBB134_15:                             ; =>This Loop Header: Depth=1
                                        ;     Child Loop BB134_17 Depth 2
	v_mov_b32_e32 v7, s20
	v_mov_b32_e32 v8, 0xff800000
	s_and_saveexec_b64 s[10:11], s[0:1]
	s_cbranch_execz .LBB134_19
; %bb.16:                               ;   in Loop: Header=BB134_15 Depth=1
	s_load_dword s22, s[2:3], 0xc
	s_mov_b64 s[12:13], 0
	v_mov_b32_e32 v7, s20
	v_mov_b32_e32 v8, 0xff800000
	;; [unrolled: 1-line block ×3, first 2 shown]
	s_waitcnt lgkmcnt(0)
	s_and_b32 s22, s22, 0xffff
	s_lshl_b32 s23, s22, 1
	s_lshl_b32 s24, s22, 3
	v_mov_b32_e32 v10, v3
	v_mov_b32_e32 v11, v0
.LBB134_17:                             ;   Parent Loop BB134_15 Depth=1
                                        ; =>  This Inner Loop Header: Depth=2
	ds_read_b64 v[12:13], v9
	v_add_u32_e32 v11, s22, v11
	v_cmp_le_i32_e32 vcc, s7, v11
	s_or_b64 s[12:13], vcc, s[12:13]
	v_add_u32_e32 v14, 1, v10
	s_waitcnt lgkmcnt(0)
	v_cmp_gt_f32_e32 vcc, v12, v8
	v_cndmask_b32_e32 v8, v8, v12, vcc
	v_cndmask_b32_e32 v7, v7, v10, vcc
	v_cmp_gt_f32_e32 vcc, v13, v8
	v_add_u32_e32 v9, s24, v9
	v_cndmask_b32_e32 v8, v8, v13, vcc
	v_add_u32_e32 v10, s23, v10
	v_cndmask_b32_e32 v7, v7, v14, vcc
	s_andn2_b64 exec, exec, s[12:13]
	s_cbranch_execnz .LBB134_17
; %bb.18:                               ;   in Loop: Header=BB134_15 Depth=1
	s_or_b64 exec, exec, s[12:13]
.LBB134_19:                             ;   in Loop: Header=BB134_15 Depth=1
	s_or_b64 exec, exec, s[10:11]
	;;#ASMSTART
	v_max_f32 v9, v8, v8 quad_perm:[1,0,3,2] row_mask:0xf bank_mask:0xf bound_ctrl:1
	;;#ASMEND
	;;#ASMSTART
	v_max_f32 v10, v9, v9 quad_perm:[2,3,0,1] row_mask:0xf bank_mask:0xf bound_ctrl:1
	;;#ASMEND
	;;#ASMSTART
	v_max_f32 v9, v10, v10 row_half_mirror row_mask:0xf bank_mask:0xf bound_ctrl:1
	;;#ASMEND
	;;#ASMSTART
	v_max_f32 v10, v9, v9 row_mirror row_mask:0xf bank_mask:0xf bound_ctrl:1
	;;#ASMEND
	;;#ASMSTART
	v_max_f32 v9, v10, v10 row_ror:4 row_mask:0xf bank_mask:0xf bound_ctrl:1
	;;#ASMEND
	;;#ASMSTART
	v_max_f32 v10, v9, v9 row_ror:8 row_mask:0xf bank_mask:0xf bound_ctrl:1
	;;#ASMEND
	;;#ASMSTART
	v_max_f32 v9, v10, v10 row_bcast:15 row_mask:0xf bank_mask:0xf bound_ctrl:1
	;;#ASMEND
	;;#ASMSTART
	v_max_f32 v10, v9, v9 row_bcast:31 row_mask:0xf bank_mask:0xf bound_ctrl:1
	;;#ASMEND
	ds_bpermute_b32 v9, v5, v10
	s_waitcnt lgkmcnt(0)
	v_cmp_eq_f32_e32 vcc, v8, v9
	s_ff1_i32_b64 s10, vcc
	s_cmp_lg_u64 vcc, 0
	s_cselect_b32 s10, s10, 0
	s_and_b64 vcc, exec, s[8:9]
	v_readlane_b32 s10, v7, s10
	s_cbranch_vccz .LBB134_14
; %bb.20:                               ;   in Loop: Header=BB134_15 Depth=1
	s_ashr_i32 s11, s10, 31
	s_lshl_b64 s[12:13], s[10:11], 2
	s_add_u32 s12, s14, s12
	s_addc_u32 s13, s15, s13
	s_load_dword s11, s[12:13], 0x0
	s_waitcnt lgkmcnt(0)
	v_subrev_f32_e32 v9, s11, v9
	s_branch .LBB134_14
.LBB134_21:
	v_mov_b32_e32 v2, 0
	v_mov_b32_e32 v1, 0
.LBB134_22:
	v_cmp_gt_i32_e32 vcc, s21, v0
	s_and_saveexec_b64 s[0:1], vcc
	s_cbranch_execz .LBB134_25
; %bb.23:
	s_load_dword s2, s[4:5], 0x34
	s_load_dwordx2 s[0:1], s[4:5], 0x20
	s_ashr_i32 s3, s6, 31
	s_load_dword s4, s[4:5], 0x44
	v_mov_b32_e32 v4, s17
	s_waitcnt lgkmcnt(0)
	v_mul_f32_e32 v2, s2, v2
	s_mul_i32 s1, s6, s1
	s_mul_hi_u32 s2, s6, s0
	s_add_i32 s1, s2, s1
	s_mul_i32 s3, s3, s0
	s_add_i32 s5, s1, s3
	s_mul_i32 s2, s6, s0
	s_and_b32 s3, s4, 0xffff
	s_mov_b64 s[0:1], 0
	v_mov_b32_e32 v3, s5
	v_mov_b32_e32 v5, s19
.LBB134_24:                             ; =>This Inner Loop Header: Depth=1
	v_ashrrev_i32_e32 v7, 31, v0
	v_add_co_u32_e32 v6, vcc, s2, v0
	v_addc_co_u32_e32 v7, vcc, v3, v7, vcc
	v_add_u32_e32 v0, s3, v0
	v_cmp_le_i32_e32 vcc, s21, v0
	v_lshlrev_b64 v[6:7], 2, v[6:7]
	s_or_b64 s[0:1], vcc, s[0:1]
	v_add_co_u32_e32 v8, vcc, s16, v6
	v_addc_co_u32_e32 v9, vcc, v4, v7, vcc
	v_add_co_u32_e32 v6, vcc, s18, v6
	v_addc_co_u32_e32 v7, vcc, v5, v7, vcc
	global_store_dword v[8:9], v2, off
	global_store_dword v[6:7], v1, off
	s_andn2_b64 exec, exec, s[0:1]
	s_cbranch_execnz .LBB134_24
.LBB134_25:
	s_endpgm
	.section	.rodata,"a",@progbits
	.p2align	6, 0x0
	.amdhsa_kernel _ZN5aiter20topk_softplus_kernelI6__halffDv2_fLb0ELi0EEEvPKT_PKT0_PfPimiiif
		.amdhsa_group_segment_fixed_size 0
		.amdhsa_private_segment_fixed_size 0
		.amdhsa_kernarg_size 312
		.amdhsa_user_sgpr_count 6
		.amdhsa_user_sgpr_private_segment_buffer 1
		.amdhsa_user_sgpr_dispatch_ptr 0
		.amdhsa_user_sgpr_queue_ptr 0
		.amdhsa_user_sgpr_kernarg_segment_ptr 1
		.amdhsa_user_sgpr_dispatch_id 0
		.amdhsa_user_sgpr_flat_scratch_init 0
		.amdhsa_user_sgpr_kernarg_preload_length 0
		.amdhsa_user_sgpr_kernarg_preload_offset 0
		.amdhsa_user_sgpr_private_segment_size 0
		.amdhsa_uses_dynamic_stack 0
		.amdhsa_system_sgpr_private_segment_wavefront_offset 0
		.amdhsa_system_sgpr_workgroup_id_x 1
		.amdhsa_system_sgpr_workgroup_id_y 0
		.amdhsa_system_sgpr_workgroup_id_z 0
		.amdhsa_system_sgpr_workgroup_info 0
		.amdhsa_system_vgpr_workitem_id 0
		.amdhsa_next_free_vgpr 21
		.amdhsa_next_free_sgpr 37
		.amdhsa_accum_offset 24
		.amdhsa_reserve_vcc 1
		.amdhsa_reserve_flat_scratch 0
		.amdhsa_float_round_mode_32 0
		.amdhsa_float_round_mode_16_64 0
		.amdhsa_float_denorm_mode_32 3
		.amdhsa_float_denorm_mode_16_64 3
		.amdhsa_dx10_clamp 1
		.amdhsa_ieee_mode 1
		.amdhsa_fp16_overflow 0
		.amdhsa_tg_split 0
		.amdhsa_exception_fp_ieee_invalid_op 0
		.amdhsa_exception_fp_denorm_src 0
		.amdhsa_exception_fp_ieee_div_zero 0
		.amdhsa_exception_fp_ieee_overflow 0
		.amdhsa_exception_fp_ieee_underflow 0
		.amdhsa_exception_fp_ieee_inexact 0
		.amdhsa_exception_int_div_zero 0
	.end_amdhsa_kernel
	.section	.text._ZN5aiter20topk_softplus_kernelI6__halffDv2_fLb0ELi0EEEvPKT_PKT0_PfPimiiif,"axG",@progbits,_ZN5aiter20topk_softplus_kernelI6__halffDv2_fLb0ELi0EEEvPKT_PKT0_PfPimiiif,comdat
.Lfunc_end134:
	.size	_ZN5aiter20topk_softplus_kernelI6__halffDv2_fLb0ELi0EEEvPKT_PKT0_PfPimiiif, .Lfunc_end134-_ZN5aiter20topk_softplus_kernelI6__halffDv2_fLb0ELi0EEEvPKT_PKT0_PfPimiiif
                                        ; -- End function
	.section	.AMDGPU.csdata,"",@progbits
; Kernel info:
; codeLenInByte = 1896
; NumSgprs: 41
; NumVgprs: 21
; NumAgprs: 0
; TotalNumVgprs: 21
; ScratchSize: 0
; MemoryBound: 0
; FloatMode: 240
; IeeeMode: 1
; LDSByteSize: 0 bytes/workgroup (compile time only)
; SGPRBlocks: 5
; VGPRBlocks: 2
; NumSGPRsForWavesPerEU: 41
; NumVGPRsForWavesPerEU: 21
; AccumOffset: 24
; Occupancy: 8
; WaveLimiterHint : 0
; COMPUTE_PGM_RSRC2:SCRATCH_EN: 0
; COMPUTE_PGM_RSRC2:USER_SGPR: 6
; COMPUTE_PGM_RSRC2:TRAP_HANDLER: 0
; COMPUTE_PGM_RSRC2:TGID_X_EN: 1
; COMPUTE_PGM_RSRC2:TGID_Y_EN: 0
; COMPUTE_PGM_RSRC2:TGID_Z_EN: 0
; COMPUTE_PGM_RSRC2:TIDIG_COMP_CNT: 0
; COMPUTE_PGM_RSRC3_GFX90A:ACCUM_OFFSET: 5
; COMPUTE_PGM_RSRC3_GFX90A:TG_SPLIT: 0
	.section	.text._ZN5aiter20topk_softplus_kernelI6__halffDv1_fLb1ELi0EEEvPKT_PKT0_PfPimiiif,"axG",@progbits,_ZN5aiter20topk_softplus_kernelI6__halffDv1_fLb1ELi0EEEvPKT_PKT0_PfPimiiif,comdat
	.protected	_ZN5aiter20topk_softplus_kernelI6__halffDv1_fLb1ELi0EEEvPKT_PKT0_PfPimiiif ; -- Begin function _ZN5aiter20topk_softplus_kernelI6__halffDv1_fLb1ELi0EEEvPKT_PKT0_PfPimiiif
	.globl	_ZN5aiter20topk_softplus_kernelI6__halffDv1_fLb1ELi0EEEvPKT_PKT0_PfPimiiif
	.p2align	8
	.type	_ZN5aiter20topk_softplus_kernelI6__halffDv1_fLb1ELi0EEEvPKT_PKT0_PfPimiiif,@function
_ZN5aiter20topk_softplus_kernelI6__halffDv1_fLb1ELi0EEEvPKT_PKT0_PfPimiiif: ; @_ZN5aiter20topk_softplus_kernelI6__halffDv1_fLb1ELi0EEEvPKT_PKT0_PfPimiiif
; %bb.0:
	s_load_dwordx2 s[20:21], s[4:5], 0x28
	s_load_dwordx8 s[12:19], s[4:5], 0x0
	v_lshl_add_u32 v1, v0, 2, 0
	s_waitcnt lgkmcnt(0)
	s_mul_i32 s2, s6, s20
	s_ashr_i32 s3, s2, 31
	s_lshl_b64 s[2:3], s[2:3], 1
	s_add_u32 s7, s12, s2
	v_cmp_gt_i32_e64 s[0:1], s20, v0
	s_addc_u32 s24, s13, s3
	s_and_saveexec_b64 s[12:13], s[0:1]
	s_cbranch_execz .LBB135_5
; %bb.1:
	s_load_dword s8, s[4:5], 0x44
	s_cmp_lg_u64 s[14:15], 0
	s_cselect_b64 s[2:3], -1, 0
	v_cndmask_b32_e64 v2, 0, 1, s[2:3]
	s_mov_b64 s[22:23], 0
	s_waitcnt lgkmcnt(0)
	s_and_b32 s25, s8, 0xffff
	v_lshl_add_u32 v4, v0, 2, 0
	s_lshl_b32 s26, s25, 2
	v_mov_b32_e32 v5, s24
	s_movk_i32 s27, 0x4d00
	s_mov_b32 s28, 0x3fb8aa3b
	s_mov_b32 s29, 0xc2fc0000
	v_mov_b32_e32 v6, 0x42800000
	v_mov_b32_e32 v7, 0x1f800000
	s_mov_b32 s30, 0x800000
	v_mov_b32_e32 v8, 0x4f800000
	v_mov_b32_e32 v9, 0x42000000
	s_mov_b32 s31, 0xf800000
	v_mov_b32_e32 v10, 0x260
	v_cmp_ne_u32_e64 s[2:3], 1, v2
	v_mov_b32_e32 v2, v0
	s_branch .LBB135_3
.LBB135_2:                              ;   in Loop: Header=BB135_3 Depth=1
	v_add_u32_e32 v2, s25, v2
	v_cmp_le_i32_e32 vcc, s20, v2
	ds_write_b32 v4, v11
	s_or_b64 s[22:23], vcc, s[22:23]
	v_add_u32_e32 v4, s26, v4
	s_andn2_b64 exec, exec, s[22:23]
	s_cbranch_execz .LBB135_5
.LBB135_3:                              ; =>This Inner Loop Header: Depth=1
	v_ashrrev_i32_e32 v3, 31, v2
	v_lshlrev_b64 v[12:13], 1, v[2:3]
	v_add_co_u32_e32 v12, vcc, s7, v12
	v_addc_co_u32_e32 v13, vcc, v5, v13, vcc
	global_load_ushort v11, v[12:13], off
	s_waitcnt vmcnt(0)
	v_cvt_f32_f16_e32 v12, v11
	v_mul_f32_e32 v13, 0x3fb8aa3b, v12
	v_cmp_gt_f32_e32 vcc, s29, v13
	v_cndmask_b32_e32 v13, 0, v6, vcc
	v_fma_mix_f32 v13, v11, s28, v13 op_sel_hi:[1,0,0]
	v_exp_f32_e32 v13, v13
	v_cndmask_b32_e32 v14, 1.0, v7, vcc
	v_fma_f32 v13, v13, v14, 1.0
	v_cmp_gt_f32_e32 vcc, s30, v13
	v_cndmask_b32_e32 v14, 1.0, v8, vcc
	v_mul_f32_e32 v13, v13, v14
	v_log_f32_e32 v13, v13
	v_cndmask_b32_e32 v14, 0, v9, vcc
	v_cmp_lt_f16_e32 vcc, s27, v11
	v_sub_f32_e32 v13, v13, v14
	v_mul_f32_e32 v13, 0x3f317218, v13
	v_cndmask_b32_e32 v11, v13, v12, vcc
	v_mul_f32_e32 v12, 0x4f800000, v11
	v_cmp_gt_f32_e64 s[8:9], s31, v11
	v_cndmask_b32_e64 v11, v11, v12, s[8:9]
	v_sqrt_f32_e32 v12, v11
	s_and_b64 vcc, exec, s[2:3]
	v_add_u32_e32 v13, -1, v12
	v_add_u32_e32 v14, 1, v12
	v_fma_f32 v15, -v13, v12, v11
	v_fma_f32 v16, -v14, v12, v11
	v_cmp_ge_f32_e64 s[10:11], 0, v15
	v_cndmask_b32_e64 v12, v12, v13, s[10:11]
	v_cmp_lt_f32_e64 s[10:11], 0, v16
	v_cndmask_b32_e64 v12, v12, v14, s[10:11]
	v_mul_f32_e32 v13, 0x37800000, v12
	v_cndmask_b32_e64 v12, v12, v13, s[8:9]
	v_cmp_class_f32_e64 s[8:9], v11, v10
	v_cndmask_b32_e64 v11, v12, v11, s[8:9]
	s_cbranch_vccnz .LBB135_2
; %bb.4:                                ;   in Loop: Header=BB135_3 Depth=1
	v_lshlrev_b64 v[12:13], 2, v[2:3]
	v_mov_b32_e32 v3, s15
	v_add_co_u32_e32 v12, vcc, s14, v12
	v_addc_co_u32_e32 v13, vcc, v3, v13, vcc
	global_load_dword v3, v[12:13], off
	s_waitcnt vmcnt(0)
	v_add_f32_e32 v11, v11, v3
	s_branch .LBB135_2
.LBB135_5:
	s_or_b64 exec, exec, s[12:13]
	v_add_u32_e32 v2, s20, v0
	v_cmp_gt_i32_e32 vcc, s20, v2
	s_and_saveexec_b64 s[10:11], vcc
	s_cbranch_execz .LBB135_10
; %bb.6:
	s_load_dword s8, s[4:5], 0x44
	s_cmp_lg_u64 s[14:15], 0
	s_cselect_b64 s[2:3], -1, 0
	v_cndmask_b32_e64 v3, 0, 1, s[2:3]
	s_mov_b64 s[12:13], 0
	s_waitcnt lgkmcnt(0)
	s_and_b32 s22, s8, 0xffff
	v_lshl_add_u32 v4, v2, 2, 0
	s_lshl_b32 s23, s22, 2
	v_mov_b32_e32 v5, s24
	s_movk_i32 s24, 0x4d00
	s_mov_b32 s25, 0x3fb8aa3b
	s_mov_b32 s26, 0xc2fc0000
	v_mov_b32_e32 v6, 0x42800000
	v_mov_b32_e32 v7, 0x1f800000
	s_mov_b32 s27, 0x800000
	v_mov_b32_e32 v8, 0x4f800000
	v_mov_b32_e32 v9, 0x42000000
	s_mov_b32 s28, 0xf800000
	v_mov_b32_e32 v10, 0x260
	v_cmp_ne_u32_e64 s[2:3], 1, v3
	s_branch .LBB135_8
.LBB135_7:                              ;   in Loop: Header=BB135_8 Depth=1
	v_add_u32_e32 v2, s22, v2
	v_cmp_le_i32_e32 vcc, s20, v2
	s_or_b64 s[12:13], vcc, s[12:13]
	v_add_u32_e32 v4, s23, v4
	s_andn2_b64 exec, exec, s[12:13]
	s_cbranch_execz .LBB135_10
.LBB135_8:                              ; =>This Inner Loop Header: Depth=1
	v_ashrrev_i32_e32 v3, 31, v2
	v_lshlrev_b64 v[12:13], 1, v[2:3]
	v_add_co_u32_e32 v12, vcc, s7, v12
	v_addc_co_u32_e32 v13, vcc, v5, v13, vcc
	global_load_ushort v11, v[12:13], off
	s_waitcnt vmcnt(0)
	v_cvt_f32_f16_e32 v12, v11
	v_mul_f32_e32 v13, 0x3fb8aa3b, v12
	v_cmp_gt_f32_e32 vcc, s26, v13
	v_cndmask_b32_e32 v13, 0, v6, vcc
	v_fma_mix_f32 v13, v11, s25, v13 op_sel_hi:[1,0,0]
	v_exp_f32_e32 v13, v13
	v_cndmask_b32_e32 v14, 1.0, v7, vcc
	v_fma_f32 v13, v13, v14, 1.0
	v_cmp_gt_f32_e32 vcc, s27, v13
	v_cndmask_b32_e32 v14, 1.0, v8, vcc
	v_mul_f32_e32 v13, v13, v14
	v_log_f32_e32 v13, v13
	v_cndmask_b32_e32 v14, 0, v9, vcc
	v_cmp_lt_f16_e32 vcc, s24, v11
	v_sub_f32_e32 v13, v13, v14
	v_mul_f32_e32 v13, 0x3f317218, v13
	v_cndmask_b32_e32 v11, v13, v12, vcc
	v_mul_f32_e32 v12, 0x4f800000, v11
	v_cmp_gt_f32_e32 vcc, s28, v11
	v_cndmask_b32_e32 v11, v11, v12, vcc
	v_sqrt_f32_e32 v12, v11
	v_add_u32_e32 v13, -1, v12
	v_add_u32_e32 v14, 1, v12
	v_fma_f32 v15, -v13, v12, v11
	v_fma_f32 v16, -v14, v12, v11
	v_cmp_ge_f32_e64 s[8:9], 0, v15
	v_cndmask_b32_e64 v12, v12, v13, s[8:9]
	v_cmp_lt_f32_e64 s[8:9], 0, v16
	v_cndmask_b32_e64 v12, v12, v14, s[8:9]
	v_mul_f32_e32 v13, 0x37800000, v12
	v_cndmask_b32_e32 v12, v12, v13, vcc
	v_cmp_class_f32_e32 vcc, v11, v10
	v_cndmask_b32_e32 v11, v12, v11, vcc
	s_and_b64 vcc, exec, s[2:3]
	ds_write_b32 v4, v11
	s_cbranch_vccnz .LBB135_7
; %bb.9:                                ;   in Loop: Header=BB135_8 Depth=1
	v_lshlrev_b64 v[12:13], 2, v[2:3]
	v_mov_b32_e32 v3, s15
	v_add_co_u32_e32 v12, vcc, s14, v12
	v_addc_co_u32_e32 v13, vcc, v3, v13, vcc
	global_load_dword v3, v[12:13], off
	s_waitcnt vmcnt(0)
	v_add_f32_e32 v3, v11, v3
	ds_write_b32 v4, v3
	s_branch .LBB135_7
.LBB135_10:
	s_or_b64 exec, exec, s[10:11]
	s_cmp_lt_i32 s21, 1
	v_mov_b32_e32 v3, 0
	s_waitcnt lgkmcnt(0)
	s_barrier
	s_cbranch_scc1 .LBB135_19
; %bb.11:
	s_add_u32 s2, s4, 56
	s_addc_u32 s3, s5, 0
	v_mbcnt_lo_u32_b32 v2, -1, 0
	s_cmp_lg_u64 s[14:15], 0
	v_mbcnt_hi_u32_b32 v2, -1, v2
	v_bfrev_b32_e32 v4, 0.5
	s_cselect_b64 s[8:9], -1, 0
	s_mov_b32 s7, 0
	v_mov_b32_e32 v3, 0
	v_lshl_or_b32 v5, v2, 2, v4
	v_mov_b32_e32 v6, 0xff800000
	v_mov_b32_e32 v2, 0
	;; [unrolled: 1-line block ×3, first 2 shown]
	s_branch .LBB135_13
.LBB135_12:                             ;   in Loop: Header=BB135_13 Depth=1
	s_lshl_b32 s11, s10, 2
	s_add_i32 s11, s11, 0
	v_mov_b32_e32 v7, s11
	ds_write_b32 v7, v6
	v_mov_b32_e32 v7, s10
	v_cmp_eq_u32_e32 vcc, s7, v0
	s_add_i32 s7, s7, 1
	v_cndmask_b32_e32 v2, v2, v7, vcc
	v_cndmask_b32_e32 v3, v3, v9, vcc
	s_cmp_eq_u32 s7, s21
	v_add_f32_e32 v4, v4, v9
	s_cbranch_scc1 .LBB135_20
.LBB135_13:                             ; =>This Loop Header: Depth=1
                                        ;     Child Loop BB135_15 Depth 2
	v_mov_b32_e32 v7, s7
	v_mov_b32_e32 v8, 0xff800000
	s_and_saveexec_b64 s[10:11], s[0:1]
	s_cbranch_execz .LBB135_17
; %bb.14:                               ;   in Loop: Header=BB135_13 Depth=1
	s_load_dword s22, s[2:3], 0xc
	s_mov_b64 s[12:13], 0
	v_mov_b32_e32 v7, s7
	v_mov_b32_e32 v8, 0xff800000
	;; [unrolled: 1-line block ×3, first 2 shown]
	s_waitcnt lgkmcnt(0)
	s_and_b32 s22, s22, 0xffff
	s_lshl_b32 s23, s22, 2
	v_mov_b32_e32 v10, v0
.LBB135_15:                             ;   Parent Loop BB135_13 Depth=1
                                        ; =>  This Inner Loop Header: Depth=2
	ds_read_b32 v11, v9
	v_add_u32_e32 v9, s23, v9
	s_waitcnt lgkmcnt(0)
	v_cmp_gt_f32_e32 vcc, v11, v8
	v_cndmask_b32_e32 v7, v7, v10, vcc
	v_add_u32_e32 v10, s22, v10
	v_cndmask_b32_e32 v8, v8, v11, vcc
	v_cmp_le_i32_e32 vcc, s20, v10
	s_or_b64 s[12:13], vcc, s[12:13]
	s_andn2_b64 exec, exec, s[12:13]
	s_cbranch_execnz .LBB135_15
; %bb.16:                               ;   in Loop: Header=BB135_13 Depth=1
	s_or_b64 exec, exec, s[12:13]
.LBB135_17:                             ;   in Loop: Header=BB135_13 Depth=1
	s_or_b64 exec, exec, s[10:11]
	;;#ASMSTART
	v_max_f32 v9, v8, v8 quad_perm:[1,0,3,2] row_mask:0xf bank_mask:0xf bound_ctrl:1
	;;#ASMEND
	;;#ASMSTART
	v_max_f32 v10, v9, v9 quad_perm:[2,3,0,1] row_mask:0xf bank_mask:0xf bound_ctrl:1
	;;#ASMEND
	;;#ASMSTART
	v_max_f32 v9, v10, v10 row_half_mirror row_mask:0xf bank_mask:0xf bound_ctrl:1
	;;#ASMEND
	;;#ASMSTART
	v_max_f32 v10, v9, v9 row_mirror row_mask:0xf bank_mask:0xf bound_ctrl:1
	;;#ASMEND
	;;#ASMSTART
	v_max_f32 v9, v10, v10 row_ror:4 row_mask:0xf bank_mask:0xf bound_ctrl:1
	;;#ASMEND
	;;#ASMSTART
	v_max_f32 v10, v9, v9 row_ror:8 row_mask:0xf bank_mask:0xf bound_ctrl:1
	;;#ASMEND
	;;#ASMSTART
	v_max_f32 v9, v10, v10 row_bcast:15 row_mask:0xf bank_mask:0xf bound_ctrl:1
	;;#ASMEND
	;;#ASMSTART
	v_max_f32 v10, v9, v9 row_bcast:31 row_mask:0xf bank_mask:0xf bound_ctrl:1
	;;#ASMEND
	ds_bpermute_b32 v9, v5, v10
	s_waitcnt lgkmcnt(0)
	v_cmp_eq_f32_e32 vcc, v8, v9
	s_ff1_i32_b64 s10, vcc
	s_cmp_lg_u64 vcc, 0
	s_cselect_b32 s10, s10, 0
	s_and_b64 vcc, exec, s[8:9]
	v_readlane_b32 s10, v7, s10
	s_cbranch_vccz .LBB135_12
; %bb.18:                               ;   in Loop: Header=BB135_13 Depth=1
	s_ashr_i32 s11, s10, 31
	s_lshl_b64 s[12:13], s[10:11], 2
	s_add_u32 s12, s14, s12
	s_addc_u32 s13, s15, s13
	s_load_dword s11, s[12:13], 0x0
	s_waitcnt lgkmcnt(0)
	v_subrev_f32_e32 v9, s11, v9
	s_branch .LBB135_12
.LBB135_19:
	v_mov_b32_e32 v2, 0
	v_mov_b32_e32 v4, 0
.LBB135_20:
	v_cmp_gt_i32_e32 vcc, s21, v0
	s_and_saveexec_b64 s[0:1], vcc
	s_cbranch_execz .LBB135_23
; %bb.21:
	s_load_dword s2, s[4:5], 0x34
	v_max_f32_e32 v1, v4, v4
	v_max_f32_e32 v1, 0x1e3ce508, v1
	s_load_dword s3, s[4:5], 0x44
	s_waitcnt lgkmcnt(0)
	v_div_scale_f32 v4, s[0:1], v1, v1, s2
	s_load_dwordx2 s[0:1], s[4:5], 0x20
	v_rcp_f32_e32 v5, v4
	v_div_scale_f32 v6, vcc, s2, v1, s2
	s_and_b32 s3, s3, 0xffff
	v_fma_f32 v7, -v4, v5, 1.0
	v_fmac_f32_e32 v5, v7, v5
	v_mul_f32_e32 v7, v6, v5
	v_fma_f32 v8, -v4, v7, v6
	v_fmac_f32_e32 v7, v8, v5
	v_fma_f32 v4, -v4, v7, v6
	v_div_fmas_f32 v4, v4, v5, v7
	v_div_fixup_f32 v1, v4, v1, s2
	s_ashr_i32 s2, s6, 31
	s_waitcnt lgkmcnt(0)
	s_mul_i32 s1, s6, s1
	s_mul_hi_u32 s4, s6, s0
	s_add_i32 s1, s4, s1
	s_mul_i32 s2, s2, s0
	s_add_i32 s4, s1, s2
	v_mul_f32_e32 v1, v3, v1
	s_mul_i32 s2, s6, s0
	s_mov_b64 s[0:1], 0
	v_mov_b32_e32 v3, s4
	v_mov_b32_e32 v4, s17
	v_mov_b32_e32 v5, s19
.LBB135_22:                             ; =>This Inner Loop Header: Depth=1
	v_ashrrev_i32_e32 v7, 31, v0
	v_add_co_u32_e32 v6, vcc, s2, v0
	v_addc_co_u32_e32 v7, vcc, v3, v7, vcc
	v_add_u32_e32 v0, s3, v0
	v_cmp_le_i32_e32 vcc, s21, v0
	v_lshlrev_b64 v[6:7], 2, v[6:7]
	s_or_b64 s[0:1], vcc, s[0:1]
	v_add_co_u32_e32 v8, vcc, s16, v6
	v_addc_co_u32_e32 v9, vcc, v4, v7, vcc
	v_add_co_u32_e32 v6, vcc, s18, v6
	v_addc_co_u32_e32 v7, vcc, v5, v7, vcc
	global_store_dword v[8:9], v1, off
	global_store_dword v[6:7], v2, off
	s_andn2_b64 exec, exec, s[0:1]
	s_cbranch_execnz .LBB135_22
.LBB135_23:
	s_endpgm
	.section	.rodata,"a",@progbits
	.p2align	6, 0x0
	.amdhsa_kernel _ZN5aiter20topk_softplus_kernelI6__halffDv1_fLb1ELi0EEEvPKT_PKT0_PfPimiiif
		.amdhsa_group_segment_fixed_size 0
		.amdhsa_private_segment_fixed_size 0
		.amdhsa_kernarg_size 312
		.amdhsa_user_sgpr_count 6
		.amdhsa_user_sgpr_private_segment_buffer 1
		.amdhsa_user_sgpr_dispatch_ptr 0
		.amdhsa_user_sgpr_queue_ptr 0
		.amdhsa_user_sgpr_kernarg_segment_ptr 1
		.amdhsa_user_sgpr_dispatch_id 0
		.amdhsa_user_sgpr_flat_scratch_init 0
		.amdhsa_user_sgpr_kernarg_preload_length 0
		.amdhsa_user_sgpr_kernarg_preload_offset 0
		.amdhsa_user_sgpr_private_segment_size 0
		.amdhsa_uses_dynamic_stack 0
		.amdhsa_system_sgpr_private_segment_wavefront_offset 0
		.amdhsa_system_sgpr_workgroup_id_x 1
		.amdhsa_system_sgpr_workgroup_id_y 0
		.amdhsa_system_sgpr_workgroup_id_z 0
		.amdhsa_system_sgpr_workgroup_info 0
		.amdhsa_system_vgpr_workitem_id 0
		.amdhsa_next_free_vgpr 17
		.amdhsa_next_free_sgpr 32
		.amdhsa_accum_offset 20
		.amdhsa_reserve_vcc 1
		.amdhsa_reserve_flat_scratch 0
		.amdhsa_float_round_mode_32 0
		.amdhsa_float_round_mode_16_64 0
		.amdhsa_float_denorm_mode_32 3
		.amdhsa_float_denorm_mode_16_64 3
		.amdhsa_dx10_clamp 1
		.amdhsa_ieee_mode 1
		.amdhsa_fp16_overflow 0
		.amdhsa_tg_split 0
		.amdhsa_exception_fp_ieee_invalid_op 0
		.amdhsa_exception_fp_denorm_src 0
		.amdhsa_exception_fp_ieee_div_zero 0
		.amdhsa_exception_fp_ieee_overflow 0
		.amdhsa_exception_fp_ieee_underflow 0
		.amdhsa_exception_fp_ieee_inexact 0
		.amdhsa_exception_int_div_zero 0
	.end_amdhsa_kernel
	.section	.text._ZN5aiter20topk_softplus_kernelI6__halffDv1_fLb1ELi0EEEvPKT_PKT0_PfPimiiif,"axG",@progbits,_ZN5aiter20topk_softplus_kernelI6__halffDv1_fLb1ELi0EEEvPKT_PKT0_PfPimiiif,comdat
.Lfunc_end135:
	.size	_ZN5aiter20topk_softplus_kernelI6__halffDv1_fLb1ELi0EEEvPKT_PKT0_PfPimiiif, .Lfunc_end135-_ZN5aiter20topk_softplus_kernelI6__halffDv1_fLb1ELi0EEEvPKT_PKT0_PfPimiiif
                                        ; -- End function
	.section	.AMDGPU.csdata,"",@progbits
; Kernel info:
; codeLenInByte = 1672
; NumSgprs: 36
; NumVgprs: 17
; NumAgprs: 0
; TotalNumVgprs: 17
; ScratchSize: 0
; MemoryBound: 0
; FloatMode: 240
; IeeeMode: 1
; LDSByteSize: 0 bytes/workgroup (compile time only)
; SGPRBlocks: 4
; VGPRBlocks: 2
; NumSGPRsForWavesPerEU: 36
; NumVGPRsForWavesPerEU: 17
; AccumOffset: 20
; Occupancy: 8
; WaveLimiterHint : 0
; COMPUTE_PGM_RSRC2:SCRATCH_EN: 0
; COMPUTE_PGM_RSRC2:USER_SGPR: 6
; COMPUTE_PGM_RSRC2:TRAP_HANDLER: 0
; COMPUTE_PGM_RSRC2:TGID_X_EN: 1
; COMPUTE_PGM_RSRC2:TGID_Y_EN: 0
; COMPUTE_PGM_RSRC2:TGID_Z_EN: 0
; COMPUTE_PGM_RSRC2:TIDIG_COMP_CNT: 0
; COMPUTE_PGM_RSRC3_GFX90A:ACCUM_OFFSET: 4
; COMPUTE_PGM_RSRC3_GFX90A:TG_SPLIT: 0
	.section	.text._ZN5aiter20topk_softplus_kernelI6__halffDv1_fLb0ELi0EEEvPKT_PKT0_PfPimiiif,"axG",@progbits,_ZN5aiter20topk_softplus_kernelI6__halffDv1_fLb0ELi0EEEvPKT_PKT0_PfPimiiif,comdat
	.protected	_ZN5aiter20topk_softplus_kernelI6__halffDv1_fLb0ELi0EEEvPKT_PKT0_PfPimiiif ; -- Begin function _ZN5aiter20topk_softplus_kernelI6__halffDv1_fLb0ELi0EEEvPKT_PKT0_PfPimiiif
	.globl	_ZN5aiter20topk_softplus_kernelI6__halffDv1_fLb0ELi0EEEvPKT_PKT0_PfPimiiif
	.p2align	8
	.type	_ZN5aiter20topk_softplus_kernelI6__halffDv1_fLb0ELi0EEEvPKT_PKT0_PfPimiiif,@function
_ZN5aiter20topk_softplus_kernelI6__halffDv1_fLb0ELi0EEEvPKT_PKT0_PfPimiiif: ; @_ZN5aiter20topk_softplus_kernelI6__halffDv1_fLb0ELi0EEEvPKT_PKT0_PfPimiiif
; %bb.0:
	s_load_dwordx2 s[20:21], s[4:5], 0x28
	s_load_dwordx8 s[12:19], s[4:5], 0x0
	v_lshl_add_u32 v1, v0, 2, 0
	s_waitcnt lgkmcnt(0)
	s_mul_i32 s2, s6, s20
	s_ashr_i32 s3, s2, 31
	s_lshl_b64 s[2:3], s[2:3], 1
	s_add_u32 s7, s12, s2
	v_cmp_gt_i32_e64 s[0:1], s20, v0
	s_addc_u32 s24, s13, s3
	s_and_saveexec_b64 s[12:13], s[0:1]
	s_cbranch_execz .LBB136_5
; %bb.1:
	s_load_dword s8, s[4:5], 0x44
	s_cmp_lg_u64 s[14:15], 0
	s_cselect_b64 s[2:3], -1, 0
	v_cndmask_b32_e64 v2, 0, 1, s[2:3]
	s_mov_b64 s[22:23], 0
	s_waitcnt lgkmcnt(0)
	s_and_b32 s25, s8, 0xffff
	v_lshl_add_u32 v4, v0, 2, 0
	s_lshl_b32 s26, s25, 2
	v_mov_b32_e32 v5, s24
	s_movk_i32 s27, 0x4d00
	s_mov_b32 s28, 0x3fb8aa3b
	s_mov_b32 s29, 0xc2fc0000
	v_mov_b32_e32 v6, 0x42800000
	v_mov_b32_e32 v7, 0x1f800000
	s_mov_b32 s30, 0x800000
	v_mov_b32_e32 v8, 0x4f800000
	v_mov_b32_e32 v9, 0x42000000
	s_mov_b32 s31, 0xf800000
	v_mov_b32_e32 v10, 0x260
	v_cmp_ne_u32_e64 s[2:3], 1, v2
	v_mov_b32_e32 v2, v0
	s_branch .LBB136_3
.LBB136_2:                              ;   in Loop: Header=BB136_3 Depth=1
	v_add_u32_e32 v2, s25, v2
	v_cmp_le_i32_e32 vcc, s20, v2
	ds_write_b32 v4, v11
	s_or_b64 s[22:23], vcc, s[22:23]
	v_add_u32_e32 v4, s26, v4
	s_andn2_b64 exec, exec, s[22:23]
	s_cbranch_execz .LBB136_5
.LBB136_3:                              ; =>This Inner Loop Header: Depth=1
	v_ashrrev_i32_e32 v3, 31, v2
	v_lshlrev_b64 v[12:13], 1, v[2:3]
	v_add_co_u32_e32 v12, vcc, s7, v12
	v_addc_co_u32_e32 v13, vcc, v5, v13, vcc
	global_load_ushort v11, v[12:13], off
	s_waitcnt vmcnt(0)
	v_cvt_f32_f16_e32 v12, v11
	v_mul_f32_e32 v13, 0x3fb8aa3b, v12
	v_cmp_gt_f32_e32 vcc, s29, v13
	v_cndmask_b32_e32 v13, 0, v6, vcc
	v_fma_mix_f32 v13, v11, s28, v13 op_sel_hi:[1,0,0]
	v_exp_f32_e32 v13, v13
	v_cndmask_b32_e32 v14, 1.0, v7, vcc
	v_fma_f32 v13, v13, v14, 1.0
	v_cmp_gt_f32_e32 vcc, s30, v13
	v_cndmask_b32_e32 v14, 1.0, v8, vcc
	v_mul_f32_e32 v13, v13, v14
	v_log_f32_e32 v13, v13
	v_cndmask_b32_e32 v14, 0, v9, vcc
	v_cmp_lt_f16_e32 vcc, s27, v11
	v_sub_f32_e32 v13, v13, v14
	v_mul_f32_e32 v13, 0x3f317218, v13
	v_cndmask_b32_e32 v11, v13, v12, vcc
	v_mul_f32_e32 v12, 0x4f800000, v11
	v_cmp_gt_f32_e64 s[8:9], s31, v11
	v_cndmask_b32_e64 v11, v11, v12, s[8:9]
	v_sqrt_f32_e32 v12, v11
	s_and_b64 vcc, exec, s[2:3]
	v_add_u32_e32 v13, -1, v12
	v_add_u32_e32 v14, 1, v12
	v_fma_f32 v15, -v13, v12, v11
	v_fma_f32 v16, -v14, v12, v11
	v_cmp_ge_f32_e64 s[10:11], 0, v15
	v_cndmask_b32_e64 v12, v12, v13, s[10:11]
	v_cmp_lt_f32_e64 s[10:11], 0, v16
	v_cndmask_b32_e64 v12, v12, v14, s[10:11]
	v_mul_f32_e32 v13, 0x37800000, v12
	v_cndmask_b32_e64 v12, v12, v13, s[8:9]
	v_cmp_class_f32_e64 s[8:9], v11, v10
	v_cndmask_b32_e64 v11, v12, v11, s[8:9]
	s_cbranch_vccnz .LBB136_2
; %bb.4:                                ;   in Loop: Header=BB136_3 Depth=1
	v_lshlrev_b64 v[12:13], 2, v[2:3]
	v_mov_b32_e32 v3, s15
	v_add_co_u32_e32 v12, vcc, s14, v12
	v_addc_co_u32_e32 v13, vcc, v3, v13, vcc
	global_load_dword v3, v[12:13], off
	s_waitcnt vmcnt(0)
	v_add_f32_e32 v11, v11, v3
	s_branch .LBB136_2
.LBB136_5:
	s_or_b64 exec, exec, s[12:13]
	v_add_u32_e32 v2, s20, v0
	v_cmp_gt_i32_e32 vcc, s20, v2
	s_and_saveexec_b64 s[10:11], vcc
	s_cbranch_execz .LBB136_10
; %bb.6:
	s_load_dword s8, s[4:5], 0x44
	s_cmp_lg_u64 s[14:15], 0
	s_cselect_b64 s[2:3], -1, 0
	v_cndmask_b32_e64 v3, 0, 1, s[2:3]
	s_mov_b64 s[12:13], 0
	s_waitcnt lgkmcnt(0)
	s_and_b32 s22, s8, 0xffff
	v_lshl_add_u32 v4, v2, 2, 0
	s_lshl_b32 s23, s22, 2
	v_mov_b32_e32 v5, s24
	s_movk_i32 s24, 0x4d00
	s_mov_b32 s25, 0x3fb8aa3b
	s_mov_b32 s26, 0xc2fc0000
	v_mov_b32_e32 v6, 0x42800000
	v_mov_b32_e32 v7, 0x1f800000
	s_mov_b32 s27, 0x800000
	v_mov_b32_e32 v8, 0x4f800000
	v_mov_b32_e32 v9, 0x42000000
	s_mov_b32 s28, 0xf800000
	v_mov_b32_e32 v10, 0x260
	v_cmp_ne_u32_e64 s[2:3], 1, v3
	s_branch .LBB136_8
.LBB136_7:                              ;   in Loop: Header=BB136_8 Depth=1
	v_add_u32_e32 v2, s22, v2
	v_cmp_le_i32_e32 vcc, s20, v2
	s_or_b64 s[12:13], vcc, s[12:13]
	v_add_u32_e32 v4, s23, v4
	s_andn2_b64 exec, exec, s[12:13]
	s_cbranch_execz .LBB136_10
.LBB136_8:                              ; =>This Inner Loop Header: Depth=1
	v_ashrrev_i32_e32 v3, 31, v2
	v_lshlrev_b64 v[12:13], 1, v[2:3]
	v_add_co_u32_e32 v12, vcc, s7, v12
	v_addc_co_u32_e32 v13, vcc, v5, v13, vcc
	global_load_ushort v11, v[12:13], off
	s_waitcnt vmcnt(0)
	v_cvt_f32_f16_e32 v12, v11
	v_mul_f32_e32 v13, 0x3fb8aa3b, v12
	v_cmp_gt_f32_e32 vcc, s26, v13
	v_cndmask_b32_e32 v13, 0, v6, vcc
	v_fma_mix_f32 v13, v11, s25, v13 op_sel_hi:[1,0,0]
	v_exp_f32_e32 v13, v13
	v_cndmask_b32_e32 v14, 1.0, v7, vcc
	v_fma_f32 v13, v13, v14, 1.0
	v_cmp_gt_f32_e32 vcc, s27, v13
	v_cndmask_b32_e32 v14, 1.0, v8, vcc
	v_mul_f32_e32 v13, v13, v14
	v_log_f32_e32 v13, v13
	v_cndmask_b32_e32 v14, 0, v9, vcc
	v_cmp_lt_f16_e32 vcc, s24, v11
	v_sub_f32_e32 v13, v13, v14
	v_mul_f32_e32 v13, 0x3f317218, v13
	v_cndmask_b32_e32 v11, v13, v12, vcc
	v_mul_f32_e32 v12, 0x4f800000, v11
	v_cmp_gt_f32_e32 vcc, s28, v11
	v_cndmask_b32_e32 v11, v11, v12, vcc
	v_sqrt_f32_e32 v12, v11
	v_add_u32_e32 v13, -1, v12
	v_add_u32_e32 v14, 1, v12
	v_fma_f32 v15, -v13, v12, v11
	v_fma_f32 v16, -v14, v12, v11
	v_cmp_ge_f32_e64 s[8:9], 0, v15
	v_cndmask_b32_e64 v12, v12, v13, s[8:9]
	v_cmp_lt_f32_e64 s[8:9], 0, v16
	v_cndmask_b32_e64 v12, v12, v14, s[8:9]
	v_mul_f32_e32 v13, 0x37800000, v12
	v_cndmask_b32_e32 v12, v12, v13, vcc
	v_cmp_class_f32_e32 vcc, v11, v10
	v_cndmask_b32_e32 v11, v12, v11, vcc
	s_and_b64 vcc, exec, s[2:3]
	ds_write_b32 v4, v11
	s_cbranch_vccnz .LBB136_7
; %bb.9:                                ;   in Loop: Header=BB136_8 Depth=1
	v_lshlrev_b64 v[12:13], 2, v[2:3]
	v_mov_b32_e32 v3, s15
	v_add_co_u32_e32 v12, vcc, s14, v12
	v_addc_co_u32_e32 v13, vcc, v3, v13, vcc
	global_load_dword v3, v[12:13], off
	s_waitcnt vmcnt(0)
	v_add_f32_e32 v3, v11, v3
	ds_write_b32 v4, v3
	s_branch .LBB136_7
.LBB136_10:
	s_or_b64 exec, exec, s[10:11]
	s_cmp_lt_i32 s21, 1
	s_waitcnt lgkmcnt(0)
	s_barrier
	s_cbranch_scc1 .LBB136_19
; %bb.11:
	s_add_u32 s2, s4, 56
	s_addc_u32 s3, s5, 0
	v_mbcnt_lo_u32_b32 v4, -1, 0
	s_cmp_lg_u64 s[14:15], 0
	v_mbcnt_hi_u32_b32 v4, -1, v4
	v_bfrev_b32_e32 v5, 0.5
	s_cselect_b64 s[8:9], -1, 0
	s_mov_b32 s7, 0
	v_mov_b32_e32 v2, 0
	v_mov_b32_e32 v3, 0
	v_lshl_or_b32 v4, v4, 2, v5
	v_mov_b32_e32 v5, 0xff800000
	s_branch .LBB136_13
.LBB136_12:                             ;   in Loop: Header=BB136_13 Depth=1
	s_lshl_b32 s11, s10, 2
	s_add_i32 s11, s11, 0
	v_mov_b32_e32 v6, s11
	ds_write_b32 v6, v5
	v_mov_b32_e32 v6, s10
	v_cmp_eq_u32_e32 vcc, s7, v0
	s_add_i32 s7, s7, 1
	v_cndmask_b32_e32 v2, v2, v6, vcc
	s_cmp_eq_u32 s7, s21
	v_cndmask_b32_e32 v3, v3, v8, vcc
	s_cbranch_scc1 .LBB136_20
.LBB136_13:                             ; =>This Loop Header: Depth=1
                                        ;     Child Loop BB136_15 Depth 2
	v_mov_b32_e32 v6, s7
	v_mov_b32_e32 v7, 0xff800000
	s_and_saveexec_b64 s[10:11], s[0:1]
	s_cbranch_execz .LBB136_17
; %bb.14:                               ;   in Loop: Header=BB136_13 Depth=1
	s_load_dword s22, s[2:3], 0xc
	s_mov_b64 s[12:13], 0
	v_mov_b32_e32 v6, s7
	v_mov_b32_e32 v7, 0xff800000
	;; [unrolled: 1-line block ×3, first 2 shown]
	s_waitcnt lgkmcnt(0)
	s_and_b32 s22, s22, 0xffff
	s_lshl_b32 s23, s22, 2
	v_mov_b32_e32 v9, v0
.LBB136_15:                             ;   Parent Loop BB136_13 Depth=1
                                        ; =>  This Inner Loop Header: Depth=2
	ds_read_b32 v10, v8
	v_add_u32_e32 v8, s23, v8
	s_waitcnt lgkmcnt(0)
	v_cmp_gt_f32_e32 vcc, v10, v7
	v_cndmask_b32_e32 v6, v6, v9, vcc
	v_add_u32_e32 v9, s22, v9
	v_cndmask_b32_e32 v7, v7, v10, vcc
	v_cmp_le_i32_e32 vcc, s20, v9
	s_or_b64 s[12:13], vcc, s[12:13]
	s_andn2_b64 exec, exec, s[12:13]
	s_cbranch_execnz .LBB136_15
; %bb.16:                               ;   in Loop: Header=BB136_13 Depth=1
	s_or_b64 exec, exec, s[12:13]
.LBB136_17:                             ;   in Loop: Header=BB136_13 Depth=1
	s_or_b64 exec, exec, s[10:11]
	;;#ASMSTART
	v_max_f32 v8, v7, v7 quad_perm:[1,0,3,2] row_mask:0xf bank_mask:0xf bound_ctrl:1
	;;#ASMEND
	;;#ASMSTART
	v_max_f32 v9, v8, v8 quad_perm:[2,3,0,1] row_mask:0xf bank_mask:0xf bound_ctrl:1
	;;#ASMEND
	;;#ASMSTART
	v_max_f32 v8, v9, v9 row_half_mirror row_mask:0xf bank_mask:0xf bound_ctrl:1
	;;#ASMEND
	;;#ASMSTART
	v_max_f32 v9, v8, v8 row_mirror row_mask:0xf bank_mask:0xf bound_ctrl:1
	;;#ASMEND
	;;#ASMSTART
	v_max_f32 v8, v9, v9 row_ror:4 row_mask:0xf bank_mask:0xf bound_ctrl:1
	;;#ASMEND
	;;#ASMSTART
	v_max_f32 v9, v8, v8 row_ror:8 row_mask:0xf bank_mask:0xf bound_ctrl:1
	;;#ASMEND
	;;#ASMSTART
	v_max_f32 v8, v9, v9 row_bcast:15 row_mask:0xf bank_mask:0xf bound_ctrl:1
	;;#ASMEND
	;;#ASMSTART
	v_max_f32 v9, v8, v8 row_bcast:31 row_mask:0xf bank_mask:0xf bound_ctrl:1
	;;#ASMEND
	ds_bpermute_b32 v8, v4, v9
	s_waitcnt lgkmcnt(0)
	v_cmp_eq_f32_e32 vcc, v7, v8
	s_ff1_i32_b64 s10, vcc
	s_cmp_lg_u64 vcc, 0
	s_cselect_b32 s10, s10, 0
	s_and_b64 vcc, exec, s[8:9]
	v_readlane_b32 s10, v6, s10
	s_cbranch_vccz .LBB136_12
; %bb.18:                               ;   in Loop: Header=BB136_13 Depth=1
	s_ashr_i32 s11, s10, 31
	s_lshl_b64 s[12:13], s[10:11], 2
	s_add_u32 s12, s14, s12
	s_addc_u32 s13, s15, s13
	s_load_dword s11, s[12:13], 0x0
	s_waitcnt lgkmcnt(0)
	v_subrev_f32_e32 v8, s11, v8
	s_branch .LBB136_12
.LBB136_19:
	v_mov_b32_e32 v3, 0
	v_mov_b32_e32 v2, 0
.LBB136_20:
	v_cmp_gt_i32_e32 vcc, s21, v0
	s_and_saveexec_b64 s[0:1], vcc
	s_cbranch_execz .LBB136_23
; %bb.21:
	s_load_dword s2, s[4:5], 0x34
	s_load_dwordx2 s[0:1], s[4:5], 0x20
	s_ashr_i32 s3, s6, 31
	s_load_dword s4, s[4:5], 0x44
	v_mov_b32_e32 v4, s17
	s_waitcnt lgkmcnt(0)
	v_mul_f32_e32 v1, s2, v3
	s_mul_i32 s1, s6, s1
	s_mul_hi_u32 s2, s6, s0
	s_add_i32 s1, s2, s1
	s_mul_i32 s3, s3, s0
	s_add_i32 s5, s1, s3
	s_mul_i32 s2, s6, s0
	s_and_b32 s3, s4, 0xffff
	s_mov_b64 s[0:1], 0
	v_mov_b32_e32 v3, s5
	v_mov_b32_e32 v5, s19
.LBB136_22:                             ; =>This Inner Loop Header: Depth=1
	v_ashrrev_i32_e32 v7, 31, v0
	v_add_co_u32_e32 v6, vcc, s2, v0
	v_addc_co_u32_e32 v7, vcc, v3, v7, vcc
	v_add_u32_e32 v0, s3, v0
	v_cmp_le_i32_e32 vcc, s21, v0
	v_lshlrev_b64 v[6:7], 2, v[6:7]
	s_or_b64 s[0:1], vcc, s[0:1]
	v_add_co_u32_e32 v8, vcc, s16, v6
	v_addc_co_u32_e32 v9, vcc, v4, v7, vcc
	v_add_co_u32_e32 v6, vcc, s18, v6
	v_addc_co_u32_e32 v7, vcc, v5, v7, vcc
	global_store_dword v[8:9], v1, off
	global_store_dword v[6:7], v2, off
	s_andn2_b64 exec, exec, s[0:1]
	s_cbranch_execnz .LBB136_22
.LBB136_23:
	s_endpgm
	.section	.rodata,"a",@progbits
	.p2align	6, 0x0
	.amdhsa_kernel _ZN5aiter20topk_softplus_kernelI6__halffDv1_fLb0ELi0EEEvPKT_PKT0_PfPimiiif
		.amdhsa_group_segment_fixed_size 0
		.amdhsa_private_segment_fixed_size 0
		.amdhsa_kernarg_size 312
		.amdhsa_user_sgpr_count 6
		.amdhsa_user_sgpr_private_segment_buffer 1
		.amdhsa_user_sgpr_dispatch_ptr 0
		.amdhsa_user_sgpr_queue_ptr 0
		.amdhsa_user_sgpr_kernarg_segment_ptr 1
		.amdhsa_user_sgpr_dispatch_id 0
		.amdhsa_user_sgpr_flat_scratch_init 0
		.amdhsa_user_sgpr_kernarg_preload_length 0
		.amdhsa_user_sgpr_kernarg_preload_offset 0
		.amdhsa_user_sgpr_private_segment_size 0
		.amdhsa_uses_dynamic_stack 0
		.amdhsa_system_sgpr_private_segment_wavefront_offset 0
		.amdhsa_system_sgpr_workgroup_id_x 1
		.amdhsa_system_sgpr_workgroup_id_y 0
		.amdhsa_system_sgpr_workgroup_id_z 0
		.amdhsa_system_sgpr_workgroup_info 0
		.amdhsa_system_vgpr_workitem_id 0
		.amdhsa_next_free_vgpr 17
		.amdhsa_next_free_sgpr 32
		.amdhsa_accum_offset 20
		.amdhsa_reserve_vcc 1
		.amdhsa_reserve_flat_scratch 0
		.amdhsa_float_round_mode_32 0
		.amdhsa_float_round_mode_16_64 0
		.amdhsa_float_denorm_mode_32 3
		.amdhsa_float_denorm_mode_16_64 3
		.amdhsa_dx10_clamp 1
		.amdhsa_ieee_mode 1
		.amdhsa_fp16_overflow 0
		.amdhsa_tg_split 0
		.amdhsa_exception_fp_ieee_invalid_op 0
		.amdhsa_exception_fp_denorm_src 0
		.amdhsa_exception_fp_ieee_div_zero 0
		.amdhsa_exception_fp_ieee_overflow 0
		.amdhsa_exception_fp_ieee_underflow 0
		.amdhsa_exception_fp_ieee_inexact 0
		.amdhsa_exception_int_div_zero 0
	.end_amdhsa_kernel
	.section	.text._ZN5aiter20topk_softplus_kernelI6__halffDv1_fLb0ELi0EEEvPKT_PKT0_PfPimiiif,"axG",@progbits,_ZN5aiter20topk_softplus_kernelI6__halffDv1_fLb0ELi0EEEvPKT_PKT0_PfPimiiif,comdat
.Lfunc_end136:
	.size	_ZN5aiter20topk_softplus_kernelI6__halffDv1_fLb0ELi0EEEvPKT_PKT0_PfPimiiif, .Lfunc_end136-_ZN5aiter20topk_softplus_kernelI6__halffDv1_fLb0ELi0EEEvPKT_PKT0_PfPimiiif
                                        ; -- End function
	.section	.AMDGPU.csdata,"",@progbits
; Kernel info:
; codeLenInByte = 1572
; NumSgprs: 36
; NumVgprs: 17
; NumAgprs: 0
; TotalNumVgprs: 17
; ScratchSize: 0
; MemoryBound: 0
; FloatMode: 240
; IeeeMode: 1
; LDSByteSize: 0 bytes/workgroup (compile time only)
; SGPRBlocks: 4
; VGPRBlocks: 2
; NumSGPRsForWavesPerEU: 36
; NumVGPRsForWavesPerEU: 17
; AccumOffset: 20
; Occupancy: 8
; WaveLimiterHint : 0
; COMPUTE_PGM_RSRC2:SCRATCH_EN: 0
; COMPUTE_PGM_RSRC2:USER_SGPR: 6
; COMPUTE_PGM_RSRC2:TRAP_HANDLER: 0
; COMPUTE_PGM_RSRC2:TGID_X_EN: 1
; COMPUTE_PGM_RSRC2:TGID_Y_EN: 0
; COMPUTE_PGM_RSRC2:TGID_Z_EN: 0
; COMPUTE_PGM_RSRC2:TIDIG_COMP_CNT: 0
; COMPUTE_PGM_RSRC3_GFX90A:ACCUM_OFFSET: 4
; COMPUTE_PGM_RSRC3_GFX90A:TG_SPLIT: 0
	.section	.text._ZN5aiter24topk_softplus_kernel_optI6__halfS1_Li64ELb1ELi1EEEvPKT_PKT0_PfPimiif,"axG",@progbits,_ZN5aiter24topk_softplus_kernel_optI6__halfS1_Li64ELb1ELi1EEEvPKT_PKT0_PfPimiif,comdat
	.protected	_ZN5aiter24topk_softplus_kernel_optI6__halfS1_Li64ELb1ELi1EEEvPKT_PKT0_PfPimiif ; -- Begin function _ZN5aiter24topk_softplus_kernel_optI6__halfS1_Li64ELb1ELi1EEEvPKT_PKT0_PfPimiif
	.globl	_ZN5aiter24topk_softplus_kernel_optI6__halfS1_Li64ELb1ELi1EEEvPKT_PKT0_PfPimiif
	.p2align	8
	.type	_ZN5aiter24topk_softplus_kernel_optI6__halfS1_Li64ELb1ELi1EEEvPKT_PKT0_PfPimiif,@function
_ZN5aiter24topk_softplus_kernel_optI6__halfS1_Li64ELb1ELi1EEEvPKT_PKT0_PfPimiif: ; @_ZN5aiter24topk_softplus_kernel_optI6__halfS1_Li64ELb1ELi1EEEvPKT_PKT0_PfPimiif
; %bb.0:
	s_load_dwordx4 s[0:3], s[4:5], 0x0
	s_lshl_b32 s8, s6, 6
	s_ashr_i32 s9, s8, 31
	s_lshl_b64 s[8:9], s[8:9], 1
	v_lshlrev_b32_e32 v2, 1, v0
	s_waitcnt lgkmcnt(0)
	s_add_u32 s0, s0, s8
	s_addc_u32 s1, s1, s9
	global_load_ushort v1, v2, s[0:1]
	s_mov_b32 s1, 0xc2fc0000
	v_mov_b32_e32 v4, 0x42800000
	s_mov_b32 s0, 0xbfb8aa3b
	s_cmp_eq_u64 s[2:3], 0
	s_waitcnt vmcnt(0)
	v_cvt_f32_f16_e32 v3, v1
	v_mul_f32_e32 v3, 0xbfb8aa3b, v3
	v_cmp_gt_f32_e32 vcc, s1, v3
	v_cndmask_b32_e32 v3, 0, v4, vcc
	v_fma_mix_f32 v1, v1, s0, v3 op_sel_hi:[1,0,0]
	v_exp_f32_e32 v1, v1
	v_mov_b32_e32 v3, 0x1f800000
	v_cndmask_b32_e32 v3, 1.0, v3, vcc
	v_fma_f32 v1, v1, v3, 1.0
	v_rcp_f32_e32 v3, v1
	v_mov_b32_e32 v1, 0
	v_mov_b32_e32 v4, v3
	s_cbranch_scc1 .LBB137_2
; %bb.1:
	global_load_ushort v2, v2, s[2:3]
	s_waitcnt vmcnt(0)
	v_cvt_f32_f16_e32 v2, v2
	v_add_f32_e32 v4, v3, v2
.LBB137_2:
	s_load_dword s2, s[4:5], 0x28
	s_load_dwordx4 s[8:11], s[4:5], 0x10
	s_mov_b32 s3, 0
	v_mov_b32_e32 v5, 0
	v_mov_b32_e32 v2, 0
	s_waitcnt lgkmcnt(0)
	s_cmp_lt_i32 s2, 1
	s_cbranch_scc1 .LBB137_5
; %bb.3:
	v_mbcnt_lo_u32_b32 v1, -1, 0
	v_mbcnt_hi_u32_b32 v1, -1, v1
	v_bfrev_b32_e32 v2, 0.5
	v_mov_b32_e32 v6, 0
	v_mov_b32_e32 v7, 0xff800000
	v_lshl_or_b32 v8, v1, 2, v2
	v_mov_b32_e32 v5, 0
	v_mov_b32_e32 v1, 0
	;; [unrolled: 1-line block ×3, first 2 shown]
.LBB137_4:                              ; =>This Inner Loop Header: Depth=1
	v_cmp_eq_u32_e32 vcc, 0, v6
	v_cndmask_b32_e32 v9, v7, v4, vcc
	;;#ASMSTART
	v_max_f32 v11, v9, v9 quad_perm:[1,0,3,2] row_mask:0xf bank_mask:0xf bound_ctrl:1
	;;#ASMEND
	;;#ASMSTART
	v_max_f32 v12, v11, v11 quad_perm:[2,3,0,1] row_mask:0xf bank_mask:0xf bound_ctrl:1
	;;#ASMEND
	;;#ASMSTART
	v_max_f32 v11, v12, v12 row_half_mirror row_mask:0xf bank_mask:0xf bound_ctrl:1
	;;#ASMEND
	;;#ASMSTART
	v_max_f32 v12, v11, v11 row_mirror row_mask:0xf bank_mask:0xf bound_ctrl:1
	;;#ASMEND
	;;#ASMSTART
	v_max_f32 v11, v12, v12 row_ror:4 row_mask:0xf bank_mask:0xf bound_ctrl:1
	;;#ASMEND
	;;#ASMSTART
	v_max_f32 v12, v11, v11 row_ror:8 row_mask:0xf bank_mask:0xf bound_ctrl:1
	;;#ASMEND
	;;#ASMSTART
	v_max_f32 v11, v12, v12 row_bcast:15 row_mask:0xf bank_mask:0xf bound_ctrl:1
	;;#ASMEND
	;;#ASMSTART
	v_max_f32 v12, v11, v11 row_bcast:31 row_mask:0xf bank_mask:0xf bound_ctrl:1
	;;#ASMEND
	ds_bpermute_b32 v11, v8, v12
	v_cndmask_b32_e32 v10, 0, v0, vcc
	s_waitcnt lgkmcnt(0)
	v_cmp_eq_f32_e64 s[0:1], v9, v11
	s_ff1_i32_b64 s7, s[0:1]
	s_cmp_lg_u64 s[0:1], 0
	s_cselect_b32 s0, s7, 0
	s_nop 0
	v_readlane_b32 s7, v10, s0
	v_cmp_eq_u32_e64 s[0:1], s7, v0
	s_and_b64 vcc, vcc, s[0:1]
	s_and_b32 s12, s7, 63
	v_cndmask_b32_e32 v10, 0, v3, vcc
	v_addc_co_u32_e32 v6, vcc, 0, v6, vcc
	v_readlane_b32 s0, v10, s12
	v_mov_b32_e32 v9, s7
	v_mov_b32_e32 v10, s0
	v_cmp_eq_u32_e32 vcc, s3, v0
	s_add_i32 s3, s3, 1
	v_add_f32_e32 v5, s0, v5
	v_cndmask_b32_e32 v2, v2, v10, vcc
	s_cmp_eq_u32 s2, s3
	v_cndmask_b32_e32 v1, v1, v9, vcc
	s_cbranch_scc0 .LBB137_4
.LBB137_5:
	v_cmp_gt_i32_e32 vcc, s2, v0
	s_and_saveexec_b64 s[0:1], vcc
	s_cbranch_execz .LBB137_7
; %bb.6:
	s_load_dword s2, s[4:5], 0x30
	v_max_f32_e32 v3, v5, v5
	v_max_f32_e32 v3, 0x1e3ce508, v3
	v_lshlrev_b32_e32 v0, 2, v0
	s_waitcnt lgkmcnt(0)
	v_div_scale_f32 v4, s[0:1], v3, v3, s2
	v_rcp_f32_e32 v5, v4
	v_div_scale_f32 v6, vcc, s2, v3, s2
	s_load_dwordx2 s[0:1], s[4:5], 0x20
	v_fma_f32 v7, -v4, v5, 1.0
	v_fmac_f32_e32 v5, v7, v5
	v_mul_f32_e32 v7, v6, v5
	v_fma_f32 v8, -v4, v7, v6
	v_fmac_f32_e32 v7, v8, v5
	v_fma_f32 v4, -v4, v7, v6
	v_div_fmas_f32 v4, v4, v5, v7
	v_div_fixup_f32 v3, v4, v3, s2
	s_ashr_i32 s2, s6, 31
	s_waitcnt lgkmcnt(0)
	s_mul_i32 s1, s6, s1
	s_mul_hi_u32 s3, s6, s0
	s_add_i32 s1, s3, s1
	s_mul_i32 s2, s2, s0
	s_add_i32 s1, s1, s2
	s_mul_i32 s0, s6, s0
	s_lshl_b64 s[0:1], s[0:1], 2
	s_add_u32 s2, s8, s0
	s_addc_u32 s3, s9, s1
	s_add_u32 s0, s10, s0
	v_mul_f32_e32 v2, v2, v3
	s_addc_u32 s1, s11, s1
	global_store_dword v0, v2, s[2:3]
	global_store_dword v0, v1, s[0:1]
.LBB137_7:
	s_endpgm
	.section	.rodata,"a",@progbits
	.p2align	6, 0x0
	.amdhsa_kernel _ZN5aiter24topk_softplus_kernel_optI6__halfS1_Li64ELb1ELi1EEEvPKT_PKT0_PfPimiif
		.amdhsa_group_segment_fixed_size 0
		.amdhsa_private_segment_fixed_size 0
		.amdhsa_kernarg_size 52
		.amdhsa_user_sgpr_count 6
		.amdhsa_user_sgpr_private_segment_buffer 1
		.amdhsa_user_sgpr_dispatch_ptr 0
		.amdhsa_user_sgpr_queue_ptr 0
		.amdhsa_user_sgpr_kernarg_segment_ptr 1
		.amdhsa_user_sgpr_dispatch_id 0
		.amdhsa_user_sgpr_flat_scratch_init 0
		.amdhsa_user_sgpr_kernarg_preload_length 0
		.amdhsa_user_sgpr_kernarg_preload_offset 0
		.amdhsa_user_sgpr_private_segment_size 0
		.amdhsa_uses_dynamic_stack 0
		.amdhsa_system_sgpr_private_segment_wavefront_offset 0
		.amdhsa_system_sgpr_workgroup_id_x 1
		.amdhsa_system_sgpr_workgroup_id_y 0
		.amdhsa_system_sgpr_workgroup_id_z 0
		.amdhsa_system_sgpr_workgroup_info 0
		.amdhsa_system_vgpr_workitem_id 0
		.amdhsa_next_free_vgpr 13
		.amdhsa_next_free_sgpr 13
		.amdhsa_accum_offset 16
		.amdhsa_reserve_vcc 1
		.amdhsa_reserve_flat_scratch 0
		.amdhsa_float_round_mode_32 0
		.amdhsa_float_round_mode_16_64 0
		.amdhsa_float_denorm_mode_32 3
		.amdhsa_float_denorm_mode_16_64 3
		.amdhsa_dx10_clamp 1
		.amdhsa_ieee_mode 1
		.amdhsa_fp16_overflow 0
		.amdhsa_tg_split 0
		.amdhsa_exception_fp_ieee_invalid_op 0
		.amdhsa_exception_fp_denorm_src 0
		.amdhsa_exception_fp_ieee_div_zero 0
		.amdhsa_exception_fp_ieee_overflow 0
		.amdhsa_exception_fp_ieee_underflow 0
		.amdhsa_exception_fp_ieee_inexact 0
		.amdhsa_exception_int_div_zero 0
	.end_amdhsa_kernel
	.section	.text._ZN5aiter24topk_softplus_kernel_optI6__halfS1_Li64ELb1ELi1EEEvPKT_PKT0_PfPimiif,"axG",@progbits,_ZN5aiter24topk_softplus_kernel_optI6__halfS1_Li64ELb1ELi1EEEvPKT_PKT0_PfPimiif,comdat
.Lfunc_end137:
	.size	_ZN5aiter24topk_softplus_kernel_optI6__halfS1_Li64ELb1ELi1EEEvPKT_PKT0_PfPimiif, .Lfunc_end137-_ZN5aiter24topk_softplus_kernel_optI6__halfS1_Li64ELb1ELi1EEEvPKT_PKT0_PfPimiif
                                        ; -- End function
	.section	.AMDGPU.csdata,"",@progbits
; Kernel info:
; codeLenInByte = 640
; NumSgprs: 17
; NumVgprs: 13
; NumAgprs: 0
; TotalNumVgprs: 13
; ScratchSize: 0
; MemoryBound: 0
; FloatMode: 240
; IeeeMode: 1
; LDSByteSize: 0 bytes/workgroup (compile time only)
; SGPRBlocks: 2
; VGPRBlocks: 1
; NumSGPRsForWavesPerEU: 17
; NumVGPRsForWavesPerEU: 13
; AccumOffset: 16
; Occupancy: 8
; WaveLimiterHint : 0
; COMPUTE_PGM_RSRC2:SCRATCH_EN: 0
; COMPUTE_PGM_RSRC2:USER_SGPR: 6
; COMPUTE_PGM_RSRC2:TRAP_HANDLER: 0
; COMPUTE_PGM_RSRC2:TGID_X_EN: 1
; COMPUTE_PGM_RSRC2:TGID_Y_EN: 0
; COMPUTE_PGM_RSRC2:TGID_Z_EN: 0
; COMPUTE_PGM_RSRC2:TIDIG_COMP_CNT: 0
; COMPUTE_PGM_RSRC3_GFX90A:ACCUM_OFFSET: 3
; COMPUTE_PGM_RSRC3_GFX90A:TG_SPLIT: 0
	.section	.text._ZN5aiter24topk_softplus_kernel_optI6__halfS1_Li64ELb0ELi1EEEvPKT_PKT0_PfPimiif,"axG",@progbits,_ZN5aiter24topk_softplus_kernel_optI6__halfS1_Li64ELb0ELi1EEEvPKT_PKT0_PfPimiif,comdat
	.protected	_ZN5aiter24topk_softplus_kernel_optI6__halfS1_Li64ELb0ELi1EEEvPKT_PKT0_PfPimiif ; -- Begin function _ZN5aiter24topk_softplus_kernel_optI6__halfS1_Li64ELb0ELi1EEEvPKT_PKT0_PfPimiif
	.globl	_ZN5aiter24topk_softplus_kernel_optI6__halfS1_Li64ELb0ELi1EEEvPKT_PKT0_PfPimiif
	.p2align	8
	.type	_ZN5aiter24topk_softplus_kernel_optI6__halfS1_Li64ELb0ELi1EEEvPKT_PKT0_PfPimiif,@function
_ZN5aiter24topk_softplus_kernel_optI6__halfS1_Li64ELb0ELi1EEEvPKT_PKT0_PfPimiif: ; @_ZN5aiter24topk_softplus_kernel_optI6__halfS1_Li64ELb0ELi1EEEvPKT_PKT0_PfPimiif
; %bb.0:
	s_load_dwordx4 s[0:3], s[4:5], 0x0
	s_lshl_b32 s8, s6, 6
	s_ashr_i32 s9, s8, 31
	s_lshl_b64 s[8:9], s[8:9], 1
	v_lshlrev_b32_e32 v2, 1, v0
	s_waitcnt lgkmcnt(0)
	s_add_u32 s0, s0, s8
	s_addc_u32 s1, s1, s9
	global_load_ushort v1, v2, s[0:1]
	s_mov_b32 s1, 0xc2fc0000
	v_mov_b32_e32 v4, 0x42800000
	s_mov_b32 s0, 0xbfb8aa3b
	s_cmp_eq_u64 s[2:3], 0
	s_waitcnt vmcnt(0)
	v_cvt_f32_f16_e32 v3, v1
	v_mul_f32_e32 v3, 0xbfb8aa3b, v3
	v_cmp_gt_f32_e32 vcc, s1, v3
	v_cndmask_b32_e32 v3, 0, v4, vcc
	v_fma_mix_f32 v1, v1, s0, v3 op_sel_hi:[1,0,0]
	v_exp_f32_e32 v1, v1
	v_mov_b32_e32 v3, 0x1f800000
	v_cndmask_b32_e32 v3, 1.0, v3, vcc
	v_fma_f32 v1, v1, v3, 1.0
	v_rcp_f32_e32 v3, v1
	v_mov_b32_e32 v1, 0
	v_mov_b32_e32 v4, v3
	s_cbranch_scc1 .LBB138_2
; %bb.1:
	global_load_ushort v2, v2, s[2:3]
	s_waitcnt vmcnt(0)
	v_cvt_f32_f16_e32 v2, v2
	v_add_f32_e32 v4, v3, v2
.LBB138_2:
	s_load_dword s2, s[4:5], 0x28
	s_load_dwordx4 s[8:11], s[4:5], 0x10
	s_waitcnt lgkmcnt(0)
	s_cmp_lt_i32 s2, 1
	s_cbranch_scc1 .LBB138_8
; %bb.3:
	v_mbcnt_lo_u32_b32 v1, -1, 0
	v_mbcnt_hi_u32_b32 v1, -1, v1
	v_bfrev_b32_e32 v7, 0.5
	s_mov_b32 s3, 0
	v_mov_b32_e32 v5, 0
	v_mov_b32_e32 v2, 0
	;; [unrolled: 1-line block ×3, first 2 shown]
	v_lshl_or_b32 v7, v1, 2, v7
	v_mov_b32_e32 v1, 0
.LBB138_4:                              ; =>This Inner Loop Header: Depth=1
	v_cmp_eq_u32_e32 vcc, 0, v5
	v_cndmask_b32_e32 v8, v6, v4, vcc
	;;#ASMSTART
	v_max_f32 v10, v8, v8 quad_perm:[1,0,3,2] row_mask:0xf bank_mask:0xf bound_ctrl:1
	;;#ASMEND
	;;#ASMSTART
	v_max_f32 v11, v10, v10 quad_perm:[2,3,0,1] row_mask:0xf bank_mask:0xf bound_ctrl:1
	;;#ASMEND
	;;#ASMSTART
	v_max_f32 v10, v11, v11 row_half_mirror row_mask:0xf bank_mask:0xf bound_ctrl:1
	;;#ASMEND
	;;#ASMSTART
	v_max_f32 v11, v10, v10 row_mirror row_mask:0xf bank_mask:0xf bound_ctrl:1
	;;#ASMEND
	;;#ASMSTART
	v_max_f32 v10, v11, v11 row_ror:4 row_mask:0xf bank_mask:0xf bound_ctrl:1
	;;#ASMEND
	;;#ASMSTART
	v_max_f32 v11, v10, v10 row_ror:8 row_mask:0xf bank_mask:0xf bound_ctrl:1
	;;#ASMEND
	;;#ASMSTART
	v_max_f32 v10, v11, v11 row_bcast:15 row_mask:0xf bank_mask:0xf bound_ctrl:1
	;;#ASMEND
	;;#ASMSTART
	v_max_f32 v11, v10, v10 row_bcast:31 row_mask:0xf bank_mask:0xf bound_ctrl:1
	;;#ASMEND
	ds_bpermute_b32 v10, v7, v11
	v_cndmask_b32_e32 v9, 0, v0, vcc
	s_waitcnt lgkmcnt(0)
	v_cmp_eq_f32_e64 s[0:1], v8, v10
	s_ff1_i32_b64 s7, s[0:1]
	s_cmp_lg_u64 s[0:1], 0
	s_cselect_b32 s0, s7, 0
	s_nop 0
	v_readlane_b32 s7, v9, s0
	v_cmp_eq_u32_e64 s[0:1], s7, v0
	s_and_b64 vcc, vcc, s[0:1]
	s_and_b32 s12, s7, 63
	v_cndmask_b32_e32 v9, 0, v3, vcc
	v_addc_co_u32_e32 v5, vcc, 0, v5, vcc
	v_readlane_b32 s0, v9, s12
	v_mov_b32_e32 v8, s7
	v_mov_b32_e32 v9, s0
	v_cmp_eq_u32_e32 vcc, s3, v0
	s_add_i32 s3, s3, 1
	v_cndmask_b32_e32 v2, v2, v9, vcc
	s_cmp_eq_u32 s2, s3
	v_cndmask_b32_e32 v1, v1, v8, vcc
	s_cbranch_scc0 .LBB138_4
; %bb.5:
	v_cmp_gt_i32_e32 vcc, s2, v0
	s_and_saveexec_b64 s[0:1], vcc
	s_cbranch_execz .LBB138_7
.LBB138_6:
	s_load_dword s2, s[4:5], 0x30
	s_load_dwordx2 s[0:1], s[4:5], 0x20
	s_ashr_i32 s3, s6, 31
	v_lshlrev_b32_e32 v0, 2, v0
	s_waitcnt lgkmcnt(0)
	v_mul_f32_e32 v2, s2, v2
	s_mul_i32 s1, s6, s1
	s_mul_hi_u32 s2, s6, s0
	s_add_i32 s1, s2, s1
	s_mul_i32 s3, s3, s0
	s_add_i32 s1, s1, s3
	s_mul_i32 s0, s6, s0
	s_lshl_b64 s[0:1], s[0:1], 2
	s_add_u32 s2, s8, s0
	s_addc_u32 s3, s9, s1
	s_add_u32 s0, s10, s0
	s_addc_u32 s1, s11, s1
	global_store_dword v0, v2, s[2:3]
	global_store_dword v0, v1, s[0:1]
.LBB138_7:
	s_endpgm
.LBB138_8:
	v_mov_b32_e32 v2, 0
	v_cmp_gt_i32_e32 vcc, s2, v0
	s_and_saveexec_b64 s[0:1], vcc
	s_cbranch_execnz .LBB138_6
	s_branch .LBB138_7
	.section	.rodata,"a",@progbits
	.p2align	6, 0x0
	.amdhsa_kernel _ZN5aiter24topk_softplus_kernel_optI6__halfS1_Li64ELb0ELi1EEEvPKT_PKT0_PfPimiif
		.amdhsa_group_segment_fixed_size 0
		.amdhsa_private_segment_fixed_size 0
		.amdhsa_kernarg_size 52
		.amdhsa_user_sgpr_count 6
		.amdhsa_user_sgpr_private_segment_buffer 1
		.amdhsa_user_sgpr_dispatch_ptr 0
		.amdhsa_user_sgpr_queue_ptr 0
		.amdhsa_user_sgpr_kernarg_segment_ptr 1
		.amdhsa_user_sgpr_dispatch_id 0
		.amdhsa_user_sgpr_flat_scratch_init 0
		.amdhsa_user_sgpr_kernarg_preload_length 0
		.amdhsa_user_sgpr_kernarg_preload_offset 0
		.amdhsa_user_sgpr_private_segment_size 0
		.amdhsa_uses_dynamic_stack 0
		.amdhsa_system_sgpr_private_segment_wavefront_offset 0
		.amdhsa_system_sgpr_workgroup_id_x 1
		.amdhsa_system_sgpr_workgroup_id_y 0
		.amdhsa_system_sgpr_workgroup_id_z 0
		.amdhsa_system_sgpr_workgroup_info 0
		.amdhsa_system_vgpr_workitem_id 0
		.amdhsa_next_free_vgpr 12
		.amdhsa_next_free_sgpr 13
		.amdhsa_accum_offset 12
		.amdhsa_reserve_vcc 1
		.amdhsa_reserve_flat_scratch 0
		.amdhsa_float_round_mode_32 0
		.amdhsa_float_round_mode_16_64 0
		.amdhsa_float_denorm_mode_32 3
		.amdhsa_float_denorm_mode_16_64 3
		.amdhsa_dx10_clamp 1
		.amdhsa_ieee_mode 1
		.amdhsa_fp16_overflow 0
		.amdhsa_tg_split 0
		.amdhsa_exception_fp_ieee_invalid_op 0
		.amdhsa_exception_fp_denorm_src 0
		.amdhsa_exception_fp_ieee_div_zero 0
		.amdhsa_exception_fp_ieee_overflow 0
		.amdhsa_exception_fp_ieee_underflow 0
		.amdhsa_exception_fp_ieee_inexact 0
		.amdhsa_exception_int_div_zero 0
	.end_amdhsa_kernel
	.section	.text._ZN5aiter24topk_softplus_kernel_optI6__halfS1_Li64ELb0ELi1EEEvPKT_PKT0_PfPimiif,"axG",@progbits,_ZN5aiter24topk_softplus_kernel_optI6__halfS1_Li64ELb0ELi1EEEvPKT_PKT0_PfPimiif,comdat
.Lfunc_end138:
	.size	_ZN5aiter24topk_softplus_kernel_optI6__halfS1_Li64ELb0ELi1EEEvPKT_PKT0_PfPimiif, .Lfunc_end138-_ZN5aiter24topk_softplus_kernel_optI6__halfS1_Li64ELb0ELi1EEEvPKT_PKT0_PfPimiif
                                        ; -- End function
	.section	.AMDGPU.csdata,"",@progbits
; Kernel info:
; codeLenInByte = 556
; NumSgprs: 17
; NumVgprs: 12
; NumAgprs: 0
; TotalNumVgprs: 12
; ScratchSize: 0
; MemoryBound: 0
; FloatMode: 240
; IeeeMode: 1
; LDSByteSize: 0 bytes/workgroup (compile time only)
; SGPRBlocks: 2
; VGPRBlocks: 1
; NumSGPRsForWavesPerEU: 17
; NumVGPRsForWavesPerEU: 12
; AccumOffset: 12
; Occupancy: 8
; WaveLimiterHint : 0
; COMPUTE_PGM_RSRC2:SCRATCH_EN: 0
; COMPUTE_PGM_RSRC2:USER_SGPR: 6
; COMPUTE_PGM_RSRC2:TRAP_HANDLER: 0
; COMPUTE_PGM_RSRC2:TGID_X_EN: 1
; COMPUTE_PGM_RSRC2:TGID_Y_EN: 0
; COMPUTE_PGM_RSRC2:TGID_Z_EN: 0
; COMPUTE_PGM_RSRC2:TIDIG_COMP_CNT: 0
; COMPUTE_PGM_RSRC3_GFX90A:ACCUM_OFFSET: 2
; COMPUTE_PGM_RSRC3_GFX90A:TG_SPLIT: 0
	.section	.text._ZN5aiter24topk_softplus_kernel_optI6__halfS1_Li128ELb1ELi1EEEvPKT_PKT0_PfPimiif,"axG",@progbits,_ZN5aiter24topk_softplus_kernel_optI6__halfS1_Li128ELb1ELi1EEEvPKT_PKT0_PfPimiif,comdat
	.protected	_ZN5aiter24topk_softplus_kernel_optI6__halfS1_Li128ELb1ELi1EEEvPKT_PKT0_PfPimiif ; -- Begin function _ZN5aiter24topk_softplus_kernel_optI6__halfS1_Li128ELb1ELi1EEEvPKT_PKT0_PfPimiif
	.globl	_ZN5aiter24topk_softplus_kernel_optI6__halfS1_Li128ELb1ELi1EEEvPKT_PKT0_PfPimiif
	.p2align	8
	.type	_ZN5aiter24topk_softplus_kernel_optI6__halfS1_Li128ELb1ELi1EEEvPKT_PKT0_PfPimiif,@function
_ZN5aiter24topk_softplus_kernel_optI6__halfS1_Li128ELb1ELi1EEEvPKT_PKT0_PfPimiif: ; @_ZN5aiter24topk_softplus_kernel_optI6__halfS1_Li128ELb1ELi1EEEvPKT_PKT0_PfPimiif
; %bb.0:
	s_load_dwordx4 s[0:3], s[4:5], 0x0
	s_lshl_b32 s8, s6, 7
	s_ashr_i32 s9, s8, 31
	s_lshl_b64 s[8:9], s[8:9], 1
	v_lshlrev_b32_e32 v1, 1, v0
	s_waitcnt lgkmcnt(0)
	s_add_u32 s10, s0, s8
	s_addc_u32 s11, s1, s9
	global_load_ushort v2, v1, s[10:11]
	s_mov_b32 s8, 0xc2fc0000
	v_mov_b32_e32 v5, 0x42800000
	s_mov_b32 s7, 0xbfb8aa3b
	v_mov_b32_e32 v7, 0x1f800000
	s_cmp_lg_u64 s[2:3], 0
	s_cselect_b64 s[0:1], -1, 0
	s_waitcnt vmcnt(0)
	v_cvt_f32_f16_e32 v3, v2
	v_mul_f32_e32 v3, 0xbfb8aa3b, v3
	v_cmp_gt_f32_e32 vcc, s8, v3
	v_cndmask_b32_e32 v3, 0, v5, vcc
	v_fma_mix_f32 v2, v2, s7, v3 op_sel_hi:[1,0,0]
	v_exp_f32_e32 v2, v2
	v_cndmask_b32_e32 v4, 1.0, v7, vcc
	v_mov_b32_e32 v3, s11
	v_fma_f32 v2, v2, v4, 1.0
	v_rcp_f32_e32 v6, v2
	v_add_co_u32_e32 v2, vcc, s10, v1
	v_addc_co_u32_e32 v3, vcc, 0, v3, vcc
	s_and_b64 vcc, exec, s[0:1]
	v_mov_b32_e32 v4, v6
	s_cbranch_vccz .LBB139_2
; %bb.1:
	global_load_ushort v4, v1, s[2:3]
	s_waitcnt vmcnt(0)
	v_cvt_f32_f16_e32 v4, v4
	v_add_f32_e32 v4, v6, v4
.LBB139_2:
	global_load_ushort v2, v[2:3], off offset:128
	s_waitcnt vmcnt(0)
	v_cvt_f32_f16_e32 v3, v2
	v_mul_f32_e32 v3, 0xbfb8aa3b, v3
	v_cmp_gt_f32_e32 vcc, s8, v3
	v_cndmask_b32_e32 v5, 0, v5, vcc
	v_fma_mix_f32 v2, v2, s7, v5 op_sel_hi:[1,0,0]
	v_exp_f32_e32 v2, v2
	v_cndmask_b32_e32 v3, 1.0, v7, vcc
	s_andn2_b64 vcc, exec, s[0:1]
	v_fma_f32 v2, v2, v3, 1.0
	v_rcp_f32_e32 v10, v2
	v_mov_b32_e32 v5, v10
	s_cbranch_vccnz .LBB139_4
; %bb.3:
	global_load_ushort v1, v1, s[2:3] offset:128
	s_waitcnt vmcnt(0)
	v_cvt_f32_f16_e32 v1, v1
	v_add_f32_e32 v5, v10, v1
.LBB139_4:
	s_load_dword s2, s[4:5], 0x28
	s_load_dwordx4 s[8:11], s[4:5], 0x10
	v_mov_b32_e32 v9, 0
	v_mov_b32_e32 v7, 0
	;; [unrolled: 1-line block ×3, first 2 shown]
	s_waitcnt lgkmcnt(0)
	s_cmp_gt_i32 s2, 0
	s_cbranch_scc0 .LBB139_7
; %bb.5:
	v_mbcnt_lo_u32_b32 v7, -1, 0
	v_add_u32_e32 v2, 64, v0
	v_cmp_lt_f32_e32 vcc, v4, v5
	v_mbcnt_hi_u32_b32 v7, -1, v7
	v_bfrev_b32_e32 v8, 0.5
	v_cndmask_b32_e32 v1, v2, v0, vcc
	v_cndmask_b32_e32 v2, v0, v2, vcc
	;; [unrolled: 1-line block ×6, first 2 shown]
	v_mov_b32_e32 v9, 0
	v_mov_b32_e32 v10, 0
	v_mov_b32_e32 v11, 0xff800000
	v_lshl_or_b32 v12, v7, 2, v8
	v_mov_b32_e32 v13, v0
	s_mov_b32 s3, s2
	v_mov_b32_e32 v7, 0
	v_mov_b32_e32 v8, 0
.LBB139_6:                              ; =>This Inner Loop Header: Depth=1
	v_cmp_eq_u32_e32 vcc, 1, v10
	v_cndmask_b32_e32 v14, v4, v3, vcc
	v_cmp_gt_u32_e64 s[0:1], 2, v10
	v_cndmask_b32_e64 v14, v11, v14, s[0:1]
	;;#ASMSTART
	v_max_f32 v18, v14, v14 quad_perm:[1,0,3,2] row_mask:0xf bank_mask:0xf bound_ctrl:1
	;;#ASMEND
	;;#ASMSTART
	v_max_f32 v19, v18, v18 quad_perm:[2,3,0,1] row_mask:0xf bank_mask:0xf bound_ctrl:1
	;;#ASMEND
	;;#ASMSTART
	v_max_f32 v18, v19, v19 row_half_mirror row_mask:0xf bank_mask:0xf bound_ctrl:1
	;;#ASMEND
	;;#ASMSTART
	v_max_f32 v19, v18, v18 row_mirror row_mask:0xf bank_mask:0xf bound_ctrl:1
	;;#ASMEND
	;;#ASMSTART
	v_max_f32 v18, v19, v19 row_ror:4 row_mask:0xf bank_mask:0xf bound_ctrl:1
	;;#ASMEND
	;;#ASMSTART
	v_max_f32 v19, v18, v18 row_ror:8 row_mask:0xf bank_mask:0xf bound_ctrl:1
	;;#ASMEND
	;;#ASMSTART
	v_max_f32 v18, v19, v19 row_bcast:15 row_mask:0xf bank_mask:0xf bound_ctrl:1
	;;#ASMEND
	;;#ASMSTART
	v_max_f32 v19, v18, v18 row_bcast:31 row_mask:0xf bank_mask:0xf bound_ctrl:1
	;;#ASMEND
	ds_bpermute_b32 v18, v12, v19
	v_cndmask_b32_e32 v15, v2, v1, vcc
	v_cndmask_b32_e32 v16, v6, v5, vcc
	v_cndmask_b32_e64 v17, 0, v15, s[0:1]
	s_waitcnt lgkmcnt(0)
	v_cmp_eq_f32_e32 vcc, v14, v18
	s_ff1_i32_b64 s7, vcc
	s_cmp_lg_u64 vcc, 0
	s_cselect_b32 s7, s7, 0
	v_readlane_b32 s7, v17, s7
	v_cmp_eq_u32_e32 vcc, s7, v15
	s_and_b64 vcc, s[0:1], vcc
	s_and_b32 s12, s7, 63
	v_cndmask_b32_e32 v15, 0, v16, vcc
	v_addc_co_u32_e32 v10, vcc, 0, v10, vcc
	v_readlane_b32 s0, v15, s12
	s_add_i32 s3, s3, -1
	v_mov_b32_e32 v14, s7
	v_mov_b32_e32 v15, s0
	v_cmp_eq_u32_e32 vcc, 0, v13
	s_cmp_eq_u32 s3, 0
	v_add_f32_e32 v9, s0, v9
	v_add_u32_e32 v13, -1, v13
	v_cndmask_b32_e32 v8, v8, v15, vcc
	v_cndmask_b32_e32 v7, v7, v14, vcc
	s_cbranch_scc0 .LBB139_6
.LBB139_7:
	v_cmp_gt_i32_e32 vcc, s2, v0
	s_and_saveexec_b64 s[0:1], vcc
	s_cbranch_execz .LBB139_9
; %bb.8:
	s_load_dword s2, s[4:5], 0x30
	v_max_f32_e32 v1, v9, v9
	v_max_f32_e32 v1, 0x1e3ce508, v1
	v_lshlrev_b32_e32 v0, 2, v0
	s_waitcnt lgkmcnt(0)
	v_div_scale_f32 v2, s[0:1], v1, v1, s2
	v_rcp_f32_e32 v3, v2
	v_div_scale_f32 v4, vcc, s2, v1, s2
	s_load_dwordx2 s[0:1], s[4:5], 0x20
	v_fma_f32 v5, -v2, v3, 1.0
	v_fmac_f32_e32 v3, v5, v3
	v_mul_f32_e32 v5, v4, v3
	v_fma_f32 v6, -v2, v5, v4
	v_fmac_f32_e32 v5, v6, v3
	v_fma_f32 v2, -v2, v5, v4
	v_div_fmas_f32 v2, v2, v3, v5
	v_div_fixup_f32 v1, v2, v1, s2
	s_ashr_i32 s2, s6, 31
	s_waitcnt lgkmcnt(0)
	s_mul_i32 s1, s6, s1
	s_mul_hi_u32 s3, s6, s0
	s_add_i32 s1, s3, s1
	s_mul_i32 s2, s2, s0
	s_add_i32 s1, s1, s2
	s_mul_i32 s0, s6, s0
	s_lshl_b64 s[0:1], s[0:1], 2
	s_add_u32 s2, s8, s0
	s_addc_u32 s3, s9, s1
	s_add_u32 s0, s10, s0
	v_mul_f32_e32 v1, v8, v1
	s_addc_u32 s1, s11, s1
	global_store_dword v0, v1, s[2:3]
	global_store_dword v0, v7, s[0:1]
.LBB139_9:
	s_endpgm
	.section	.rodata,"a",@progbits
	.p2align	6, 0x0
	.amdhsa_kernel _ZN5aiter24topk_softplus_kernel_optI6__halfS1_Li128ELb1ELi1EEEvPKT_PKT0_PfPimiif
		.amdhsa_group_segment_fixed_size 0
		.amdhsa_private_segment_fixed_size 0
		.amdhsa_kernarg_size 52
		.amdhsa_user_sgpr_count 6
		.amdhsa_user_sgpr_private_segment_buffer 1
		.amdhsa_user_sgpr_dispatch_ptr 0
		.amdhsa_user_sgpr_queue_ptr 0
		.amdhsa_user_sgpr_kernarg_segment_ptr 1
		.amdhsa_user_sgpr_dispatch_id 0
		.amdhsa_user_sgpr_flat_scratch_init 0
		.amdhsa_user_sgpr_kernarg_preload_length 0
		.amdhsa_user_sgpr_kernarg_preload_offset 0
		.amdhsa_user_sgpr_private_segment_size 0
		.amdhsa_uses_dynamic_stack 0
		.amdhsa_system_sgpr_private_segment_wavefront_offset 0
		.amdhsa_system_sgpr_workgroup_id_x 1
		.amdhsa_system_sgpr_workgroup_id_y 0
		.amdhsa_system_sgpr_workgroup_id_z 0
		.amdhsa_system_sgpr_workgroup_info 0
		.amdhsa_system_vgpr_workitem_id 0
		.amdhsa_next_free_vgpr 20
		.amdhsa_next_free_sgpr 13
		.amdhsa_accum_offset 20
		.amdhsa_reserve_vcc 1
		.amdhsa_reserve_flat_scratch 0
		.amdhsa_float_round_mode_32 0
		.amdhsa_float_round_mode_16_64 0
		.amdhsa_float_denorm_mode_32 3
		.amdhsa_float_denorm_mode_16_64 3
		.amdhsa_dx10_clamp 1
		.amdhsa_ieee_mode 1
		.amdhsa_fp16_overflow 0
		.amdhsa_tg_split 0
		.amdhsa_exception_fp_ieee_invalid_op 0
		.amdhsa_exception_fp_denorm_src 0
		.amdhsa_exception_fp_ieee_div_zero 0
		.amdhsa_exception_fp_ieee_overflow 0
		.amdhsa_exception_fp_ieee_underflow 0
		.amdhsa_exception_fp_ieee_inexact 0
		.amdhsa_exception_int_div_zero 0
	.end_amdhsa_kernel
	.section	.text._ZN5aiter24topk_softplus_kernel_optI6__halfS1_Li128ELb1ELi1EEEvPKT_PKT0_PfPimiif,"axG",@progbits,_ZN5aiter24topk_softplus_kernel_optI6__halfS1_Li128ELb1ELi1EEEvPKT_PKT0_PfPimiif,comdat
.Lfunc_end139:
	.size	_ZN5aiter24topk_softplus_kernel_optI6__halfS1_Li128ELb1ELi1EEEvPKT_PKT0_PfPimiif, .Lfunc_end139-_ZN5aiter24topk_softplus_kernel_optI6__halfS1_Li128ELb1ELi1EEEvPKT_PKT0_PfPimiif
                                        ; -- End function
	.section	.AMDGPU.csdata,"",@progbits
; Kernel info:
; codeLenInByte = 808
; NumSgprs: 17
; NumVgprs: 20
; NumAgprs: 0
; TotalNumVgprs: 20
; ScratchSize: 0
; MemoryBound: 0
; FloatMode: 240
; IeeeMode: 1
; LDSByteSize: 0 bytes/workgroup (compile time only)
; SGPRBlocks: 2
; VGPRBlocks: 2
; NumSGPRsForWavesPerEU: 17
; NumVGPRsForWavesPerEU: 20
; AccumOffset: 20
; Occupancy: 8
; WaveLimiterHint : 0
; COMPUTE_PGM_RSRC2:SCRATCH_EN: 0
; COMPUTE_PGM_RSRC2:USER_SGPR: 6
; COMPUTE_PGM_RSRC2:TRAP_HANDLER: 0
; COMPUTE_PGM_RSRC2:TGID_X_EN: 1
; COMPUTE_PGM_RSRC2:TGID_Y_EN: 0
; COMPUTE_PGM_RSRC2:TGID_Z_EN: 0
; COMPUTE_PGM_RSRC2:TIDIG_COMP_CNT: 0
; COMPUTE_PGM_RSRC3_GFX90A:ACCUM_OFFSET: 4
; COMPUTE_PGM_RSRC3_GFX90A:TG_SPLIT: 0
	.section	.text._ZN5aiter24topk_softplus_kernel_optI6__halfS1_Li128ELb0ELi1EEEvPKT_PKT0_PfPimiif,"axG",@progbits,_ZN5aiter24topk_softplus_kernel_optI6__halfS1_Li128ELb0ELi1EEEvPKT_PKT0_PfPimiif,comdat
	.protected	_ZN5aiter24topk_softplus_kernel_optI6__halfS1_Li128ELb0ELi1EEEvPKT_PKT0_PfPimiif ; -- Begin function _ZN5aiter24topk_softplus_kernel_optI6__halfS1_Li128ELb0ELi1EEEvPKT_PKT0_PfPimiif
	.globl	_ZN5aiter24topk_softplus_kernel_optI6__halfS1_Li128ELb0ELi1EEEvPKT_PKT0_PfPimiif
	.p2align	8
	.type	_ZN5aiter24topk_softplus_kernel_optI6__halfS1_Li128ELb0ELi1EEEvPKT_PKT0_PfPimiif,@function
_ZN5aiter24topk_softplus_kernel_optI6__halfS1_Li128ELb0ELi1EEEvPKT_PKT0_PfPimiif: ; @_ZN5aiter24topk_softplus_kernel_optI6__halfS1_Li128ELb0ELi1EEEvPKT_PKT0_PfPimiif
; %bb.0:
	s_load_dwordx4 s[0:3], s[4:5], 0x0
	s_lshl_b32 s8, s6, 7
	s_ashr_i32 s9, s8, 31
	s_lshl_b64 s[8:9], s[8:9], 1
	v_lshlrev_b32_e32 v1, 1, v0
	s_waitcnt lgkmcnt(0)
	s_add_u32 s10, s0, s8
	s_addc_u32 s11, s1, s9
	global_load_ushort v2, v1, s[10:11]
	s_mov_b32 s8, 0xc2fc0000
	v_mov_b32_e32 v5, 0x42800000
	s_mov_b32 s7, 0xbfb8aa3b
	v_mov_b32_e32 v7, 0x1f800000
	s_cmp_lg_u64 s[2:3], 0
	s_cselect_b64 s[0:1], -1, 0
	s_waitcnt vmcnt(0)
	v_cvt_f32_f16_e32 v3, v2
	v_mul_f32_e32 v3, 0xbfb8aa3b, v3
	v_cmp_gt_f32_e32 vcc, s8, v3
	v_cndmask_b32_e32 v3, 0, v5, vcc
	v_fma_mix_f32 v2, v2, s7, v3 op_sel_hi:[1,0,0]
	v_exp_f32_e32 v2, v2
	v_cndmask_b32_e32 v4, 1.0, v7, vcc
	v_mov_b32_e32 v3, s11
	v_fma_f32 v2, v2, v4, 1.0
	v_rcp_f32_e32 v6, v2
	v_add_co_u32_e32 v2, vcc, s10, v1
	v_addc_co_u32_e32 v3, vcc, 0, v3, vcc
	s_and_b64 vcc, exec, s[0:1]
	v_mov_b32_e32 v4, v6
	s_cbranch_vccz .LBB140_2
; %bb.1:
	global_load_ushort v4, v1, s[2:3]
	s_waitcnt vmcnt(0)
	v_cvt_f32_f16_e32 v4, v4
	v_add_f32_e32 v4, v6, v4
.LBB140_2:
	global_load_ushort v2, v[2:3], off offset:128
	s_waitcnt vmcnt(0)
	v_cvt_f32_f16_e32 v3, v2
	v_mul_f32_e32 v3, 0xbfb8aa3b, v3
	v_cmp_gt_f32_e32 vcc, s8, v3
	v_cndmask_b32_e32 v5, 0, v5, vcc
	v_fma_mix_f32 v2, v2, s7, v5 op_sel_hi:[1,0,0]
	v_exp_f32_e32 v2, v2
	v_cndmask_b32_e32 v3, 1.0, v7, vcc
	s_andn2_b64 vcc, exec, s[0:1]
	v_fma_f32 v2, v2, v3, 1.0
	v_rcp_f32_e32 v8, v2
	v_mov_b32_e32 v5, v8
	s_cbranch_vccnz .LBB140_4
; %bb.3:
	global_load_ushort v1, v1, s[2:3] offset:128
	s_waitcnt vmcnt(0)
	v_cvt_f32_f16_e32 v1, v1
	v_add_f32_e32 v5, v8, v1
.LBB140_4:
	s_load_dword s2, s[4:5], 0x28
	s_load_dwordx4 s[8:11], s[4:5], 0x10
	v_mov_b32_e32 v7, 0
	s_waitcnt lgkmcnt(0)
	s_cmp_gt_i32 s2, 0
	s_cbranch_scc0 .LBB140_10
; %bb.5:
	v_mbcnt_lo_u32_b32 v7, -1, 0
	v_add_u32_e32 v2, 64, v0
	v_cmp_lt_f32_e32 vcc, v4, v5
	v_mbcnt_hi_u32_b32 v7, -1, v7
	v_bfrev_b32_e32 v11, 0.5
	v_cndmask_b32_e32 v1, v2, v0, vcc
	v_cndmask_b32_e32 v2, v0, v2, vcc
	;; [unrolled: 1-line block ×6, first 2 shown]
	v_mov_b32_e32 v9, 0
	v_mov_b32_e32 v8, 0
	v_mov_b32_e32 v10, 0xff800000
	v_lshl_or_b32 v11, v7, 2, v11
	v_mov_b32_e32 v12, v0
	s_mov_b32 s3, s2
	v_mov_b32_e32 v7, 0
.LBB140_6:                              ; =>This Inner Loop Header: Depth=1
	v_cmp_eq_u32_e32 vcc, 1, v9
	v_cndmask_b32_e32 v13, v4, v3, vcc
	v_cmp_gt_u32_e64 s[0:1], 2, v9
	v_cndmask_b32_e64 v13, v10, v13, s[0:1]
	;;#ASMSTART
	v_max_f32 v17, v13, v13 quad_perm:[1,0,3,2] row_mask:0xf bank_mask:0xf bound_ctrl:1
	;;#ASMEND
	;;#ASMSTART
	v_max_f32 v18, v17, v17 quad_perm:[2,3,0,1] row_mask:0xf bank_mask:0xf bound_ctrl:1
	;;#ASMEND
	;;#ASMSTART
	v_max_f32 v17, v18, v18 row_half_mirror row_mask:0xf bank_mask:0xf bound_ctrl:1
	;;#ASMEND
	;;#ASMSTART
	v_max_f32 v18, v17, v17 row_mirror row_mask:0xf bank_mask:0xf bound_ctrl:1
	;;#ASMEND
	;;#ASMSTART
	v_max_f32 v17, v18, v18 row_ror:4 row_mask:0xf bank_mask:0xf bound_ctrl:1
	;;#ASMEND
	;;#ASMSTART
	v_max_f32 v18, v17, v17 row_ror:8 row_mask:0xf bank_mask:0xf bound_ctrl:1
	;;#ASMEND
	;;#ASMSTART
	v_max_f32 v17, v18, v18 row_bcast:15 row_mask:0xf bank_mask:0xf bound_ctrl:1
	;;#ASMEND
	;;#ASMSTART
	v_max_f32 v18, v17, v17 row_bcast:31 row_mask:0xf bank_mask:0xf bound_ctrl:1
	;;#ASMEND
	ds_bpermute_b32 v17, v11, v18
	v_cndmask_b32_e32 v14, v2, v1, vcc
	v_cndmask_b32_e32 v15, v6, v5, vcc
	v_cndmask_b32_e64 v16, 0, v14, s[0:1]
	s_waitcnt lgkmcnt(0)
	v_cmp_eq_f32_e32 vcc, v13, v17
	s_ff1_i32_b64 s7, vcc
	s_cmp_lg_u64 vcc, 0
	s_cselect_b32 s7, s7, 0
	v_readlane_b32 s7, v16, s7
	v_cmp_eq_u32_e32 vcc, s7, v14
	s_and_b64 vcc, s[0:1], vcc
	s_and_b32 s12, s7, 63
	v_cndmask_b32_e32 v14, 0, v15, vcc
	v_addc_co_u32_e32 v9, vcc, 0, v9, vcc
	v_readlane_b32 s0, v14, s12
	s_add_i32 s3, s3, -1
	v_mov_b32_e32 v13, s7
	v_mov_b32_e32 v14, s0
	v_cmp_eq_u32_e32 vcc, 0, v12
	s_cmp_eq_u32 s3, 0
	v_add_u32_e32 v12, -1, v12
	v_cndmask_b32_e32 v8, v8, v14, vcc
	v_cndmask_b32_e32 v7, v7, v13, vcc
	s_cbranch_scc0 .LBB140_6
; %bb.7:
	v_cmp_gt_i32_e32 vcc, s2, v0
	s_and_saveexec_b64 s[0:1], vcc
	s_cbranch_execz .LBB140_9
.LBB140_8:
	s_load_dword s2, s[4:5], 0x30
	s_load_dwordx2 s[0:1], s[4:5], 0x20
	s_ashr_i32 s3, s6, 31
	v_lshlrev_b32_e32 v0, 2, v0
	s_waitcnt lgkmcnt(0)
	v_mul_f32_e32 v1, s2, v8
	s_mul_i32 s1, s6, s1
	s_mul_hi_u32 s2, s6, s0
	s_add_i32 s1, s2, s1
	s_mul_i32 s3, s3, s0
	s_add_i32 s1, s1, s3
	s_mul_i32 s0, s6, s0
	s_lshl_b64 s[0:1], s[0:1], 2
	s_add_u32 s2, s8, s0
	s_addc_u32 s3, s9, s1
	s_add_u32 s0, s10, s0
	s_addc_u32 s1, s11, s1
	global_store_dword v0, v1, s[2:3]
	global_store_dword v0, v7, s[0:1]
.LBB140_9:
	s_endpgm
.LBB140_10:
	v_mov_b32_e32 v8, 0
	v_cmp_gt_i32_e32 vcc, s2, v0
	s_and_saveexec_b64 s[0:1], vcc
	s_cbranch_execnz .LBB140_8
	s_branch .LBB140_9
	.section	.rodata,"a",@progbits
	.p2align	6, 0x0
	.amdhsa_kernel _ZN5aiter24topk_softplus_kernel_optI6__halfS1_Li128ELb0ELi1EEEvPKT_PKT0_PfPimiif
		.amdhsa_group_segment_fixed_size 0
		.amdhsa_private_segment_fixed_size 0
		.amdhsa_kernarg_size 52
		.amdhsa_user_sgpr_count 6
		.amdhsa_user_sgpr_private_segment_buffer 1
		.amdhsa_user_sgpr_dispatch_ptr 0
		.amdhsa_user_sgpr_queue_ptr 0
		.amdhsa_user_sgpr_kernarg_segment_ptr 1
		.amdhsa_user_sgpr_dispatch_id 0
		.amdhsa_user_sgpr_flat_scratch_init 0
		.amdhsa_user_sgpr_kernarg_preload_length 0
		.amdhsa_user_sgpr_kernarg_preload_offset 0
		.amdhsa_user_sgpr_private_segment_size 0
		.amdhsa_uses_dynamic_stack 0
		.amdhsa_system_sgpr_private_segment_wavefront_offset 0
		.amdhsa_system_sgpr_workgroup_id_x 1
		.amdhsa_system_sgpr_workgroup_id_y 0
		.amdhsa_system_sgpr_workgroup_id_z 0
		.amdhsa_system_sgpr_workgroup_info 0
		.amdhsa_system_vgpr_workitem_id 0
		.amdhsa_next_free_vgpr 19
		.amdhsa_next_free_sgpr 13
		.amdhsa_accum_offset 20
		.amdhsa_reserve_vcc 1
		.amdhsa_reserve_flat_scratch 0
		.amdhsa_float_round_mode_32 0
		.amdhsa_float_round_mode_16_64 0
		.amdhsa_float_denorm_mode_32 3
		.amdhsa_float_denorm_mode_16_64 3
		.amdhsa_dx10_clamp 1
		.amdhsa_ieee_mode 1
		.amdhsa_fp16_overflow 0
		.amdhsa_tg_split 0
		.amdhsa_exception_fp_ieee_invalid_op 0
		.amdhsa_exception_fp_denorm_src 0
		.amdhsa_exception_fp_ieee_div_zero 0
		.amdhsa_exception_fp_ieee_overflow 0
		.amdhsa_exception_fp_ieee_underflow 0
		.amdhsa_exception_fp_ieee_inexact 0
		.amdhsa_exception_int_div_zero 0
	.end_amdhsa_kernel
	.section	.text._ZN5aiter24topk_softplus_kernel_optI6__halfS1_Li128ELb0ELi1EEEvPKT_PKT0_PfPimiif,"axG",@progbits,_ZN5aiter24topk_softplus_kernel_optI6__halfS1_Li128ELb0ELi1EEEvPKT_PKT0_PfPimiif,comdat
.Lfunc_end140:
	.size	_ZN5aiter24topk_softplus_kernel_optI6__halfS1_Li128ELb0ELi1EEEvPKT_PKT0_PfPimiif, .Lfunc_end140-_ZN5aiter24topk_softplus_kernel_optI6__halfS1_Li128ELb0ELi1EEEvPKT_PKT0_PfPimiif
                                        ; -- End function
	.section	.AMDGPU.csdata,"",@progbits
; Kernel info:
; codeLenInByte = 724
; NumSgprs: 17
; NumVgprs: 19
; NumAgprs: 0
; TotalNumVgprs: 19
; ScratchSize: 0
; MemoryBound: 0
; FloatMode: 240
; IeeeMode: 1
; LDSByteSize: 0 bytes/workgroup (compile time only)
; SGPRBlocks: 2
; VGPRBlocks: 2
; NumSGPRsForWavesPerEU: 17
; NumVGPRsForWavesPerEU: 19
; AccumOffset: 20
; Occupancy: 8
; WaveLimiterHint : 0
; COMPUTE_PGM_RSRC2:SCRATCH_EN: 0
; COMPUTE_PGM_RSRC2:USER_SGPR: 6
; COMPUTE_PGM_RSRC2:TRAP_HANDLER: 0
; COMPUTE_PGM_RSRC2:TGID_X_EN: 1
; COMPUTE_PGM_RSRC2:TGID_Y_EN: 0
; COMPUTE_PGM_RSRC2:TGID_Z_EN: 0
; COMPUTE_PGM_RSRC2:TIDIG_COMP_CNT: 0
; COMPUTE_PGM_RSRC3_GFX90A:ACCUM_OFFSET: 4
; COMPUTE_PGM_RSRC3_GFX90A:TG_SPLIT: 0
	.section	.text._ZN5aiter24topk_softplus_kernel_optI6__halfS1_Li256ELb1ELi1EEEvPKT_PKT0_PfPimiif,"axG",@progbits,_ZN5aiter24topk_softplus_kernel_optI6__halfS1_Li256ELb1ELi1EEEvPKT_PKT0_PfPimiif,comdat
	.protected	_ZN5aiter24topk_softplus_kernel_optI6__halfS1_Li256ELb1ELi1EEEvPKT_PKT0_PfPimiif ; -- Begin function _ZN5aiter24topk_softplus_kernel_optI6__halfS1_Li256ELb1ELi1EEEvPKT_PKT0_PfPimiif
	.globl	_ZN5aiter24topk_softplus_kernel_optI6__halfS1_Li256ELb1ELi1EEEvPKT_PKT0_PfPimiif
	.p2align	8
	.type	_ZN5aiter24topk_softplus_kernel_optI6__halfS1_Li256ELb1ELi1EEEvPKT_PKT0_PfPimiif,@function
_ZN5aiter24topk_softplus_kernel_optI6__halfS1_Li256ELb1ELi1EEEvPKT_PKT0_PfPimiif: ; @_ZN5aiter24topk_softplus_kernel_optI6__halfS1_Li256ELb1ELi1EEEvPKT_PKT0_PfPimiif
; %bb.0:
	s_load_dwordx4 s[0:3], s[4:5], 0x0
	s_lshl_b32 s8, s6, 8
	s_ashr_i32 s9, s8, 31
	s_lshl_b64 s[8:9], s[8:9], 1
	v_lshlrev_b32_e32 v1, 1, v0
	s_waitcnt lgkmcnt(0)
	s_add_u32 s10, s0, s8
	s_addc_u32 s11, s1, s9
	global_load_ushort v2, v1, s[10:11]
	s_mov_b32 s1, 0xc2fc0000
	v_mov_b32_e32 v3, 0x42800000
	s_mov_b32 s0, 0xbfb8aa3b
	v_mov_b32_e32 v6, 0x1f800000
	s_cmp_lg_u64 s[2:3], 0
	v_mov_b32_e32 v5, s11
	s_cselect_b64 s[8:9], -1, 0
	s_waitcnt vmcnt(0)
	v_cvt_f32_f16_e32 v4, v2
	v_mul_f32_e32 v4, 0xbfb8aa3b, v4
	v_cmp_gt_f32_e32 vcc, s1, v4
	v_cndmask_b32_e32 v4, 0, v3, vcc
	v_fma_mix_f32 v2, v2, s0, v4 op_sel_hi:[1,0,0]
	v_exp_f32_e32 v2, v2
	v_cndmask_b32_e32 v4, 1.0, v6, vcc
	v_fma_f32 v2, v2, v4, 1.0
	v_rcp_f32_e32 v2, v2
	v_add_co_u32_e32 v4, vcc, s10, v1
	v_addc_co_u32_e32 v5, vcc, 0, v5, vcc
	s_and_b64 vcc, exec, s[8:9]
	v_mov_b32_e32 v10, v2
	s_cbranch_vccz .LBB141_2
; %bb.1:
	global_load_ushort v7, v1, s[2:3]
	s_waitcnt vmcnt(0)
	v_cvt_f32_f16_e32 v7, v7
	v_add_f32_e32 v10, v2, v7
.LBB141_2:
	global_load_ushort v7, v[4:5], off offset:128
	s_waitcnt vmcnt(0)
	v_cvt_f32_f16_e32 v8, v7
	v_mul_f32_e32 v8, 0xbfb8aa3b, v8
	v_cmp_gt_f32_e32 vcc, s1, v8
	v_cndmask_b32_e32 v3, 0, v3, vcc
	v_fma_mix_f32 v3, v7, s0, v3 op_sel_hi:[1,0,0]
	v_exp_f32_e32 v3, v3
	v_cndmask_b32_e32 v6, 1.0, v6, vcc
	s_andn2_b64 vcc, exec, s[8:9]
	v_fma_f32 v3, v3, v6, 1.0
	v_rcp_f32_e32 v9, v3
	v_cndmask_b32_e64 v3, 0, 1, s[8:9]
	v_cmp_ne_u32_e64 s[0:1], 1, v3
	v_mov_b32_e32 v12, v9
	s_cbranch_vccnz .LBB141_4
; %bb.3:
	global_load_ushort v3, v1, s[2:3] offset:128
	s_waitcnt vmcnt(0)
	v_cvt_f32_f16_e32 v3, v3
	v_add_f32_e32 v12, v9, v3
.LBB141_4:
	global_load_ushort v6, v[4:5], off offset:256
	s_mov_b32 s8, 0xc2fc0000
	s_mov_b32 s7, 0xbfb8aa3b
	v_mov_b32_e32 v3, 0x1f800000
	s_waitcnt vmcnt(0)
	v_cvt_f32_f16_e32 v7, v6
	v_mul_f32_e32 v7, 0xbfb8aa3b, v7
	v_cmp_gt_f32_e32 vcc, s8, v7
	v_mov_b32_e32 v7, 0x42800000
	v_cndmask_b32_e32 v11, 0, v7, vcc
	v_fma_mix_f32 v6, v6, s7, v11 op_sel_hi:[1,0,0]
	v_exp_f32_e32 v6, v6
	v_cndmask_b32_e32 v8, 1.0, v3, vcc
	s_and_b64 vcc, exec, s[0:1]
	v_fma_f32 v6, v6, v8, 1.0
	v_rcp_f32_e32 v8, v6
	v_mov_b32_e32 v6, v8
	s_cbranch_vccnz .LBB141_6
; %bb.5:
	global_load_ushort v6, v1, s[2:3] offset:256
	s_waitcnt vmcnt(0)
	v_cvt_f32_f16_e32 v6, v6
	v_add_f32_e32 v6, v8, v6
.LBB141_6:
	global_load_ushort v4, v[4:5], off offset:384
	s_waitcnt vmcnt(0)
	v_cvt_f32_f16_e32 v5, v4
	v_mul_f32_e32 v5, 0xbfb8aa3b, v5
	v_cmp_gt_f32_e32 vcc, s8, v5
	v_cndmask_b32_e32 v5, 0, v7, vcc
	v_fma_mix_f32 v4, v4, s7, v5 op_sel_hi:[1,0,0]
	v_exp_f32_e32 v4, v4
	v_cndmask_b32_e32 v3, 1.0, v3, vcc
	s_and_b64 vcc, exec, s[0:1]
	v_fma_f32 v3, v4, v3, 1.0
	v_rcp_f32_e32 v3, v3
	v_mov_b32_e32 v5, v3
	s_cbranch_vccnz .LBB141_8
; %bb.7:
	global_load_ushort v1, v1, s[2:3] offset:384
	s_waitcnt vmcnt(0)
	v_cvt_f32_f16_e32 v1, v1
	v_add_f32_e32 v5, v3, v1
.LBB141_8:
	v_add_u32_e32 v4, 64, v0
	v_cmp_lt_f32_e32 vcc, v10, v12
	v_add_u32_e32 v15, 0x80, v0
	v_add_u32_e32 v7, 0xc0, v0
	v_cndmask_b32_e32 v11, v9, v2, vcc
	v_cndmask_b32_e32 v2, v2, v9, vcc
	;; [unrolled: 1-line block ×6, first 2 shown]
	v_cmp_lt_f32_e32 vcc, v6, v5
	v_mov_b32_e32 v12, v6
	s_and_saveexec_b64 s[0:1], vcc
	s_xor_b64 s[0:1], exec, s[0:1]
; %bb.9:
	v_mov_b32_e32 v12, v15
	v_mov_b32_e32 v13, v6
	;; [unrolled: 1-line block ×4, first 2 shown]
	v_swap_b32 v8, v3
	v_swap_b32 v15, v7
	v_mov_b32_e32 v12, v5
	v_mov_b32_e32 v5, v13
; %bb.10:
	s_or_b64 exec, exec, s[0:1]
	v_cmp_lt_f32_e32 vcc, v14, v6
	v_cndmask_b32_e32 v13, v8, v2, vcc
	v_cndmask_b32_e32 v2, v2, v8, vcc
	;; [unrolled: 1-line block ×6, first 2 shown]
	v_cmp_lt_f32_e32 vcc, v9, v5
	v_mov_b32_e32 v14, v9
	s_and_saveexec_b64 s[0:1], vcc
; %bb.11:
	v_mov_b32_e32 v14, v1
	v_mov_b32_e32 v15, v9
	;; [unrolled: 1-line block ×4, first 2 shown]
	v_swap_b32 v11, v3
	v_swap_b32 v1, v7
	v_mov_b32_e32 v14, v5
	v_mov_b32_e32 v5, v15
; %bb.12:
	s_or_b64 exec, exec, s[0:1]
	s_load_dword s2, s[4:5], 0x28
	s_load_dwordx4 s[8:11], s[4:5], 0x10
	v_mov_b32_e32 v15, 0
	s_waitcnt lgkmcnt(0)
	s_cmp_lt_i32 s2, 1
	s_cbranch_scc1 .LBB141_18
; %bb.13:
	v_cmp_lt_f32_e32 vcc, v9, v12
	v_cndmask_b32_e32 v8, v10, v1, vcc
	v_cndmask_b32_e32 v1, v1, v10, vcc
	;; [unrolled: 1-line block ×6, first 2 shown]
	v_mbcnt_lo_u32_b32 v13, -1, 0
	v_mbcnt_hi_u32_b32 v13, -1, v13
	v_bfrev_b32_e32 v14, 0.5
	v_mov_b32_e32 v15, 0
	v_mov_b32_e32 v16, 0
	;; [unrolled: 1-line block ×3, first 2 shown]
	v_lshl_or_b32 v18, v13, 2, v14
	v_mov_b32_e32 v19, v0
	s_mov_b32 s3, s2
	v_mov_b32_e32 v13, 0
	v_mov_b32_e32 v14, 0
.LBB141_14:                             ; =>This Inner Loop Header: Depth=1
	v_cmp_eq_u32_e32 vcc, 1, v16
	v_cndmask_b32_e32 v20, v6, v9, vcc
	v_cmp_eq_u32_e64 s[0:1], 2, v16
	v_cndmask_b32_e64 v20, v20, v10, s[0:1]
	v_cndmask_b32_e32 v21, v4, v1, vcc
	v_cndmask_b32_e32 v22, v2, v11, vcc
	v_cmp_eq_u32_e32 vcc, 3, v16
	v_cndmask_b32_e32 v20, v20, v5, vcc
	v_cndmask_b32_e64 v21, v21, v8, s[0:1]
	v_cndmask_b32_e64 v22, v22, v12, s[0:1]
	v_cmp_gt_u32_e64 s[0:1], 4, v16
	v_cndmask_b32_e64 v20, v17, v20, s[0:1]
	;;#ASMSTART
	v_max_f32 v24, v20, v20 quad_perm:[1,0,3,2] row_mask:0xf bank_mask:0xf bound_ctrl:1
	;;#ASMEND
	;;#ASMSTART
	v_max_f32 v25, v24, v24 quad_perm:[2,3,0,1] row_mask:0xf bank_mask:0xf bound_ctrl:1
	;;#ASMEND
	;;#ASMSTART
	v_max_f32 v24, v25, v25 row_half_mirror row_mask:0xf bank_mask:0xf bound_ctrl:1
	;;#ASMEND
	;;#ASMSTART
	v_max_f32 v25, v24, v24 row_mirror row_mask:0xf bank_mask:0xf bound_ctrl:1
	;;#ASMEND
	;;#ASMSTART
	v_max_f32 v24, v25, v25 row_ror:4 row_mask:0xf bank_mask:0xf bound_ctrl:1
	;;#ASMEND
	;;#ASMSTART
	v_max_f32 v25, v24, v24 row_ror:8 row_mask:0xf bank_mask:0xf bound_ctrl:1
	;;#ASMEND
	;;#ASMSTART
	v_max_f32 v24, v25, v25 row_bcast:15 row_mask:0xf bank_mask:0xf bound_ctrl:1
	;;#ASMEND
	;;#ASMSTART
	v_max_f32 v25, v24, v24 row_bcast:31 row_mask:0xf bank_mask:0xf bound_ctrl:1
	;;#ASMEND
	ds_bpermute_b32 v24, v18, v25
	v_cndmask_b32_e32 v21, v21, v7, vcc
	v_cndmask_b32_e32 v22, v22, v3, vcc
	v_cndmask_b32_e64 v23, 0, v21, s[0:1]
	s_waitcnt lgkmcnt(0)
	v_cmp_eq_f32_e32 vcc, v20, v24
	s_ff1_i32_b64 s7, vcc
	s_cmp_lg_u64 vcc, 0
	s_cselect_b32 s7, s7, 0
	v_readlane_b32 s7, v23, s7
	v_cmp_eq_u32_e32 vcc, s7, v21
	s_and_b64 vcc, s[0:1], vcc
	s_and_b32 s12, s7, 63
	v_cndmask_b32_e32 v21, 0, v22, vcc
	v_addc_co_u32_e32 v16, vcc, 0, v16, vcc
	v_readlane_b32 s0, v21, s12
	s_add_i32 s3, s3, -1
	v_mov_b32_e32 v20, s7
	v_mov_b32_e32 v21, s0
	v_cmp_eq_u32_e32 vcc, 0, v19
	s_cmp_eq_u32 s3, 0
	v_add_f32_e32 v15, s0, v15
	v_add_u32_e32 v19, -1, v19
	v_cndmask_b32_e32 v14, v14, v21, vcc
	v_cndmask_b32_e32 v13, v13, v20, vcc
	s_cbranch_scc0 .LBB141_14
; %bb.15:
	v_cmp_gt_i32_e32 vcc, s2, v0
	s_and_saveexec_b64 s[0:1], vcc
	s_cbranch_execz .LBB141_17
.LBB141_16:
	s_load_dword s2, s[4:5], 0x30
	v_max_f32_e32 v1, v15, v15
	v_max_f32_e32 v1, 0x1e3ce508, v1
	v_lshlrev_b32_e32 v0, 2, v0
	s_waitcnt lgkmcnt(0)
	v_div_scale_f32 v2, s[0:1], v1, v1, s2
	v_rcp_f32_e32 v3, v2
	v_div_scale_f32 v4, vcc, s2, v1, s2
	s_load_dwordx2 s[0:1], s[4:5], 0x20
	v_fma_f32 v5, -v2, v3, 1.0
	v_fmac_f32_e32 v3, v5, v3
	v_mul_f32_e32 v5, v4, v3
	v_fma_f32 v6, -v2, v5, v4
	v_fmac_f32_e32 v5, v6, v3
	v_fma_f32 v2, -v2, v5, v4
	v_div_fmas_f32 v2, v2, v3, v5
	v_div_fixup_f32 v1, v2, v1, s2
	s_ashr_i32 s2, s6, 31
	s_waitcnt lgkmcnt(0)
	s_mul_i32 s1, s6, s1
	s_mul_hi_u32 s3, s6, s0
	s_add_i32 s1, s3, s1
	s_mul_i32 s2, s2, s0
	s_add_i32 s1, s1, s2
	s_mul_i32 s0, s6, s0
	s_lshl_b64 s[0:1], s[0:1], 2
	s_add_u32 s2, s8, s0
	s_addc_u32 s3, s9, s1
	s_add_u32 s0, s10, s0
	v_mul_f32_e32 v1, v14, v1
	s_addc_u32 s1, s11, s1
	global_store_dword v0, v1, s[2:3]
	global_store_dword v0, v13, s[0:1]
.LBB141_17:
	s_endpgm
.LBB141_18:
	v_mov_b32_e32 v13, 0
	v_mov_b32_e32 v14, 0
	v_cmp_gt_i32_e32 vcc, s2, v0
	s_and_saveexec_b64 s[0:1], vcc
	s_cbranch_execnz .LBB141_16
	s_branch .LBB141_17
	.section	.rodata,"a",@progbits
	.p2align	6, 0x0
	.amdhsa_kernel _ZN5aiter24topk_softplus_kernel_optI6__halfS1_Li256ELb1ELi1EEEvPKT_PKT0_PfPimiif
		.amdhsa_group_segment_fixed_size 0
		.amdhsa_private_segment_fixed_size 0
		.amdhsa_kernarg_size 52
		.amdhsa_user_sgpr_count 6
		.amdhsa_user_sgpr_private_segment_buffer 1
		.amdhsa_user_sgpr_dispatch_ptr 0
		.amdhsa_user_sgpr_queue_ptr 0
		.amdhsa_user_sgpr_kernarg_segment_ptr 1
		.amdhsa_user_sgpr_dispatch_id 0
		.amdhsa_user_sgpr_flat_scratch_init 0
		.amdhsa_user_sgpr_kernarg_preload_length 0
		.amdhsa_user_sgpr_kernarg_preload_offset 0
		.amdhsa_user_sgpr_private_segment_size 0
		.amdhsa_uses_dynamic_stack 0
		.amdhsa_system_sgpr_private_segment_wavefront_offset 0
		.amdhsa_system_sgpr_workgroup_id_x 1
		.amdhsa_system_sgpr_workgroup_id_y 0
		.amdhsa_system_sgpr_workgroup_id_z 0
		.amdhsa_system_sgpr_workgroup_info 0
		.amdhsa_system_vgpr_workitem_id 0
		.amdhsa_next_free_vgpr 26
		.amdhsa_next_free_sgpr 13
		.amdhsa_accum_offset 28
		.amdhsa_reserve_vcc 1
		.amdhsa_reserve_flat_scratch 0
		.amdhsa_float_round_mode_32 0
		.amdhsa_float_round_mode_16_64 0
		.amdhsa_float_denorm_mode_32 3
		.amdhsa_float_denorm_mode_16_64 3
		.amdhsa_dx10_clamp 1
		.amdhsa_ieee_mode 1
		.amdhsa_fp16_overflow 0
		.amdhsa_tg_split 0
		.amdhsa_exception_fp_ieee_invalid_op 0
		.amdhsa_exception_fp_denorm_src 0
		.amdhsa_exception_fp_ieee_div_zero 0
		.amdhsa_exception_fp_ieee_overflow 0
		.amdhsa_exception_fp_ieee_underflow 0
		.amdhsa_exception_fp_ieee_inexact 0
		.amdhsa_exception_int_div_zero 0
	.end_amdhsa_kernel
	.section	.text._ZN5aiter24topk_softplus_kernel_optI6__halfS1_Li256ELb1ELi1EEEvPKT_PKT0_PfPimiif,"axG",@progbits,_ZN5aiter24topk_softplus_kernel_optI6__halfS1_Li256ELb1ELi1EEEvPKT_PKT0_PfPimiif,comdat
.Lfunc_end141:
	.size	_ZN5aiter24topk_softplus_kernel_optI6__halfS1_Li256ELb1ELi1EEEvPKT_PKT0_PfPimiif, .Lfunc_end141-_ZN5aiter24topk_softplus_kernel_optI6__halfS1_Li256ELb1ELi1EEEvPKT_PKT0_PfPimiif
                                        ; -- End function
	.section	.AMDGPU.csdata,"",@progbits
; Kernel info:
; codeLenInByte = 1276
; NumSgprs: 17
; NumVgprs: 26
; NumAgprs: 0
; TotalNumVgprs: 26
; ScratchSize: 0
; MemoryBound: 0
; FloatMode: 240
; IeeeMode: 1
; LDSByteSize: 0 bytes/workgroup (compile time only)
; SGPRBlocks: 2
; VGPRBlocks: 3
; NumSGPRsForWavesPerEU: 17
; NumVGPRsForWavesPerEU: 26
; AccumOffset: 28
; Occupancy: 8
; WaveLimiterHint : 0
; COMPUTE_PGM_RSRC2:SCRATCH_EN: 0
; COMPUTE_PGM_RSRC2:USER_SGPR: 6
; COMPUTE_PGM_RSRC2:TRAP_HANDLER: 0
; COMPUTE_PGM_RSRC2:TGID_X_EN: 1
; COMPUTE_PGM_RSRC2:TGID_Y_EN: 0
; COMPUTE_PGM_RSRC2:TGID_Z_EN: 0
; COMPUTE_PGM_RSRC2:TIDIG_COMP_CNT: 0
; COMPUTE_PGM_RSRC3_GFX90A:ACCUM_OFFSET: 6
; COMPUTE_PGM_RSRC3_GFX90A:TG_SPLIT: 0
	.section	.text._ZN5aiter24topk_softplus_kernel_optI6__halfS1_Li256ELb0ELi1EEEvPKT_PKT0_PfPimiif,"axG",@progbits,_ZN5aiter24topk_softplus_kernel_optI6__halfS1_Li256ELb0ELi1EEEvPKT_PKT0_PfPimiif,comdat
	.protected	_ZN5aiter24topk_softplus_kernel_optI6__halfS1_Li256ELb0ELi1EEEvPKT_PKT0_PfPimiif ; -- Begin function _ZN5aiter24topk_softplus_kernel_optI6__halfS1_Li256ELb0ELi1EEEvPKT_PKT0_PfPimiif
	.globl	_ZN5aiter24topk_softplus_kernel_optI6__halfS1_Li256ELb0ELi1EEEvPKT_PKT0_PfPimiif
	.p2align	8
	.type	_ZN5aiter24topk_softplus_kernel_optI6__halfS1_Li256ELb0ELi1EEEvPKT_PKT0_PfPimiif,@function
_ZN5aiter24topk_softplus_kernel_optI6__halfS1_Li256ELb0ELi1EEEvPKT_PKT0_PfPimiif: ; @_ZN5aiter24topk_softplus_kernel_optI6__halfS1_Li256ELb0ELi1EEEvPKT_PKT0_PfPimiif
; %bb.0:
	s_load_dwordx4 s[0:3], s[4:5], 0x0
	s_lshl_b32 s8, s6, 8
	s_ashr_i32 s9, s8, 31
	s_lshl_b64 s[8:9], s[8:9], 1
	v_lshlrev_b32_e32 v1, 1, v0
	s_waitcnt lgkmcnt(0)
	s_add_u32 s10, s0, s8
	s_addc_u32 s11, s1, s9
	global_load_ushort v2, v1, s[10:11]
	s_mov_b32 s1, 0xc2fc0000
	v_mov_b32_e32 v3, 0x42800000
	s_mov_b32 s0, 0xbfb8aa3b
	v_mov_b32_e32 v6, 0x1f800000
	s_cmp_lg_u64 s[2:3], 0
	v_mov_b32_e32 v5, s11
	s_cselect_b64 s[8:9], -1, 0
	s_waitcnt vmcnt(0)
	v_cvt_f32_f16_e32 v4, v2
	v_mul_f32_e32 v4, 0xbfb8aa3b, v4
	v_cmp_gt_f32_e32 vcc, s1, v4
	v_cndmask_b32_e32 v4, 0, v3, vcc
	v_fma_mix_f32 v2, v2, s0, v4 op_sel_hi:[1,0,0]
	v_exp_f32_e32 v2, v2
	v_cndmask_b32_e32 v4, 1.0, v6, vcc
	v_fma_f32 v2, v2, v4, 1.0
	v_rcp_f32_e32 v2, v2
	v_add_co_u32_e32 v4, vcc, s10, v1
	v_addc_co_u32_e32 v5, vcc, 0, v5, vcc
	s_and_b64 vcc, exec, s[8:9]
	v_mov_b32_e32 v10, v2
	s_cbranch_vccz .LBB142_2
; %bb.1:
	global_load_ushort v7, v1, s[2:3]
	s_waitcnt vmcnt(0)
	v_cvt_f32_f16_e32 v7, v7
	v_add_f32_e32 v10, v2, v7
.LBB142_2:
	global_load_ushort v7, v[4:5], off offset:128
	s_waitcnt vmcnt(0)
	v_cvt_f32_f16_e32 v8, v7
	v_mul_f32_e32 v8, 0xbfb8aa3b, v8
	v_cmp_gt_f32_e32 vcc, s1, v8
	v_cndmask_b32_e32 v3, 0, v3, vcc
	v_fma_mix_f32 v3, v7, s0, v3 op_sel_hi:[1,0,0]
	v_exp_f32_e32 v3, v3
	v_cndmask_b32_e32 v6, 1.0, v6, vcc
	s_andn2_b64 vcc, exec, s[8:9]
	v_fma_f32 v3, v3, v6, 1.0
	v_rcp_f32_e32 v9, v3
	v_cndmask_b32_e64 v3, 0, 1, s[8:9]
	v_cmp_ne_u32_e64 s[0:1], 1, v3
	v_mov_b32_e32 v12, v9
	s_cbranch_vccnz .LBB142_4
; %bb.3:
	global_load_ushort v3, v1, s[2:3] offset:128
	s_waitcnt vmcnt(0)
	v_cvt_f32_f16_e32 v3, v3
	v_add_f32_e32 v12, v9, v3
.LBB142_4:
	global_load_ushort v6, v[4:5], off offset:256
	s_mov_b32 s8, 0xc2fc0000
	s_mov_b32 s7, 0xbfb8aa3b
	v_mov_b32_e32 v3, 0x1f800000
	s_waitcnt vmcnt(0)
	v_cvt_f32_f16_e32 v7, v6
	v_mul_f32_e32 v7, 0xbfb8aa3b, v7
	v_cmp_gt_f32_e32 vcc, s8, v7
	v_mov_b32_e32 v7, 0x42800000
	v_cndmask_b32_e32 v11, 0, v7, vcc
	v_fma_mix_f32 v6, v6, s7, v11 op_sel_hi:[1,0,0]
	v_exp_f32_e32 v6, v6
	v_cndmask_b32_e32 v8, 1.0, v3, vcc
	s_and_b64 vcc, exec, s[0:1]
	v_fma_f32 v6, v6, v8, 1.0
	v_rcp_f32_e32 v8, v6
	v_mov_b32_e32 v6, v8
	s_cbranch_vccnz .LBB142_6
; %bb.5:
	global_load_ushort v6, v1, s[2:3] offset:256
	s_waitcnt vmcnt(0)
	v_cvt_f32_f16_e32 v6, v6
	v_add_f32_e32 v6, v8, v6
.LBB142_6:
	global_load_ushort v4, v[4:5], off offset:384
	s_waitcnt vmcnt(0)
	v_cvt_f32_f16_e32 v5, v4
	v_mul_f32_e32 v5, 0xbfb8aa3b, v5
	v_cmp_gt_f32_e32 vcc, s8, v5
	v_cndmask_b32_e32 v5, 0, v7, vcc
	v_fma_mix_f32 v4, v4, s7, v5 op_sel_hi:[1,0,0]
	v_exp_f32_e32 v4, v4
	v_cndmask_b32_e32 v3, 1.0, v3, vcc
	s_and_b64 vcc, exec, s[0:1]
	v_fma_f32 v3, v4, v3, 1.0
	v_rcp_f32_e32 v3, v3
	v_mov_b32_e32 v5, v3
	s_cbranch_vccnz .LBB142_8
; %bb.7:
	global_load_ushort v1, v1, s[2:3] offset:384
	s_waitcnt vmcnt(0)
	v_cvt_f32_f16_e32 v1, v1
	v_add_f32_e32 v5, v3, v1
.LBB142_8:
	v_add_u32_e32 v4, 64, v0
	v_cmp_lt_f32_e32 vcc, v10, v12
	v_add_u32_e32 v15, 0x80, v0
	v_add_u32_e32 v7, 0xc0, v0
	v_cndmask_b32_e32 v11, v9, v2, vcc
	v_cndmask_b32_e32 v2, v2, v9, vcc
	;; [unrolled: 1-line block ×6, first 2 shown]
	v_cmp_lt_f32_e32 vcc, v6, v5
	v_mov_b32_e32 v12, v6
	s_and_saveexec_b64 s[0:1], vcc
	s_xor_b64 s[0:1], exec, s[0:1]
; %bb.9:
	v_mov_b32_e32 v12, v15
	v_mov_b32_e32 v13, v6
	;; [unrolled: 1-line block ×4, first 2 shown]
	v_swap_b32 v8, v3
	v_swap_b32 v15, v7
	v_mov_b32_e32 v12, v5
	v_mov_b32_e32 v5, v13
; %bb.10:
	s_or_b64 exec, exec, s[0:1]
	v_cmp_lt_f32_e32 vcc, v14, v6
	v_cndmask_b32_e32 v13, v8, v2, vcc
	v_cndmask_b32_e32 v2, v2, v8, vcc
	;; [unrolled: 1-line block ×6, first 2 shown]
	v_cmp_lt_f32_e32 vcc, v9, v5
	v_mov_b32_e32 v14, v9
	s_and_saveexec_b64 s[0:1], vcc
; %bb.11:
	v_mov_b32_e32 v14, v1
	v_mov_b32_e32 v15, v9
	;; [unrolled: 1-line block ×4, first 2 shown]
	v_swap_b32 v11, v3
	v_swap_b32 v1, v7
	v_mov_b32_e32 v14, v5
	v_mov_b32_e32 v5, v15
; %bb.12:
	s_or_b64 exec, exec, s[0:1]
	s_load_dword s2, s[4:5], 0x28
	s_load_dwordx4 s[8:11], s[4:5], 0x10
	s_waitcnt lgkmcnt(0)
	s_cmp_lt_i32 s2, 1
	s_cbranch_scc1 .LBB142_18
; %bb.13:
	v_cmp_lt_f32_e32 vcc, v9, v12
	v_cndmask_b32_e32 v8, v10, v1, vcc
	v_cndmask_b32_e32 v1, v1, v10, vcc
	;; [unrolled: 1-line block ×6, first 2 shown]
	v_mbcnt_lo_u32_b32 v13, -1, 0
	v_mbcnt_hi_u32_b32 v13, -1, v13
	v_bfrev_b32_e32 v17, 0.5
	v_mov_b32_e32 v15, 0
	v_mov_b32_e32 v14, 0
	;; [unrolled: 1-line block ×3, first 2 shown]
	v_lshl_or_b32 v17, v13, 2, v17
	v_mov_b32_e32 v18, v0
	s_mov_b32 s3, s2
	v_mov_b32_e32 v13, 0
.LBB142_14:                             ; =>This Inner Loop Header: Depth=1
	v_cmp_eq_u32_e32 vcc, 1, v15
	v_cndmask_b32_e32 v19, v6, v9, vcc
	v_cmp_eq_u32_e64 s[0:1], 2, v15
	v_cndmask_b32_e64 v19, v19, v10, s[0:1]
	v_cndmask_b32_e32 v20, v4, v1, vcc
	v_cndmask_b32_e32 v21, v2, v11, vcc
	v_cmp_eq_u32_e32 vcc, 3, v15
	v_cndmask_b32_e32 v19, v19, v5, vcc
	v_cndmask_b32_e64 v20, v20, v8, s[0:1]
	v_cndmask_b32_e64 v21, v21, v12, s[0:1]
	v_cmp_gt_u32_e64 s[0:1], 4, v15
	v_cndmask_b32_e64 v19, v16, v19, s[0:1]
	;;#ASMSTART
	v_max_f32 v23, v19, v19 quad_perm:[1,0,3,2] row_mask:0xf bank_mask:0xf bound_ctrl:1
	;;#ASMEND
	;;#ASMSTART
	v_max_f32 v24, v23, v23 quad_perm:[2,3,0,1] row_mask:0xf bank_mask:0xf bound_ctrl:1
	;;#ASMEND
	;;#ASMSTART
	v_max_f32 v23, v24, v24 row_half_mirror row_mask:0xf bank_mask:0xf bound_ctrl:1
	;;#ASMEND
	;;#ASMSTART
	v_max_f32 v24, v23, v23 row_mirror row_mask:0xf bank_mask:0xf bound_ctrl:1
	;;#ASMEND
	;;#ASMSTART
	v_max_f32 v23, v24, v24 row_ror:4 row_mask:0xf bank_mask:0xf bound_ctrl:1
	;;#ASMEND
	;;#ASMSTART
	v_max_f32 v24, v23, v23 row_ror:8 row_mask:0xf bank_mask:0xf bound_ctrl:1
	;;#ASMEND
	;;#ASMSTART
	v_max_f32 v23, v24, v24 row_bcast:15 row_mask:0xf bank_mask:0xf bound_ctrl:1
	;;#ASMEND
	;;#ASMSTART
	v_max_f32 v24, v23, v23 row_bcast:31 row_mask:0xf bank_mask:0xf bound_ctrl:1
	;;#ASMEND
	ds_bpermute_b32 v23, v17, v24
	v_cndmask_b32_e32 v20, v20, v7, vcc
	v_cndmask_b32_e32 v21, v21, v3, vcc
	v_cndmask_b32_e64 v22, 0, v20, s[0:1]
	s_waitcnt lgkmcnt(0)
	v_cmp_eq_f32_e32 vcc, v19, v23
	s_ff1_i32_b64 s7, vcc
	s_cmp_lg_u64 vcc, 0
	s_cselect_b32 s7, s7, 0
	v_readlane_b32 s7, v22, s7
	v_cmp_eq_u32_e32 vcc, s7, v20
	s_and_b64 vcc, s[0:1], vcc
	s_and_b32 s12, s7, 63
	v_cndmask_b32_e32 v20, 0, v21, vcc
	v_addc_co_u32_e32 v15, vcc, 0, v15, vcc
	v_readlane_b32 s0, v20, s12
	s_add_i32 s3, s3, -1
	v_mov_b32_e32 v19, s7
	v_mov_b32_e32 v20, s0
	v_cmp_eq_u32_e32 vcc, 0, v18
	s_cmp_eq_u32 s3, 0
	v_add_u32_e32 v18, -1, v18
	v_cndmask_b32_e32 v14, v14, v20, vcc
	v_cndmask_b32_e32 v13, v13, v19, vcc
	s_cbranch_scc0 .LBB142_14
; %bb.15:
	v_cmp_gt_i32_e32 vcc, s2, v0
	s_and_saveexec_b64 s[0:1], vcc
	s_cbranch_execz .LBB142_17
.LBB142_16:
	s_load_dword s2, s[4:5], 0x30
	s_load_dwordx2 s[0:1], s[4:5], 0x20
	s_ashr_i32 s3, s6, 31
	v_lshlrev_b32_e32 v0, 2, v0
	s_waitcnt lgkmcnt(0)
	v_mul_f32_e32 v1, s2, v14
	s_mul_i32 s1, s6, s1
	s_mul_hi_u32 s2, s6, s0
	s_add_i32 s1, s2, s1
	s_mul_i32 s3, s3, s0
	s_add_i32 s1, s1, s3
	s_mul_i32 s0, s6, s0
	s_lshl_b64 s[0:1], s[0:1], 2
	s_add_u32 s2, s8, s0
	s_addc_u32 s3, s9, s1
	s_add_u32 s0, s10, s0
	s_addc_u32 s1, s11, s1
	global_store_dword v0, v1, s[2:3]
	global_store_dword v0, v13, s[0:1]
.LBB142_17:
	s_endpgm
.LBB142_18:
	v_mov_b32_e32 v13, 0
	v_mov_b32_e32 v14, 0
	v_cmp_gt_i32_e32 vcc, s2, v0
	s_and_saveexec_b64 s[0:1], vcc
	s_cbranch_execnz .LBB142_16
	s_branch .LBB142_17
	.section	.rodata,"a",@progbits
	.p2align	6, 0x0
	.amdhsa_kernel _ZN5aiter24topk_softplus_kernel_optI6__halfS1_Li256ELb0ELi1EEEvPKT_PKT0_PfPimiif
		.amdhsa_group_segment_fixed_size 0
		.amdhsa_private_segment_fixed_size 0
		.amdhsa_kernarg_size 52
		.amdhsa_user_sgpr_count 6
		.amdhsa_user_sgpr_private_segment_buffer 1
		.amdhsa_user_sgpr_dispatch_ptr 0
		.amdhsa_user_sgpr_queue_ptr 0
		.amdhsa_user_sgpr_kernarg_segment_ptr 1
		.amdhsa_user_sgpr_dispatch_id 0
		.amdhsa_user_sgpr_flat_scratch_init 0
		.amdhsa_user_sgpr_kernarg_preload_length 0
		.amdhsa_user_sgpr_kernarg_preload_offset 0
		.amdhsa_user_sgpr_private_segment_size 0
		.amdhsa_uses_dynamic_stack 0
		.amdhsa_system_sgpr_private_segment_wavefront_offset 0
		.amdhsa_system_sgpr_workgroup_id_x 1
		.amdhsa_system_sgpr_workgroup_id_y 0
		.amdhsa_system_sgpr_workgroup_id_z 0
		.amdhsa_system_sgpr_workgroup_info 0
		.amdhsa_system_vgpr_workitem_id 0
		.amdhsa_next_free_vgpr 25
		.amdhsa_next_free_sgpr 13
		.amdhsa_accum_offset 28
		.amdhsa_reserve_vcc 1
		.amdhsa_reserve_flat_scratch 0
		.amdhsa_float_round_mode_32 0
		.amdhsa_float_round_mode_16_64 0
		.amdhsa_float_denorm_mode_32 3
		.amdhsa_float_denorm_mode_16_64 3
		.amdhsa_dx10_clamp 1
		.amdhsa_ieee_mode 1
		.amdhsa_fp16_overflow 0
		.amdhsa_tg_split 0
		.amdhsa_exception_fp_ieee_invalid_op 0
		.amdhsa_exception_fp_denorm_src 0
		.amdhsa_exception_fp_ieee_div_zero 0
		.amdhsa_exception_fp_ieee_overflow 0
		.amdhsa_exception_fp_ieee_underflow 0
		.amdhsa_exception_fp_ieee_inexact 0
		.amdhsa_exception_int_div_zero 0
	.end_amdhsa_kernel
	.section	.text._ZN5aiter24topk_softplus_kernel_optI6__halfS1_Li256ELb0ELi1EEEvPKT_PKT0_PfPimiif,"axG",@progbits,_ZN5aiter24topk_softplus_kernel_optI6__halfS1_Li256ELb0ELi1EEEvPKT_PKT0_PfPimiif,comdat
.Lfunc_end142:
	.size	_ZN5aiter24topk_softplus_kernel_optI6__halfS1_Li256ELb0ELi1EEEvPKT_PKT0_PfPimiif, .Lfunc_end142-_ZN5aiter24topk_softplus_kernel_optI6__halfS1_Li256ELb0ELi1EEEvPKT_PKT0_PfPimiif
                                        ; -- End function
	.section	.AMDGPU.csdata,"",@progbits
; Kernel info:
; codeLenInByte = 1176
; NumSgprs: 17
; NumVgprs: 25
; NumAgprs: 0
; TotalNumVgprs: 25
; ScratchSize: 0
; MemoryBound: 0
; FloatMode: 240
; IeeeMode: 1
; LDSByteSize: 0 bytes/workgroup (compile time only)
; SGPRBlocks: 2
; VGPRBlocks: 3
; NumSGPRsForWavesPerEU: 17
; NumVGPRsForWavesPerEU: 25
; AccumOffset: 28
; Occupancy: 8
; WaveLimiterHint : 0
; COMPUTE_PGM_RSRC2:SCRATCH_EN: 0
; COMPUTE_PGM_RSRC2:USER_SGPR: 6
; COMPUTE_PGM_RSRC2:TRAP_HANDLER: 0
; COMPUTE_PGM_RSRC2:TGID_X_EN: 1
; COMPUTE_PGM_RSRC2:TGID_Y_EN: 0
; COMPUTE_PGM_RSRC2:TGID_Z_EN: 0
; COMPUTE_PGM_RSRC2:TIDIG_COMP_CNT: 0
; COMPUTE_PGM_RSRC3_GFX90A:ACCUM_OFFSET: 6
; COMPUTE_PGM_RSRC3_GFX90A:TG_SPLIT: 0
	.section	.text._ZN5aiter24topk_softplus_kernel_optI6__halfS1_Li384ELb1ELi1EEEvPKT_PKT0_PfPimiif,"axG",@progbits,_ZN5aiter24topk_softplus_kernel_optI6__halfS1_Li384ELb1ELi1EEEvPKT_PKT0_PfPimiif,comdat
	.protected	_ZN5aiter24topk_softplus_kernel_optI6__halfS1_Li384ELb1ELi1EEEvPKT_PKT0_PfPimiif ; -- Begin function _ZN5aiter24topk_softplus_kernel_optI6__halfS1_Li384ELb1ELi1EEEvPKT_PKT0_PfPimiif
	.globl	_ZN5aiter24topk_softplus_kernel_optI6__halfS1_Li384ELb1ELi1EEEvPKT_PKT0_PfPimiif
	.p2align	8
	.type	_ZN5aiter24topk_softplus_kernel_optI6__halfS1_Li384ELb1ELi1EEEvPKT_PKT0_PfPimiif,@function
_ZN5aiter24topk_softplus_kernel_optI6__halfS1_Li384ELb1ELi1EEEvPKT_PKT0_PfPimiif: ; @_ZN5aiter24topk_softplus_kernel_optI6__halfS1_Li384ELb1ELi1EEEvPKT_PKT0_PfPimiif
; %bb.0:
	s_load_dwordx4 s[0:3], s[4:5], 0x0
	s_mul_i32 s8, s6, 0x180
	s_ashr_i32 s9, s8, 31
	s_lshl_b64 s[8:9], s[8:9], 1
	v_lshlrev_b32_e32 v1, 1, v0
	s_waitcnt lgkmcnt(0)
	s_add_u32 s10, s0, s8
	s_addc_u32 s11, s1, s9
	global_load_ushort v2, v1, s[10:11]
	s_mov_b32 s1, 0xc2fc0000
	v_mov_b32_e32 v6, 0x42800000
	s_mov_b32 s0, 0xbfb8aa3b
	v_mov_b32_e32 v7, 0x1f800000
	s_cmp_lg_u64 s[2:3], 0
	s_cselect_b64 s[8:9], -1, 0
	s_waitcnt vmcnt(0)
	v_cvt_f32_f16_e32 v3, v2
	v_mul_f32_e32 v3, 0xbfb8aa3b, v3
	v_cmp_gt_f32_e32 vcc, s1, v3
	v_cndmask_b32_e32 v3, 0, v6, vcc
	v_fma_mix_f32 v2, v2, s0, v3 op_sel_hi:[1,0,0]
	v_exp_f32_e32 v2, v2
	v_cndmask_b32_e32 v4, 1.0, v7, vcc
	v_mov_b32_e32 v3, s11
	v_fma_f32 v2, v2, v4, 1.0
	v_rcp_f32_e32 v4, v2
	v_add_co_u32_e32 v2, vcc, s10, v1
	v_addc_co_u32_e32 v3, vcc, 0, v3, vcc
	s_and_b64 vcc, exec, s[8:9]
	v_mov_b32_e32 v5, v4
	s_cbranch_vccz .LBB143_2
; %bb.1:
	global_load_ushort v5, v1, s[2:3]
	s_waitcnt vmcnt(0)
	v_cvt_f32_f16_e32 v5, v5
	v_add_f32_e32 v5, v4, v5
.LBB143_2:
	global_load_ushort v8, v[2:3], off offset:128
	s_waitcnt vmcnt(0)
	v_cvt_f32_f16_e32 v9, v8
	v_mul_f32_e32 v9, 0xbfb8aa3b, v9
	v_cmp_gt_f32_e32 vcc, s1, v9
	v_cndmask_b32_e32 v6, 0, v6, vcc
	v_fma_mix_f32 v6, v8, s0, v6 op_sel_hi:[1,0,0]
	v_exp_f32_e32 v6, v6
	v_cndmask_b32_e32 v7, 1.0, v7, vcc
	s_andn2_b64 vcc, exec, s[8:9]
	v_fma_f32 v6, v6, v7, 1.0
	v_rcp_f32_e32 v6, v6
	v_cndmask_b32_e64 v7, 0, 1, s[8:9]
	v_cmp_ne_u32_e64 s[0:1], 1, v7
	v_mov_b32_e32 v7, v6
	s_cbranch_vccnz .LBB143_4
; %bb.3:
	global_load_ushort v7, v1, s[2:3] offset:128
	s_waitcnt vmcnt(0)
	v_cvt_f32_f16_e32 v7, v7
	v_add_f32_e32 v7, v6, v7
.LBB143_4:
	global_load_ushort v8, v[2:3], off offset:256
	s_mov_b32 s8, 0xc2fc0000
	v_mov_b32_e32 v11, 0x42800000
	s_mov_b32 s7, 0xbfb8aa3b
	v_mov_b32_e32 v10, 0x1f800000
	s_waitcnt vmcnt(0)
	v_cvt_f32_f16_e32 v9, v8
	v_mul_f32_e32 v9, 0xbfb8aa3b, v9
	v_cmp_gt_f32_e32 vcc, s8, v9
	v_cndmask_b32_e32 v12, 0, v11, vcc
	v_fma_mix_f32 v8, v8, s7, v12 op_sel_hi:[1,0,0]
	v_exp_f32_e32 v8, v8
	v_cndmask_b32_e32 v9, 1.0, v10, vcc
	s_and_b64 vcc, exec, s[0:1]
	v_fma_f32 v8, v8, v9, 1.0
	v_rcp_f32_e32 v8, v8
	v_mov_b32_e32 v9, v8
	s_cbranch_vccnz .LBB143_6
; %bb.5:
	global_load_ushort v9, v1, s[2:3] offset:256
	s_waitcnt vmcnt(0)
	v_cvt_f32_f16_e32 v9, v9
	v_add_f32_e32 v9, v8, v9
.LBB143_6:
	global_load_ushort v12, v[2:3], off offset:384
	s_waitcnt vmcnt(0)
	v_cvt_f32_f16_e32 v13, v12
	v_mul_f32_e32 v13, 0xbfb8aa3b, v13
	v_cmp_gt_f32_e32 vcc, s8, v13
	v_cndmask_b32_e32 v11, 0, v11, vcc
	v_fma_mix_f32 v11, v12, s7, v11 op_sel_hi:[1,0,0]
	v_exp_f32_e32 v11, v11
	v_cndmask_b32_e32 v10, 1.0, v10, vcc
	s_and_b64 vcc, exec, s[0:1]
	v_fma_f32 v10, v11, v10, 1.0
	v_rcp_f32_e32 v10, v10
	v_mov_b32_e32 v11, v10
	s_cbranch_vccnz .LBB143_8
; %bb.7:
	global_load_ushort v11, v1, s[2:3] offset:384
	s_waitcnt vmcnt(0)
	v_cvt_f32_f16_e32 v11, v11
	v_add_f32_e32 v11, v10, v11
.LBB143_8:
	global_load_ushort v12, v[2:3], off offset:512
	v_mov_b32_e32 v15, 0x42800000
	v_mov_b32_e32 v14, 0x1f800000
	s_waitcnt vmcnt(0)
	v_cvt_f32_f16_e32 v13, v12
	v_mul_f32_e32 v13, 0xbfb8aa3b, v13
	v_cmp_gt_f32_e32 vcc, s8, v13
	v_cndmask_b32_e32 v16, 0, v15, vcc
	v_fma_mix_f32 v12, v12, s7, v16 op_sel_hi:[1,0,0]
	v_exp_f32_e32 v12, v12
	v_cndmask_b32_e32 v13, 1.0, v14, vcc
	s_and_b64 vcc, exec, s[0:1]
	v_fma_f32 v12, v12, v13, 1.0
	v_rcp_f32_e32 v12, v12
	v_mov_b32_e32 v13, v12
	s_cbranch_vccnz .LBB143_10
; %bb.9:
	global_load_ushort v13, v1, s[2:3] offset:512
	s_waitcnt vmcnt(0)
	v_cvt_f32_f16_e32 v13, v13
	v_add_f32_e32 v13, v12, v13
.LBB143_10:
	global_load_ushort v2, v[2:3], off offset:640
	s_waitcnt vmcnt(0)
	v_cvt_f32_f16_e32 v3, v2
	v_mul_f32_e32 v3, 0xbfb8aa3b, v3
	v_cmp_gt_f32_e32 vcc, s8, v3
	v_cndmask_b32_e32 v3, 1.0, v14, vcc
	v_cndmask_b32_e32 v14, 0, v15, vcc
	v_fma_mix_f32 v2, v2, s7, v14 op_sel_hi:[1,0,0]
	v_exp_f32_e32 v2, v2
	s_and_b64 vcc, exec, s[0:1]
	v_fma_f32 v2, v2, v3, 1.0
	v_rcp_f32_e32 v2, v2
	v_mov_b32_e32 v3, v2
	s_cbranch_vccnz .LBB143_12
; %bb.11:
	global_load_ushort v1, v1, s[2:3] offset:640
	s_waitcnt vmcnt(0)
	v_cvt_f32_f16_e32 v1, v1
	v_add_f32_e32 v3, v2, v1
.LBB143_12:
	v_add_u32_e32 v1, 64, v0
	v_cmp_lt_f32_e32 vcc, v5, v7
	v_add_u32_e32 v14, 0x80, v0
	v_add_u32_e32 v15, 0xc0, v0
	v_cndmask_b32_e32 v18, v6, v4, vcc
	v_cndmask_b32_e32 v4, v4, v6, vcc
	;; [unrolled: 1-line block ×6, first 2 shown]
	v_cmp_lt_f32_e32 vcc, v9, v11
	v_add_u32_e32 v16, 0x100, v0
	v_add_u32_e32 v17, 0x140, v0
	v_cndmask_b32_e32 v7, v10, v8, vcc
	v_cndmask_b32_e32 v8, v8, v10, vcc
	v_cndmask_b32_e32 v10, v15, v14, vcc
	v_cndmask_b32_e32 v14, v14, v15, vcc
	v_cndmask_b32_e32 v15, v11, v9, vcc
	v_cndmask_b32_e32 v9, v9, v11, vcc
	v_cmp_lt_f32_e32 vcc, v13, v3
	v_cndmask_b32_e32 v11, v2, v12, vcc
	v_cndmask_b32_e32 v2, v12, v2, vcc
	v_cndmask_b32_e32 v12, v17, v16, vcc
	v_cndmask_b32_e32 v16, v16, v17, vcc
	v_cndmask_b32_e32 v17, v3, v13, vcc
	v_cndmask_b32_e32 v3, v13, v3, vcc
	v_cmp_lt_f32_e32 vcc, v5, v9
	v_cndmask_b32_e32 v13, v8, v4, vcc
	v_cndmask_b32_e32 v4, v4, v8, vcc
	v_cndmask_b32_e32 v8, v14, v1, vcc
	v_cndmask_b32_e32 v1, v1, v14, vcc
	v_cndmask_b32_e32 v14, v9, v5, vcc
	v_cndmask_b32_e32 v5, v5, v9, vcc
	v_cmp_lt_f32_e32 vcc, v19, v3
	v_cndmask_b32_e32 v9, v2, v18, vcc
	v_cndmask_b32_e32 v18, v18, v2, vcc
	v_cndmask_b32_e32 v20, v16, v6, vcc
	v_cndmask_b32_e32 v6, v6, v16, vcc
	v_cndmask_b32_e32 v21, v3, v19, vcc
	v_cndmask_b32_e32 v3, v19, v3, vcc
	v_cmp_lt_f32_e32 vcc, v15, v17
	v_cndmask_b32_e32 v22, v11, v7, vcc
	v_cndmask_b32_e32 v7, v7, v11, vcc
	v_cndmask_b32_e32 v11, v12, v10, vcc
	v_cndmask_b32_e32 v10, v10, v12, vcc
	v_cndmask_b32_e32 v23, v17, v15, vcc
	v_cndmask_b32_e32 v12, v15, v17, vcc
	v_cmp_lt_f32_e32 vcc, v5, v3
	v_cndmask_b32_e32 v2, v4, v18, vcc
	v_cndmask_b32_e32 v24, v18, v4, vcc
	v_cndmask_b32_e32 v4, v1, v6, vcc
	v_cndmask_b32_e32 v25, v6, v1, vcc
	v_cndmask_b32_e32 v6, v5, v3, vcc
	v_cndmask_b32_e32 v26, v3, v5, vcc
	v_cmp_lt_f32_e32 vcc, v14, v12
	v_cndmask_b32_e32 v19, v7, v13, vcc
	v_cndmask_b32_e32 v1, v13, v7, vcc
	v_cndmask_b32_e32 v15, v10, v8, vcc
	v_cndmask_b32_e32 v3, v8, v10, vcc
	v_cndmask_b32_e32 v16, v12, v14, vcc
	v_cndmask_b32_e32 v13, v14, v12, vcc
	v_cmp_lt_f32_e32 vcc, v21, v23
	v_cndmask_b32_e32 v12, v21, v23, vcc
	v_cmp_lt_f32_e64 s[0:1], v26, v13
	v_cndmask_b32_e32 v5, v22, v9, vcc
	v_cndmask_b32_e32 v8, v9, v22, vcc
	;; [unrolled: 1-line block ×3, first 2 shown]
	v_cndmask_b32_e64 v18, v1, v24, s[0:1]
	v_cndmask_b32_e64 v14, v3, v25, s[0:1]
	;; [unrolled: 1-line block ×3, first 2 shown]
	v_cmp_lt_f32_e64 s[2:3], v16, v12
	v_cndmask_b32_e32 v10, v20, v11, vcc
	v_cndmask_b32_e32 v9, v23, v21, vcc
	v_cndmask_b32_e64 v1, v24, v1, s[0:1]
	v_cndmask_b32_e64 v3, v25, v3, s[0:1]
	;; [unrolled: 1-line block ×3, first 2 shown]
	s_and_saveexec_b64 s[0:1], s[2:3]
	s_xor_b64 s[0:1], exec, s[0:1]
; %bb.13:
	v_mov_b32_e32 v13, v19
	v_mov_b32_e32 v20, v15
	;; [unrolled: 1-line block ×3, first 2 shown]
	v_swap_b32 v16, v12
	v_swap_b32 v19, v8
	;; [unrolled: 1-line block ×3, first 2 shown]
; %bb.14:
	s_or_b64 exec, exec, s[0:1]
	s_load_dword s7, s[4:5], 0x28
	s_load_dwordx4 s[16:19], s[4:5], 0x10
	v_mov_b32_e32 v21, 0
	s_waitcnt lgkmcnt(0)
	s_cmp_lt_i32 s7, 1
	s_cbranch_scc1 .LBB143_20
; %bb.15:
	v_cmp_lt_f32_e32 vcc, v17, v16
	v_cndmask_b32_e32 v13, v15, v14, vcc
	v_cndmask_b32_e32 v14, v14, v15, vcc
	;; [unrolled: 1-line block ×6, first 2 shown]
	v_mbcnt_lo_u32_b32 v19, -1, 0
	v_mbcnt_hi_u32_b32 v19, -1, v19
	v_bfrev_b32_e32 v20, 0.5
	v_mov_b32_e32 v21, 0
	v_mov_b32_e32 v22, 0
	;; [unrolled: 1-line block ×3, first 2 shown]
	v_lshl_or_b32 v24, v19, 2, v20
	v_mov_b32_e32 v25, v0
	s_mov_b32 s20, s7
	v_mov_b32_e32 v19, 0
	v_mov_b32_e32 v20, 0
.LBB143_16:                             ; =>This Inner Loop Header: Depth=1
	v_cmp_eq_u32_e32 vcc, 1, v22
	v_cndmask_b32_e32 v26, v6, v11, vcc
	v_cmp_eq_u32_e64 s[0:1], 2, v22
	v_cndmask_b32_e64 v26, v26, v16, s[0:1]
	v_cmp_eq_u32_e64 s[2:3], 3, v22
	v_cndmask_b32_e64 v26, v26, v15, s[2:3]
	;; [unrolled: 2-line block ×4, first 2 shown]
	v_cmp_gt_u32_e64 s[12:13], 6, v22
	v_cndmask_b32_e64 v26, v23, v26, s[12:13]
	;;#ASMSTART
	v_max_f32 v27, v26, v26 quad_perm:[1,0,3,2] row_mask:0xf bank_mask:0xf bound_ctrl:1
	;;#ASMEND
	;;#ASMSTART
	v_max_f32 v28, v27, v27 quad_perm:[2,3,0,1] row_mask:0xf bank_mask:0xf bound_ctrl:1
	;;#ASMEND
	;;#ASMSTART
	v_max_f32 v27, v28, v28 row_half_mirror row_mask:0xf bank_mask:0xf bound_ctrl:1
	;;#ASMEND
	;;#ASMSTART
	v_max_f32 v28, v27, v27 row_mirror row_mask:0xf bank_mask:0xf bound_ctrl:1
	;;#ASMEND
	;;#ASMSTART
	v_max_f32 v27, v28, v28 row_ror:4 row_mask:0xf bank_mask:0xf bound_ctrl:1
	;;#ASMEND
	;;#ASMSTART
	v_max_f32 v28, v27, v27 row_ror:8 row_mask:0xf bank_mask:0xf bound_ctrl:1
	;;#ASMEND
	;;#ASMSTART
	v_max_f32 v27, v28, v28 row_bcast:15 row_mask:0xf bank_mask:0xf bound_ctrl:1
	;;#ASMEND
	;;#ASMSTART
	v_max_f32 v28, v27, v27 row_bcast:31 row_mask:0xf bank_mask:0xf bound_ctrl:1
	;;#ASMEND
	ds_bpermute_b32 v27, v24, v28
	s_waitcnt lgkmcnt(0)
	v_cmp_eq_f32_e64 s[14:15], v26, v27
	v_cndmask_b32_e32 v26, v4, v3, vcc
	v_cndmask_b32_e64 v26, v26, v14, s[0:1]
	v_cndmask_b32_e64 v26, v26, v13, s[2:3]
	;; [unrolled: 1-line block ×4, first 2 shown]
	s_ff1_i32_b64 s21, s[14:15]
	s_cmp_lg_u64 s[14:15], 0
	s_cselect_b32 s14, s21, 0
	v_cndmask_b32_e64 v27, 0, v26, s[12:13]
	v_readlane_b32 s21, v27, s14
	v_cmp_eq_u32_e64 s[14:15], s21, v26
	v_cndmask_b32_e32 v26, v2, v1, vcc
	v_cndmask_b32_e64 v26, v26, v18, s[0:1]
	v_cndmask_b32_e64 v26, v26, v17, s[2:3]
	;; [unrolled: 1-line block ×4, first 2 shown]
	s_and_b64 vcc, s[12:13], s[14:15]
	s_and_b32 s0, s21, 63
	v_cndmask_b32_e32 v26, 0, v26, vcc
	v_readlane_b32 s2, v26, s0
	v_mov_b32_e32 v26, s2
	v_cmp_eq_u32_e64 s[0:1], 0, v25
	v_cndmask_b32_e64 v20, v20, v26, s[0:1]
	v_mov_b32_e32 v26, s21
	s_add_i32 s20, s20, -1
	v_cndmask_b32_e64 v19, v19, v26, s[0:1]
	v_addc_co_u32_e32 v22, vcc, 0, v22, vcc
	s_cmp_eq_u32 s20, 0
	v_add_f32_e32 v21, s2, v21
	v_add_u32_e32 v25, -1, v25
	s_cbranch_scc0 .LBB143_16
; %bb.17:
	v_cmp_gt_i32_e32 vcc, s7, v0
	s_and_saveexec_b64 s[0:1], vcc
	s_cbranch_execz .LBB143_19
.LBB143_18:
	s_load_dword s2, s[4:5], 0x30
	v_max_f32_e32 v1, v21, v21
	v_max_f32_e32 v1, 0x1e3ce508, v1
	v_lshlrev_b32_e32 v0, 2, v0
	s_waitcnt lgkmcnt(0)
	v_div_scale_f32 v2, s[0:1], v1, v1, s2
	v_rcp_f32_e32 v3, v2
	v_div_scale_f32 v4, vcc, s2, v1, s2
	s_load_dwordx2 s[0:1], s[4:5], 0x20
	v_fma_f32 v5, -v2, v3, 1.0
	v_fmac_f32_e32 v3, v5, v3
	v_mul_f32_e32 v5, v4, v3
	v_fma_f32 v6, -v2, v5, v4
	v_fmac_f32_e32 v5, v6, v3
	v_fma_f32 v2, -v2, v5, v4
	v_div_fmas_f32 v2, v2, v3, v5
	v_div_fixup_f32 v1, v2, v1, s2
	s_ashr_i32 s2, s6, 31
	s_waitcnt lgkmcnt(0)
	s_mul_i32 s1, s6, s1
	s_mul_hi_u32 s3, s6, s0
	s_add_i32 s1, s3, s1
	s_mul_i32 s2, s2, s0
	s_add_i32 s1, s1, s2
	s_mul_i32 s0, s6, s0
	s_lshl_b64 s[0:1], s[0:1], 2
	s_add_u32 s2, s16, s0
	s_addc_u32 s3, s17, s1
	s_add_u32 s0, s18, s0
	v_mul_f32_e32 v1, v20, v1
	s_addc_u32 s1, s19, s1
	global_store_dword v0, v1, s[2:3]
	global_store_dword v0, v19, s[0:1]
.LBB143_19:
	s_endpgm
.LBB143_20:
	v_mov_b32_e32 v19, 0
	v_mov_b32_e32 v20, 0
	v_cmp_gt_i32_e32 vcc, s7, v0
	s_and_saveexec_b64 s[0:1], vcc
	s_cbranch_execnz .LBB143_18
	s_branch .LBB143_19
	.section	.rodata,"a",@progbits
	.p2align	6, 0x0
	.amdhsa_kernel _ZN5aiter24topk_softplus_kernel_optI6__halfS1_Li384ELb1ELi1EEEvPKT_PKT0_PfPimiif
		.amdhsa_group_segment_fixed_size 0
		.amdhsa_private_segment_fixed_size 0
		.amdhsa_kernarg_size 52
		.amdhsa_user_sgpr_count 6
		.amdhsa_user_sgpr_private_segment_buffer 1
		.amdhsa_user_sgpr_dispatch_ptr 0
		.amdhsa_user_sgpr_queue_ptr 0
		.amdhsa_user_sgpr_kernarg_segment_ptr 1
		.amdhsa_user_sgpr_dispatch_id 0
		.amdhsa_user_sgpr_flat_scratch_init 0
		.amdhsa_user_sgpr_kernarg_preload_length 0
		.amdhsa_user_sgpr_kernarg_preload_offset 0
		.amdhsa_user_sgpr_private_segment_size 0
		.amdhsa_uses_dynamic_stack 0
		.amdhsa_system_sgpr_private_segment_wavefront_offset 0
		.amdhsa_system_sgpr_workgroup_id_x 1
		.amdhsa_system_sgpr_workgroup_id_y 0
		.amdhsa_system_sgpr_workgroup_id_z 0
		.amdhsa_system_sgpr_workgroup_info 0
		.amdhsa_system_vgpr_workitem_id 0
		.amdhsa_next_free_vgpr 29
		.amdhsa_next_free_sgpr 22
		.amdhsa_accum_offset 32
		.amdhsa_reserve_vcc 1
		.amdhsa_reserve_flat_scratch 0
		.amdhsa_float_round_mode_32 0
		.amdhsa_float_round_mode_16_64 0
		.amdhsa_float_denorm_mode_32 3
		.amdhsa_float_denorm_mode_16_64 3
		.amdhsa_dx10_clamp 1
		.amdhsa_ieee_mode 1
		.amdhsa_fp16_overflow 0
		.amdhsa_tg_split 0
		.amdhsa_exception_fp_ieee_invalid_op 0
		.amdhsa_exception_fp_denorm_src 0
		.amdhsa_exception_fp_ieee_div_zero 0
		.amdhsa_exception_fp_ieee_overflow 0
		.amdhsa_exception_fp_ieee_underflow 0
		.amdhsa_exception_fp_ieee_inexact 0
		.amdhsa_exception_int_div_zero 0
	.end_amdhsa_kernel
	.section	.text._ZN5aiter24topk_softplus_kernel_optI6__halfS1_Li384ELb1ELi1EEEvPKT_PKT0_PfPimiif,"axG",@progbits,_ZN5aiter24topk_softplus_kernel_optI6__halfS1_Li384ELb1ELi1EEEvPKT_PKT0_PfPimiif,comdat
.Lfunc_end143:
	.size	_ZN5aiter24topk_softplus_kernel_optI6__halfS1_Li384ELb1ELi1EEEvPKT_PKT0_PfPimiif, .Lfunc_end143-_ZN5aiter24topk_softplus_kernel_optI6__halfS1_Li384ELb1ELi1EEEvPKT_PKT0_PfPimiif
                                        ; -- End function
	.section	.AMDGPU.csdata,"",@progbits
; Kernel info:
; codeLenInByte = 1792
; NumSgprs: 26
; NumVgprs: 29
; NumAgprs: 0
; TotalNumVgprs: 29
; ScratchSize: 0
; MemoryBound: 0
; FloatMode: 240
; IeeeMode: 1
; LDSByteSize: 0 bytes/workgroup (compile time only)
; SGPRBlocks: 3
; VGPRBlocks: 3
; NumSGPRsForWavesPerEU: 26
; NumVGPRsForWavesPerEU: 29
; AccumOffset: 32
; Occupancy: 8
; WaveLimiterHint : 0
; COMPUTE_PGM_RSRC2:SCRATCH_EN: 0
; COMPUTE_PGM_RSRC2:USER_SGPR: 6
; COMPUTE_PGM_RSRC2:TRAP_HANDLER: 0
; COMPUTE_PGM_RSRC2:TGID_X_EN: 1
; COMPUTE_PGM_RSRC2:TGID_Y_EN: 0
; COMPUTE_PGM_RSRC2:TGID_Z_EN: 0
; COMPUTE_PGM_RSRC2:TIDIG_COMP_CNT: 0
; COMPUTE_PGM_RSRC3_GFX90A:ACCUM_OFFSET: 7
; COMPUTE_PGM_RSRC3_GFX90A:TG_SPLIT: 0
	.section	.text._ZN5aiter24topk_softplus_kernel_optI6__halfS1_Li384ELb0ELi1EEEvPKT_PKT0_PfPimiif,"axG",@progbits,_ZN5aiter24topk_softplus_kernel_optI6__halfS1_Li384ELb0ELi1EEEvPKT_PKT0_PfPimiif,comdat
	.protected	_ZN5aiter24topk_softplus_kernel_optI6__halfS1_Li384ELb0ELi1EEEvPKT_PKT0_PfPimiif ; -- Begin function _ZN5aiter24topk_softplus_kernel_optI6__halfS1_Li384ELb0ELi1EEEvPKT_PKT0_PfPimiif
	.globl	_ZN5aiter24topk_softplus_kernel_optI6__halfS1_Li384ELb0ELi1EEEvPKT_PKT0_PfPimiif
	.p2align	8
	.type	_ZN5aiter24topk_softplus_kernel_optI6__halfS1_Li384ELb0ELi1EEEvPKT_PKT0_PfPimiif,@function
_ZN5aiter24topk_softplus_kernel_optI6__halfS1_Li384ELb0ELi1EEEvPKT_PKT0_PfPimiif: ; @_ZN5aiter24topk_softplus_kernel_optI6__halfS1_Li384ELb0ELi1EEEvPKT_PKT0_PfPimiif
; %bb.0:
	s_load_dwordx4 s[0:3], s[4:5], 0x0
	s_mul_i32 s8, s6, 0x180
	s_ashr_i32 s9, s8, 31
	s_lshl_b64 s[8:9], s[8:9], 1
	v_lshlrev_b32_e32 v1, 1, v0
	s_waitcnt lgkmcnt(0)
	s_add_u32 s10, s0, s8
	s_addc_u32 s11, s1, s9
	global_load_ushort v2, v1, s[10:11]
	s_mov_b32 s1, 0xc2fc0000
	v_mov_b32_e32 v6, 0x42800000
	s_mov_b32 s0, 0xbfb8aa3b
	v_mov_b32_e32 v7, 0x1f800000
	s_cmp_lg_u64 s[2:3], 0
	s_cselect_b64 s[8:9], -1, 0
	s_waitcnt vmcnt(0)
	v_cvt_f32_f16_e32 v3, v2
	v_mul_f32_e32 v3, 0xbfb8aa3b, v3
	v_cmp_gt_f32_e32 vcc, s1, v3
	v_cndmask_b32_e32 v3, 0, v6, vcc
	v_fma_mix_f32 v2, v2, s0, v3 op_sel_hi:[1,0,0]
	v_exp_f32_e32 v2, v2
	v_cndmask_b32_e32 v4, 1.0, v7, vcc
	v_mov_b32_e32 v3, s11
	v_fma_f32 v2, v2, v4, 1.0
	v_rcp_f32_e32 v4, v2
	v_add_co_u32_e32 v2, vcc, s10, v1
	v_addc_co_u32_e32 v3, vcc, 0, v3, vcc
	s_and_b64 vcc, exec, s[8:9]
	v_mov_b32_e32 v5, v4
	s_cbranch_vccz .LBB144_2
; %bb.1:
	global_load_ushort v5, v1, s[2:3]
	s_waitcnt vmcnt(0)
	v_cvt_f32_f16_e32 v5, v5
	v_add_f32_e32 v5, v4, v5
.LBB144_2:
	global_load_ushort v8, v[2:3], off offset:128
	s_waitcnt vmcnt(0)
	v_cvt_f32_f16_e32 v9, v8
	v_mul_f32_e32 v9, 0xbfb8aa3b, v9
	v_cmp_gt_f32_e32 vcc, s1, v9
	v_cndmask_b32_e32 v6, 0, v6, vcc
	v_fma_mix_f32 v6, v8, s0, v6 op_sel_hi:[1,0,0]
	v_exp_f32_e32 v6, v6
	v_cndmask_b32_e32 v7, 1.0, v7, vcc
	s_andn2_b64 vcc, exec, s[8:9]
	v_fma_f32 v6, v6, v7, 1.0
	v_rcp_f32_e32 v6, v6
	v_cndmask_b32_e64 v7, 0, 1, s[8:9]
	v_cmp_ne_u32_e64 s[0:1], 1, v7
	v_mov_b32_e32 v7, v6
	s_cbranch_vccnz .LBB144_4
; %bb.3:
	global_load_ushort v7, v1, s[2:3] offset:128
	s_waitcnt vmcnt(0)
	v_cvt_f32_f16_e32 v7, v7
	v_add_f32_e32 v7, v6, v7
.LBB144_4:
	global_load_ushort v8, v[2:3], off offset:256
	s_mov_b32 s8, 0xc2fc0000
	v_mov_b32_e32 v11, 0x42800000
	s_mov_b32 s7, 0xbfb8aa3b
	v_mov_b32_e32 v10, 0x1f800000
	s_waitcnt vmcnt(0)
	v_cvt_f32_f16_e32 v9, v8
	v_mul_f32_e32 v9, 0xbfb8aa3b, v9
	v_cmp_gt_f32_e32 vcc, s8, v9
	v_cndmask_b32_e32 v12, 0, v11, vcc
	v_fma_mix_f32 v8, v8, s7, v12 op_sel_hi:[1,0,0]
	v_exp_f32_e32 v8, v8
	v_cndmask_b32_e32 v9, 1.0, v10, vcc
	s_and_b64 vcc, exec, s[0:1]
	v_fma_f32 v8, v8, v9, 1.0
	v_rcp_f32_e32 v8, v8
	v_mov_b32_e32 v9, v8
	s_cbranch_vccnz .LBB144_6
; %bb.5:
	global_load_ushort v9, v1, s[2:3] offset:256
	s_waitcnt vmcnt(0)
	v_cvt_f32_f16_e32 v9, v9
	v_add_f32_e32 v9, v8, v9
.LBB144_6:
	global_load_ushort v12, v[2:3], off offset:384
	s_waitcnt vmcnt(0)
	v_cvt_f32_f16_e32 v13, v12
	v_mul_f32_e32 v13, 0xbfb8aa3b, v13
	v_cmp_gt_f32_e32 vcc, s8, v13
	v_cndmask_b32_e32 v11, 0, v11, vcc
	v_fma_mix_f32 v11, v12, s7, v11 op_sel_hi:[1,0,0]
	v_exp_f32_e32 v11, v11
	v_cndmask_b32_e32 v10, 1.0, v10, vcc
	s_and_b64 vcc, exec, s[0:1]
	v_fma_f32 v10, v11, v10, 1.0
	v_rcp_f32_e32 v10, v10
	v_mov_b32_e32 v11, v10
	s_cbranch_vccnz .LBB144_8
; %bb.7:
	global_load_ushort v11, v1, s[2:3] offset:384
	s_waitcnt vmcnt(0)
	v_cvt_f32_f16_e32 v11, v11
	v_add_f32_e32 v11, v10, v11
.LBB144_8:
	global_load_ushort v12, v[2:3], off offset:512
	v_mov_b32_e32 v15, 0x42800000
	v_mov_b32_e32 v14, 0x1f800000
	s_waitcnt vmcnt(0)
	v_cvt_f32_f16_e32 v13, v12
	v_mul_f32_e32 v13, 0xbfb8aa3b, v13
	v_cmp_gt_f32_e32 vcc, s8, v13
	v_cndmask_b32_e32 v16, 0, v15, vcc
	v_fma_mix_f32 v12, v12, s7, v16 op_sel_hi:[1,0,0]
	v_exp_f32_e32 v12, v12
	v_cndmask_b32_e32 v13, 1.0, v14, vcc
	s_and_b64 vcc, exec, s[0:1]
	v_fma_f32 v12, v12, v13, 1.0
	v_rcp_f32_e32 v12, v12
	v_mov_b32_e32 v13, v12
	s_cbranch_vccnz .LBB144_10
; %bb.9:
	global_load_ushort v13, v1, s[2:3] offset:512
	s_waitcnt vmcnt(0)
	v_cvt_f32_f16_e32 v13, v13
	v_add_f32_e32 v13, v12, v13
.LBB144_10:
	global_load_ushort v2, v[2:3], off offset:640
	s_waitcnt vmcnt(0)
	v_cvt_f32_f16_e32 v3, v2
	v_mul_f32_e32 v3, 0xbfb8aa3b, v3
	v_cmp_gt_f32_e32 vcc, s8, v3
	v_cndmask_b32_e32 v3, 1.0, v14, vcc
	v_cndmask_b32_e32 v14, 0, v15, vcc
	v_fma_mix_f32 v2, v2, s7, v14 op_sel_hi:[1,0,0]
	v_exp_f32_e32 v2, v2
	s_and_b64 vcc, exec, s[0:1]
	v_fma_f32 v2, v2, v3, 1.0
	v_rcp_f32_e32 v2, v2
	v_mov_b32_e32 v3, v2
	s_cbranch_vccnz .LBB144_12
; %bb.11:
	global_load_ushort v1, v1, s[2:3] offset:640
	s_waitcnt vmcnt(0)
	v_cvt_f32_f16_e32 v1, v1
	v_add_f32_e32 v3, v2, v1
.LBB144_12:
	v_add_u32_e32 v1, 64, v0
	v_cmp_lt_f32_e32 vcc, v5, v7
	v_add_u32_e32 v14, 0x80, v0
	v_add_u32_e32 v15, 0xc0, v0
	v_cndmask_b32_e32 v18, v6, v4, vcc
	v_cndmask_b32_e32 v4, v4, v6, vcc
	;; [unrolled: 1-line block ×6, first 2 shown]
	v_cmp_lt_f32_e32 vcc, v9, v11
	v_add_u32_e32 v16, 0x100, v0
	v_add_u32_e32 v17, 0x140, v0
	v_cndmask_b32_e32 v7, v10, v8, vcc
	v_cndmask_b32_e32 v8, v8, v10, vcc
	v_cndmask_b32_e32 v10, v15, v14, vcc
	v_cndmask_b32_e32 v14, v14, v15, vcc
	v_cndmask_b32_e32 v15, v11, v9, vcc
	v_cndmask_b32_e32 v9, v9, v11, vcc
	v_cmp_lt_f32_e32 vcc, v13, v3
	v_cndmask_b32_e32 v11, v2, v12, vcc
	v_cndmask_b32_e32 v2, v12, v2, vcc
	v_cndmask_b32_e32 v12, v17, v16, vcc
	v_cndmask_b32_e32 v16, v16, v17, vcc
	v_cndmask_b32_e32 v17, v3, v13, vcc
	v_cndmask_b32_e32 v3, v13, v3, vcc
	v_cmp_lt_f32_e32 vcc, v5, v9
	;; [unrolled: 7-line block ×7, first 2 shown]
	v_cndmask_b32_e32 v12, v21, v23, vcc
	v_cmp_lt_f32_e64 s[0:1], v26, v13
	v_cndmask_b32_e32 v5, v22, v9, vcc
	v_cndmask_b32_e32 v8, v9, v22, vcc
	;; [unrolled: 1-line block ×3, first 2 shown]
	v_cndmask_b32_e64 v18, v1, v24, s[0:1]
	v_cndmask_b32_e64 v14, v3, v25, s[0:1]
	v_cndmask_b32_e64 v17, v13, v26, s[0:1]
	v_cmp_lt_f32_e64 s[2:3], v16, v12
	v_cndmask_b32_e32 v10, v20, v11, vcc
	v_cndmask_b32_e32 v9, v23, v21, vcc
	v_cndmask_b32_e64 v1, v24, v1, s[0:1]
	v_cndmask_b32_e64 v3, v25, v3, s[0:1]
	;; [unrolled: 1-line block ×3, first 2 shown]
	s_and_saveexec_b64 s[0:1], s[2:3]
	s_xor_b64 s[0:1], exec, s[0:1]
; %bb.13:
	v_mov_b32_e32 v13, v19
	v_mov_b32_e32 v20, v15
	;; [unrolled: 1-line block ×3, first 2 shown]
	v_swap_b32 v16, v12
	v_swap_b32 v19, v8
	;; [unrolled: 1-line block ×3, first 2 shown]
; %bb.14:
	s_or_b64 exec, exec, s[0:1]
	s_load_dword s7, s[4:5], 0x28
	s_load_dwordx4 s[16:19], s[4:5], 0x10
	s_waitcnt lgkmcnt(0)
	s_cmp_lt_i32 s7, 1
	s_cbranch_scc1 .LBB144_20
; %bb.15:
	v_cmp_lt_f32_e32 vcc, v17, v16
	v_cndmask_b32_e32 v13, v15, v14, vcc
	v_cndmask_b32_e32 v14, v14, v15, vcc
	;; [unrolled: 1-line block ×6, first 2 shown]
	v_mbcnt_lo_u32_b32 v19, -1, 0
	v_mbcnt_hi_u32_b32 v19, -1, v19
	v_bfrev_b32_e32 v23, 0.5
	v_mov_b32_e32 v21, 0
	v_mov_b32_e32 v20, 0
	;; [unrolled: 1-line block ×3, first 2 shown]
	v_lshl_or_b32 v23, v19, 2, v23
	v_mov_b32_e32 v24, v0
	s_mov_b32 s20, s7
	v_mov_b32_e32 v19, 0
.LBB144_16:                             ; =>This Inner Loop Header: Depth=1
	v_cmp_eq_u32_e32 vcc, 1, v21
	v_cndmask_b32_e32 v25, v6, v11, vcc
	v_cmp_eq_u32_e64 s[0:1], 2, v21
	v_cndmask_b32_e64 v25, v25, v16, s[0:1]
	v_cmp_eq_u32_e64 s[2:3], 3, v21
	v_cndmask_b32_e64 v25, v25, v15, s[2:3]
	;; [unrolled: 2-line block ×4, first 2 shown]
	v_cmp_gt_u32_e64 s[12:13], 6, v21
	v_cndmask_b32_e64 v25, v22, v25, s[12:13]
	;;#ASMSTART
	v_max_f32 v26, v25, v25 quad_perm:[1,0,3,2] row_mask:0xf bank_mask:0xf bound_ctrl:1
	;;#ASMEND
	;;#ASMSTART
	v_max_f32 v27, v26, v26 quad_perm:[2,3,0,1] row_mask:0xf bank_mask:0xf bound_ctrl:1
	;;#ASMEND
	;;#ASMSTART
	v_max_f32 v26, v27, v27 row_half_mirror row_mask:0xf bank_mask:0xf bound_ctrl:1
	;;#ASMEND
	;;#ASMSTART
	v_max_f32 v27, v26, v26 row_mirror row_mask:0xf bank_mask:0xf bound_ctrl:1
	;;#ASMEND
	;;#ASMSTART
	v_max_f32 v26, v27, v27 row_ror:4 row_mask:0xf bank_mask:0xf bound_ctrl:1
	;;#ASMEND
	;;#ASMSTART
	v_max_f32 v27, v26, v26 row_ror:8 row_mask:0xf bank_mask:0xf bound_ctrl:1
	;;#ASMEND
	;;#ASMSTART
	v_max_f32 v26, v27, v27 row_bcast:15 row_mask:0xf bank_mask:0xf bound_ctrl:1
	;;#ASMEND
	;;#ASMSTART
	v_max_f32 v27, v26, v26 row_bcast:31 row_mask:0xf bank_mask:0xf bound_ctrl:1
	;;#ASMEND
	ds_bpermute_b32 v26, v23, v27
	s_waitcnt lgkmcnt(0)
	v_cmp_eq_f32_e64 s[14:15], v25, v26
	v_cndmask_b32_e32 v25, v4, v3, vcc
	v_cndmask_b32_e64 v25, v25, v14, s[0:1]
	v_cndmask_b32_e64 v25, v25, v13, s[2:3]
	;; [unrolled: 1-line block ×4, first 2 shown]
	s_ff1_i32_b64 s21, s[14:15]
	s_cmp_lg_u64 s[14:15], 0
	s_cselect_b32 s14, s21, 0
	v_cndmask_b32_e64 v26, 0, v25, s[12:13]
	v_readlane_b32 s21, v26, s14
	v_cmp_eq_u32_e64 s[14:15], s21, v25
	v_cndmask_b32_e32 v25, v2, v1, vcc
	v_cndmask_b32_e64 v25, v25, v18, s[0:1]
	v_cndmask_b32_e64 v25, v25, v17, s[2:3]
	;; [unrolled: 1-line block ×4, first 2 shown]
	s_and_b64 vcc, s[12:13], s[14:15]
	s_and_b32 s0, s21, 63
	v_cndmask_b32_e32 v25, 0, v25, vcc
	v_readlane_b32 s0, v25, s0
	v_mov_b32_e32 v25, s0
	v_cmp_eq_u32_e64 s[0:1], 0, v24
	v_cndmask_b32_e64 v20, v20, v25, s[0:1]
	v_mov_b32_e32 v25, s21
	s_add_i32 s20, s20, -1
	v_cndmask_b32_e64 v19, v19, v25, s[0:1]
	v_addc_co_u32_e32 v21, vcc, 0, v21, vcc
	s_cmp_eq_u32 s20, 0
	v_add_u32_e32 v24, -1, v24
	s_cbranch_scc0 .LBB144_16
; %bb.17:
	v_cmp_gt_i32_e32 vcc, s7, v0
	s_and_saveexec_b64 s[0:1], vcc
	s_cbranch_execz .LBB144_19
.LBB144_18:
	s_load_dword s2, s[4:5], 0x30
	s_load_dwordx2 s[0:1], s[4:5], 0x20
	s_ashr_i32 s3, s6, 31
	v_lshlrev_b32_e32 v0, 2, v0
	s_waitcnt lgkmcnt(0)
	v_mul_f32_e32 v1, s2, v20
	s_mul_i32 s1, s6, s1
	s_mul_hi_u32 s2, s6, s0
	s_add_i32 s1, s2, s1
	s_mul_i32 s3, s3, s0
	s_add_i32 s1, s1, s3
	s_mul_i32 s0, s6, s0
	s_lshl_b64 s[0:1], s[0:1], 2
	s_add_u32 s2, s16, s0
	s_addc_u32 s3, s17, s1
	s_add_u32 s0, s18, s0
	s_addc_u32 s1, s19, s1
	global_store_dword v0, v1, s[2:3]
	global_store_dword v0, v19, s[0:1]
.LBB144_19:
	s_endpgm
.LBB144_20:
	v_mov_b32_e32 v19, 0
	v_mov_b32_e32 v20, 0
	v_cmp_gt_i32_e32 vcc, s7, v0
	s_and_saveexec_b64 s[0:1], vcc
	s_cbranch_execnz .LBB144_18
	s_branch .LBB144_19
	.section	.rodata,"a",@progbits
	.p2align	6, 0x0
	.amdhsa_kernel _ZN5aiter24topk_softplus_kernel_optI6__halfS1_Li384ELb0ELi1EEEvPKT_PKT0_PfPimiif
		.amdhsa_group_segment_fixed_size 0
		.amdhsa_private_segment_fixed_size 0
		.amdhsa_kernarg_size 52
		.amdhsa_user_sgpr_count 6
		.amdhsa_user_sgpr_private_segment_buffer 1
		.amdhsa_user_sgpr_dispatch_ptr 0
		.amdhsa_user_sgpr_queue_ptr 0
		.amdhsa_user_sgpr_kernarg_segment_ptr 1
		.amdhsa_user_sgpr_dispatch_id 0
		.amdhsa_user_sgpr_flat_scratch_init 0
		.amdhsa_user_sgpr_kernarg_preload_length 0
		.amdhsa_user_sgpr_kernarg_preload_offset 0
		.amdhsa_user_sgpr_private_segment_size 0
		.amdhsa_uses_dynamic_stack 0
		.amdhsa_system_sgpr_private_segment_wavefront_offset 0
		.amdhsa_system_sgpr_workgroup_id_x 1
		.amdhsa_system_sgpr_workgroup_id_y 0
		.amdhsa_system_sgpr_workgroup_id_z 0
		.amdhsa_system_sgpr_workgroup_info 0
		.amdhsa_system_vgpr_workitem_id 0
		.amdhsa_next_free_vgpr 28
		.amdhsa_next_free_sgpr 22
		.amdhsa_accum_offset 28
		.amdhsa_reserve_vcc 1
		.amdhsa_reserve_flat_scratch 0
		.amdhsa_float_round_mode_32 0
		.amdhsa_float_round_mode_16_64 0
		.amdhsa_float_denorm_mode_32 3
		.amdhsa_float_denorm_mode_16_64 3
		.amdhsa_dx10_clamp 1
		.amdhsa_ieee_mode 1
		.amdhsa_fp16_overflow 0
		.amdhsa_tg_split 0
		.amdhsa_exception_fp_ieee_invalid_op 0
		.amdhsa_exception_fp_denorm_src 0
		.amdhsa_exception_fp_ieee_div_zero 0
		.amdhsa_exception_fp_ieee_overflow 0
		.amdhsa_exception_fp_ieee_underflow 0
		.amdhsa_exception_fp_ieee_inexact 0
		.amdhsa_exception_int_div_zero 0
	.end_amdhsa_kernel
	.section	.text._ZN5aiter24topk_softplus_kernel_optI6__halfS1_Li384ELb0ELi1EEEvPKT_PKT0_PfPimiif,"axG",@progbits,_ZN5aiter24topk_softplus_kernel_optI6__halfS1_Li384ELb0ELi1EEEvPKT_PKT0_PfPimiif,comdat
.Lfunc_end144:
	.size	_ZN5aiter24topk_softplus_kernel_optI6__halfS1_Li384ELb0ELi1EEEvPKT_PKT0_PfPimiif, .Lfunc_end144-_ZN5aiter24topk_softplus_kernel_optI6__halfS1_Li384ELb0ELi1EEEvPKT_PKT0_PfPimiif
                                        ; -- End function
	.section	.AMDGPU.csdata,"",@progbits
; Kernel info:
; codeLenInByte = 1692
; NumSgprs: 26
; NumVgprs: 28
; NumAgprs: 0
; TotalNumVgprs: 28
; ScratchSize: 0
; MemoryBound: 0
; FloatMode: 240
; IeeeMode: 1
; LDSByteSize: 0 bytes/workgroup (compile time only)
; SGPRBlocks: 3
; VGPRBlocks: 3
; NumSGPRsForWavesPerEU: 26
; NumVGPRsForWavesPerEU: 28
; AccumOffset: 28
; Occupancy: 8
; WaveLimiterHint : 0
; COMPUTE_PGM_RSRC2:SCRATCH_EN: 0
; COMPUTE_PGM_RSRC2:USER_SGPR: 6
; COMPUTE_PGM_RSRC2:TRAP_HANDLER: 0
; COMPUTE_PGM_RSRC2:TGID_X_EN: 1
; COMPUTE_PGM_RSRC2:TGID_Y_EN: 0
; COMPUTE_PGM_RSRC2:TGID_Z_EN: 0
; COMPUTE_PGM_RSRC2:TIDIG_COMP_CNT: 0
; COMPUTE_PGM_RSRC3_GFX90A:ACCUM_OFFSET: 6
; COMPUTE_PGM_RSRC3_GFX90A:TG_SPLIT: 0
	.section	.text._ZN5aiter20topk_softplus_kernelI6__halfS1_Dv4_fLb1ELi1EEEvPKT_PKT0_PfPimiiif,"axG",@progbits,_ZN5aiter20topk_softplus_kernelI6__halfS1_Dv4_fLb1ELi1EEEvPKT_PKT0_PfPimiiif,comdat
	.protected	_ZN5aiter20topk_softplus_kernelI6__halfS1_Dv4_fLb1ELi1EEEvPKT_PKT0_PfPimiiif ; -- Begin function _ZN5aiter20topk_softplus_kernelI6__halfS1_Dv4_fLb1ELi1EEEvPKT_PKT0_PfPimiiif
	.globl	_ZN5aiter20topk_softplus_kernelI6__halfS1_Dv4_fLb1ELi1EEEvPKT_PKT0_PfPimiiif
	.p2align	8
	.type	_ZN5aiter20topk_softplus_kernelI6__halfS1_Dv4_fLb1ELi1EEEvPKT_PKT0_PfPimiiif,@function
_ZN5aiter20topk_softplus_kernelI6__halfS1_Dv4_fLb1ELi1EEEvPKT_PKT0_PfPimiiif: ; @_ZN5aiter20topk_softplus_kernelI6__halfS1_Dv4_fLb1ELi1EEEvPKT_PKT0_PfPimiiif
; %bb.0:
	s_load_dwordx2 s[16:17], s[4:5], 0x28
	s_load_dwordx8 s[8:15], s[4:5], 0x0
	v_lshlrev_b32_e32 v1, 2, v0
	v_lshl_add_u32 v12, v0, 4, 0
	s_waitcnt lgkmcnt(0)
	s_ashr_i32 s0, s16, 31
	s_lshr_b32 s0, s0, 30
	s_add_i32 s0, s16, s0
	s_mul_i32 s18, s6, s16
	s_ashr_i32 s7, s0, 2
	s_ashr_i32 s19, s18, 31
	v_cmp_gt_i32_e64 s[0:1], s7, v0
	s_and_saveexec_b64 s[20:21], s[0:1]
	s_cbranch_execz .LBB145_11
; %bb.1:
	s_load_dword s24, s[4:5], 0x44
	s_cmp_lg_u64 s[10:11], 0
	s_cselect_b64 s[2:3], -1, 0
	v_lshlrev_b32_e32 v2, 3, v0
	s_mov_b64 s[22:23], 0
	s_waitcnt lgkmcnt(0)
	s_and_b32 s24, s24, 0xffff
	s_add_u32 s25, s10, 2
	s_addc_u32 s26, s11, 0
	s_add_u32 s27, s10, 4
	s_addc_u32 s28, s11, 0
	;; [unrolled: 2-line block ×3, first 2 shown]
	s_lshl_b64 s[34:35], s[18:19], 1
	s_add_u32 s33, s8, s34
	s_addc_u32 s34, s9, s35
	v_mov_b32_e32 v3, s34
	v_add_co_u32_e32 v6, vcc, s33, v2
	v_cndmask_b32_e64 v2, 0, 1, s[2:3]
	s_mov_b32 s31, 0
	v_addc_co_u32_e32 v7, vcc, 0, v3, vcc
	s_lshl_b32 s33, s24, 3
	v_lshlrev_b32_e32 v8, 2, v0
	s_lshl_b32 s34, s24, 2
	v_lshl_add_u32 v13, v0, 4, 0
	s_lshl_b32 s35, s24, 4
	v_mov_b32_e32 v9, 0
	s_mov_b32 s36, 0xbfb8aa3b
	s_mov_b32 s37, 0xc2fc0000
	v_mov_b32_e32 v14, 0x1f800000
	v_mov_b32_e32 v15, 0x42800000
	v_cmp_ne_u32_e64 s[2:3], 1, v2
	v_mov_b32_e32 v16, v0
	s_branch .LBB145_3
.LBB145_2:                              ;   in Loop: Header=BB145_3 Depth=1
	ds_write_b128 v13, v[2:5]
	v_mov_b32_e32 v2, s31
	v_add_co_u32_e32 v6, vcc, s33, v6
	v_add_u32_e32 v16, s24, v16
	v_addc_co_u32_e32 v7, vcc, v7, v2, vcc
	v_cmp_le_i32_e32 vcc, s7, v16
	v_add_u32_e32 v8, s34, v8
	s_or_b64 s[22:23], vcc, s[22:23]
	v_add_u32_e32 v13, s35, v13
	s_andn2_b64 exec, exec, s[22:23]
	s_cbranch_execz .LBB145_11
.LBB145_3:                              ; =>This Inner Loop Header: Depth=1
	global_load_dwordx2 v[4:5], v[6:7], off
	v_lshlrev_b64 v[10:11], 1, v[8:9]
	s_waitcnt vmcnt(0)
	v_cvt_f32_f16_e32 v2, v4
	v_mul_f32_e32 v2, 0xbfb8aa3b, v2
	v_cmp_gt_f32_e32 vcc, s37, v2
	v_cndmask_b32_e32 v3, 0, v15, vcc
	v_fma_mix_f32 v3, v4, s36, v3 op_sel_hi:[1,0,0]
	v_exp_f32_e32 v3, v3
	v_cndmask_b32_e32 v2, 1.0, v14, vcc
	s_and_b64 vcc, exec, s[2:3]
	v_fma_f32 v2, v3, v2, 1.0
	v_rcp_f32_e32 v2, v2
	s_cbranch_vccnz .LBB145_5
; %bb.4:                                ;   in Loop: Header=BB145_3 Depth=1
	v_mov_b32_e32 v3, s11
	v_add_co_u32_e32 v18, vcc, s10, v10
	v_addc_co_u32_e32 v19, vcc, v3, v11, vcc
	global_load_ushort v3, v[18:19], off
	s_waitcnt vmcnt(0)
	v_cvt_f32_f16_e32 v3, v3
	v_add_f32_e32 v2, v2, v3
.LBB145_5:                              ;   in Loop: Header=BB145_3 Depth=1
	v_cvt_f32_f16_sdwa v3, v4 dst_sel:DWORD dst_unused:UNUSED_PAD src0_sel:WORD_1
	v_mul_f32_e32 v3, 0xbfb8aa3b, v3
	v_cmp_gt_f32_e32 vcc, s37, v3
	v_cndmask_b32_e32 v17, 0, v15, vcc
	v_fma_mix_f32 v4, v4, s36, v17 op_sel:[1,0,0] op_sel_hi:[1,0,0]
	v_exp_f32_e32 v4, v4
	v_cndmask_b32_e32 v3, 1.0, v14, vcc
	s_and_b64 vcc, exec, s[2:3]
	v_fma_f32 v3, v4, v3, 1.0
	v_rcp_f32_e32 v3, v3
	s_cbranch_vccnz .LBB145_7
; %bb.6:                                ;   in Loop: Header=BB145_3 Depth=1
	v_mov_b32_e32 v4, s26
	v_add_co_u32_e32 v18, vcc, s25, v10
	v_addc_co_u32_e32 v19, vcc, v4, v11, vcc
	global_load_ushort v4, v[18:19], off
	s_waitcnt vmcnt(0)
	v_cvt_f32_f16_e32 v4, v4
	v_add_f32_e32 v3, v3, v4
.LBB145_7:                              ;   in Loop: Header=BB145_3 Depth=1
	v_cvt_f32_f16_e32 v4, v5
	v_mul_f32_e32 v4, 0xbfb8aa3b, v4
	v_cmp_gt_f32_e32 vcc, s37, v4
	v_cndmask_b32_e32 v17, 0, v15, vcc
	v_fma_mix_f32 v17, v5, s36, v17 op_sel_hi:[1,0,0]
	v_exp_f32_e32 v17, v17
	v_cndmask_b32_e32 v4, 1.0, v14, vcc
	s_and_b64 vcc, exec, s[2:3]
	v_fma_f32 v4, v17, v4, 1.0
	v_rcp_f32_e32 v4, v4
	s_cbranch_vccnz .LBB145_9
; %bb.8:                                ;   in Loop: Header=BB145_3 Depth=1
	v_mov_b32_e32 v17, s28
	v_add_co_u32_e32 v18, vcc, s27, v10
	v_addc_co_u32_e32 v19, vcc, v17, v11, vcc
	global_load_ushort v17, v[18:19], off
	s_waitcnt vmcnt(0)
	v_cvt_f32_f16_e32 v17, v17
	v_add_f32_e32 v4, v4, v17
.LBB145_9:                              ;   in Loop: Header=BB145_3 Depth=1
	v_cvt_f32_f16_sdwa v17, v5 dst_sel:DWORD dst_unused:UNUSED_PAD src0_sel:WORD_1
	v_mul_f32_e32 v17, 0xbfb8aa3b, v17
	v_cmp_gt_f32_e32 vcc, s37, v17
	v_cndmask_b32_e32 v18, 0, v15, vcc
	v_fma_mix_f32 v5, v5, s36, v18 op_sel:[1,0,0] op_sel_hi:[1,0,0]
	v_exp_f32_e32 v5, v5
	v_cndmask_b32_e32 v17, 1.0, v14, vcc
	s_and_b64 vcc, exec, s[2:3]
	v_fma_f32 v5, v5, v17, 1.0
	v_rcp_f32_e32 v5, v5
	s_cbranch_vccnz .LBB145_2
; %bb.10:                               ;   in Loop: Header=BB145_3 Depth=1
	v_mov_b32_e32 v17, s30
	v_add_co_u32_e32 v10, vcc, s29, v10
	v_addc_co_u32_e32 v11, vcc, v17, v11, vcc
	global_load_ushort v10, v[10:11], off
	s_waitcnt vmcnt(0)
	v_cvt_f32_f16_e32 v10, v10
	v_add_f32_e32 v5, v5, v10
	s_branch .LBB145_2
.LBB145_11:
	s_or_b64 exec, exec, s[20:21]
	v_lshl_add_u32 v2, s7, 2, v0
	v_cmp_gt_i32_e32 vcc, s16, v2
	s_and_saveexec_b64 s[20:21], vcc
	s_cbranch_execz .LBB145_16
; %bb.12:
	s_lshl_b64 s[2:3], s[18:19], 1
	s_load_dword s19, s[4:5], 0x44
	s_add_u32 s18, s8, s2
	s_addc_u32 s23, s9, s3
	s_cmp_lg_u64 s[10:11], 0
	s_cselect_b64 s[2:3], -1, 0
	s_lshl_b32 s22, s7, 4
	s_waitcnt lgkmcnt(0)
	s_and_b32 s19, s19, 0xffff
	s_add_i32 s22, s22, 0
	v_cndmask_b32_e64 v3, 0, 1, s[2:3]
	s_mov_b64 s[8:9], 0
	v_lshl_add_u32 v6, v0, 2, s22
	s_lshl_b32 s22, s19, 2
	v_mov_b32_e32 v7, s23
	s_mov_b32 s23, 0xbfb8aa3b
	s_mov_b32 s24, 0xc2fc0000
	v_mov_b32_e32 v8, 0x42800000
	v_mov_b32_e32 v9, 0x1f800000
	v_cmp_ne_u32_e64 s[2:3], 1, v3
	s_branch .LBB145_14
.LBB145_13:                             ;   in Loop: Header=BB145_14 Depth=1
	v_add_u32_e32 v2, s19, v2
	v_cmp_le_i32_e32 vcc, s16, v2
	s_or_b64 s[8:9], vcc, s[8:9]
	v_add_u32_e32 v6, s22, v6
	s_andn2_b64 exec, exec, s[8:9]
	s_cbranch_execz .LBB145_16
.LBB145_14:                             ; =>This Inner Loop Header: Depth=1
	v_ashrrev_i32_e32 v3, 31, v2
	v_lshlrev_b64 v[4:5], 1, v[2:3]
	v_add_co_u32_e32 v10, vcc, s18, v4
	v_addc_co_u32_e32 v11, vcc, v7, v5, vcc
	global_load_ushort v3, v[10:11], off
	s_waitcnt vmcnt(0)
	v_cvt_f32_f16_e32 v10, v3
	v_mul_f32_e32 v10, 0xbfb8aa3b, v10
	v_cmp_gt_f32_e32 vcc, s24, v10
	v_cndmask_b32_e32 v10, 0, v8, vcc
	v_fma_mix_f32 v3, v3, s23, v10 op_sel_hi:[1,0,0]
	v_exp_f32_e32 v3, v3
	v_cndmask_b32_e32 v10, 1.0, v9, vcc
	s_and_b64 vcc, exec, s[2:3]
	v_fma_f32 v3, v3, v10, 1.0
	v_rcp_f32_e32 v3, v3
	ds_write_b32 v6, v3
	s_cbranch_vccnz .LBB145_13
; %bb.15:                               ;   in Loop: Header=BB145_14 Depth=1
	v_mov_b32_e32 v10, s11
	v_add_co_u32_e32 v4, vcc, s10, v4
	v_addc_co_u32_e32 v5, vcc, v10, v5, vcc
	global_load_ushort v4, v[4:5], off
	s_waitcnt vmcnt(0)
	v_cvt_f32_f16_e32 v4, v4
	v_add_f32_e32 v3, v3, v4
	ds_write_b32 v6, v3
	s_branch .LBB145_13
.LBB145_16:
	s_or_b64 exec, exec, s[20:21]
	s_cmp_lt_i32 s17, 1
	v_mov_b32_e32 v3, 0
	s_waitcnt lgkmcnt(0)
	s_barrier
	s_cbranch_scc1 .LBB145_25
; %bb.17:
	s_add_u32 s2, s4, 56
	s_addc_u32 s3, s5, 0
	v_mbcnt_lo_u32_b32 v2, -1, 0
	s_cmp_lg_u64 s[10:11], 0
	v_mbcnt_hi_u32_b32 v2, -1, v2
	v_bfrev_b32_e32 v4, 0.5
	s_cselect_b64 s[8:9], -1, 0
	s_mov_b32 s16, 0
	v_mov_b32_e32 v3, 0
	v_lshl_or_b32 v5, v2, 2, v4
	v_mov_b32_e32 v6, 0
	v_mov_b32_e32 v7, 0xff800000
	v_mov_b32_e32 v2, 0
	v_mov_b32_e32 v4, 0
	s_branch .LBB145_19
.LBB145_18:                             ;   in Loop: Header=BB145_19 Depth=1
	s_lshl_b32 s19, s18, 2
	s_add_i32 s19, s19, 0
	v_mov_b32_e32 v8, s19
	ds_write_b32 v8, v7
	v_mov_b32_e32 v8, s18
	v_cmp_eq_u32_e32 vcc, s16, v0
	s_add_i32 s16, s16, 1
	v_cndmask_b32_e32 v2, v2, v8, vcc
	v_cndmask_b32_e32 v3, v3, v10, vcc
	s_cmp_eq_u32 s16, s17
	v_add_f32_e32 v4, v4, v10
	s_cbranch_scc1 .LBB145_26
.LBB145_19:                             ; =>This Loop Header: Depth=1
                                        ;     Child Loop BB145_21 Depth 2
	v_mov_b32_e32 v8, s16
	v_mov_b32_e32 v9, 0xff800000
	s_and_saveexec_b64 s[18:19], s[0:1]
	s_cbranch_execz .LBB145_23
; %bb.20:                               ;   in Loop: Header=BB145_19 Depth=1
	s_load_dword s22, s[2:3], 0xc
	s_mov_b64 s[20:21], 0
	v_mov_b32_e32 v8, s16
	v_mov_b32_e32 v9, 0xff800000
	;; [unrolled: 1-line block ×3, first 2 shown]
	s_waitcnt lgkmcnt(0)
	s_and_b32 s22, s22, 0xffff
	s_lshl_b32 s23, s22, 2
	s_lshl_b32 s24, s22, 4
	v_mov_b32_e32 v11, v1
	v_mov_b32_e32 v13, v0
.LBB145_21:                             ;   Parent Loop BB145_19 Depth=1
                                        ; =>  This Inner Loop Header: Depth=2
	ds_read_b128 v[14:17], v10
	v_add_u32_e32 v13, s22, v13
	v_cmp_le_i32_e32 vcc, s7, v13
	s_or_b64 s[20:21], vcc, s[20:21]
	v_add_u32_e32 v18, 1, v11
	s_waitcnt lgkmcnt(0)
	v_cmp_gt_f32_e32 vcc, v14, v9
	v_cndmask_b32_e32 v9, v9, v14, vcc
	v_cndmask_b32_e32 v8, v8, v11, vcc
	v_cmp_gt_f32_e32 vcc, v15, v9
	v_cndmask_b32_e32 v9, v9, v15, vcc
	v_cndmask_b32_e32 v8, v8, v18, vcc
	v_cmp_gt_f32_e32 vcc, v16, v9
	v_add_u32_e32 v19, 2, v11
	v_cndmask_b32_e32 v9, v9, v16, vcc
	v_add_u32_e32 v20, 3, v11
	v_cndmask_b32_e32 v8, v8, v19, vcc
	v_cmp_gt_f32_e32 vcc, v17, v9
	v_add_u32_e32 v10, s24, v10
	v_add_u32_e32 v11, s23, v11
	v_cndmask_b32_e32 v9, v9, v17, vcc
	v_cndmask_b32_e32 v8, v8, v20, vcc
	s_andn2_b64 exec, exec, s[20:21]
	s_cbranch_execnz .LBB145_21
; %bb.22:                               ;   in Loop: Header=BB145_19 Depth=1
	s_or_b64 exec, exec, s[20:21]
.LBB145_23:                             ;   in Loop: Header=BB145_19 Depth=1
	s_or_b64 exec, exec, s[18:19]
	;;#ASMSTART
	v_max_f32 v10, v9, v9 quad_perm:[1,0,3,2] row_mask:0xf bank_mask:0xf bound_ctrl:1
	;;#ASMEND
	;;#ASMSTART
	v_max_f32 v11, v10, v10 quad_perm:[2,3,0,1] row_mask:0xf bank_mask:0xf bound_ctrl:1
	;;#ASMEND
	;;#ASMSTART
	v_max_f32 v10, v11, v11 row_half_mirror row_mask:0xf bank_mask:0xf bound_ctrl:1
	;;#ASMEND
	;;#ASMSTART
	v_max_f32 v11, v10, v10 row_mirror row_mask:0xf bank_mask:0xf bound_ctrl:1
	;;#ASMEND
	;;#ASMSTART
	v_max_f32 v10, v11, v11 row_ror:4 row_mask:0xf bank_mask:0xf bound_ctrl:1
	;;#ASMEND
	;;#ASMSTART
	v_max_f32 v11, v10, v10 row_ror:8 row_mask:0xf bank_mask:0xf bound_ctrl:1
	;;#ASMEND
	;;#ASMSTART
	v_max_f32 v10, v11, v11 row_bcast:15 row_mask:0xf bank_mask:0xf bound_ctrl:1
	;;#ASMEND
	;;#ASMSTART
	v_max_f32 v11, v10, v10 row_bcast:31 row_mask:0xf bank_mask:0xf bound_ctrl:1
	;;#ASMEND
	ds_bpermute_b32 v10, v5, v11
	s_waitcnt lgkmcnt(0)
	v_cmp_eq_f32_e32 vcc, v9, v10
	s_ff1_i32_b64 s18, vcc
	s_cmp_lg_u64 vcc, 0
	s_cselect_b32 s18, s18, 0
	s_and_b64 vcc, exec, s[8:9]
	v_readlane_b32 s18, v8, s18
	s_cbranch_vccz .LBB145_18
; %bb.24:                               ;   in Loop: Header=BB145_19 Depth=1
	s_ashr_i32 s19, s18, 31
	s_lshl_b64 s[20:21], s[18:19], 1
	s_add_u32 s20, s10, s20
	s_addc_u32 s21, s11, s21
	global_load_ushort v8, v6, s[20:21]
	s_waitcnt vmcnt(0)
	v_cvt_f32_f16_e32 v8, v8
	v_sub_f32_e32 v10, v10, v8
	s_branch .LBB145_18
.LBB145_25:
	v_mov_b32_e32 v2, 0
	v_mov_b32_e32 v4, 0
.LBB145_26:
	v_cmp_gt_i32_e32 vcc, s17, v0
	s_and_saveexec_b64 s[0:1], vcc
	s_cbranch_execz .LBB145_29
; %bb.27:
	s_load_dword s2, s[4:5], 0x34
	v_max_f32_e32 v1, v4, v4
	v_max_f32_e32 v1, 0x1e3ce508, v1
	s_load_dword s3, s[4:5], 0x44
	s_waitcnt lgkmcnt(0)
	v_div_scale_f32 v4, s[0:1], v1, v1, s2
	s_load_dwordx2 s[0:1], s[4:5], 0x20
	v_rcp_f32_e32 v5, v4
	v_div_scale_f32 v6, vcc, s2, v1, s2
	s_and_b32 s3, s3, 0xffff
	v_fma_f32 v7, -v4, v5, 1.0
	v_fmac_f32_e32 v5, v7, v5
	v_mul_f32_e32 v7, v6, v5
	v_fma_f32 v8, -v4, v7, v6
	v_fmac_f32_e32 v7, v8, v5
	v_fma_f32 v4, -v4, v7, v6
	v_div_fmas_f32 v4, v4, v5, v7
	v_div_fixup_f32 v1, v4, v1, s2
	s_ashr_i32 s2, s6, 31
	s_waitcnt lgkmcnt(0)
	s_mul_i32 s1, s6, s1
	s_mul_hi_u32 s4, s6, s0
	s_add_i32 s1, s4, s1
	s_mul_i32 s2, s2, s0
	s_add_i32 s4, s1, s2
	v_mul_f32_e32 v1, v3, v1
	s_mul_i32 s2, s6, s0
	s_mov_b64 s[0:1], 0
	v_mov_b32_e32 v3, s4
	v_mov_b32_e32 v4, s13
	;; [unrolled: 1-line block ×3, first 2 shown]
.LBB145_28:                             ; =>This Inner Loop Header: Depth=1
	v_ashrrev_i32_e32 v7, 31, v0
	v_add_co_u32_e32 v6, vcc, s2, v0
	v_addc_co_u32_e32 v7, vcc, v3, v7, vcc
	v_add_u32_e32 v0, s3, v0
	v_cmp_le_i32_e32 vcc, s17, v0
	v_lshlrev_b64 v[6:7], 2, v[6:7]
	s_or_b64 s[0:1], vcc, s[0:1]
	v_add_co_u32_e32 v8, vcc, s12, v6
	v_addc_co_u32_e32 v9, vcc, v4, v7, vcc
	v_add_co_u32_e32 v6, vcc, s14, v6
	v_addc_co_u32_e32 v7, vcc, v5, v7, vcc
	global_store_dword v[8:9], v1, off
	global_store_dword v[6:7], v2, off
	s_andn2_b64 exec, exec, s[0:1]
	s_cbranch_execnz .LBB145_28
.LBB145_29:
	s_endpgm
	.section	.rodata,"a",@progbits
	.p2align	6, 0x0
	.amdhsa_kernel _ZN5aiter20topk_softplus_kernelI6__halfS1_Dv4_fLb1ELi1EEEvPKT_PKT0_PfPimiiif
		.amdhsa_group_segment_fixed_size 0
		.amdhsa_private_segment_fixed_size 0
		.amdhsa_kernarg_size 312
		.amdhsa_user_sgpr_count 6
		.amdhsa_user_sgpr_private_segment_buffer 1
		.amdhsa_user_sgpr_dispatch_ptr 0
		.amdhsa_user_sgpr_queue_ptr 0
		.amdhsa_user_sgpr_kernarg_segment_ptr 1
		.amdhsa_user_sgpr_dispatch_id 0
		.amdhsa_user_sgpr_flat_scratch_init 0
		.amdhsa_user_sgpr_kernarg_preload_length 0
		.amdhsa_user_sgpr_kernarg_preload_offset 0
		.amdhsa_user_sgpr_private_segment_size 0
		.amdhsa_uses_dynamic_stack 0
		.amdhsa_system_sgpr_private_segment_wavefront_offset 0
		.amdhsa_system_sgpr_workgroup_id_x 1
		.amdhsa_system_sgpr_workgroup_id_y 0
		.amdhsa_system_sgpr_workgroup_id_z 0
		.amdhsa_system_sgpr_workgroup_info 0
		.amdhsa_system_vgpr_workitem_id 0
		.amdhsa_next_free_vgpr 21
		.amdhsa_next_free_sgpr 38
		.amdhsa_accum_offset 24
		.amdhsa_reserve_vcc 1
		.amdhsa_reserve_flat_scratch 0
		.amdhsa_float_round_mode_32 0
		.amdhsa_float_round_mode_16_64 0
		.amdhsa_float_denorm_mode_32 3
		.amdhsa_float_denorm_mode_16_64 3
		.amdhsa_dx10_clamp 1
		.amdhsa_ieee_mode 1
		.amdhsa_fp16_overflow 0
		.amdhsa_tg_split 0
		.amdhsa_exception_fp_ieee_invalid_op 0
		.amdhsa_exception_fp_denorm_src 0
		.amdhsa_exception_fp_ieee_div_zero 0
		.amdhsa_exception_fp_ieee_overflow 0
		.amdhsa_exception_fp_ieee_underflow 0
		.amdhsa_exception_fp_ieee_inexact 0
		.amdhsa_exception_int_div_zero 0
	.end_amdhsa_kernel
	.section	.text._ZN5aiter20topk_softplus_kernelI6__halfS1_Dv4_fLb1ELi1EEEvPKT_PKT0_PfPimiiif,"axG",@progbits,_ZN5aiter20topk_softplus_kernelI6__halfS1_Dv4_fLb1ELi1EEEvPKT_PKT0_PfPimiiif,comdat
.Lfunc_end145:
	.size	_ZN5aiter20topk_softplus_kernelI6__halfS1_Dv4_fLb1ELi1EEEvPKT_PKT0_PfPimiiif, .Lfunc_end145-_ZN5aiter20topk_softplus_kernelI6__halfS1_Dv4_fLb1ELi1EEEvPKT_PKT0_PfPimiiif
                                        ; -- End function
	.section	.AMDGPU.csdata,"",@progbits
; Kernel info:
; codeLenInByte = 1736
; NumSgprs: 42
; NumVgprs: 21
; NumAgprs: 0
; TotalNumVgprs: 21
; ScratchSize: 0
; MemoryBound: 0
; FloatMode: 240
; IeeeMode: 1
; LDSByteSize: 0 bytes/workgroup (compile time only)
; SGPRBlocks: 5
; VGPRBlocks: 2
; NumSGPRsForWavesPerEU: 42
; NumVGPRsForWavesPerEU: 21
; AccumOffset: 24
; Occupancy: 8
; WaveLimiterHint : 0
; COMPUTE_PGM_RSRC2:SCRATCH_EN: 0
; COMPUTE_PGM_RSRC2:USER_SGPR: 6
; COMPUTE_PGM_RSRC2:TRAP_HANDLER: 0
; COMPUTE_PGM_RSRC2:TGID_X_EN: 1
; COMPUTE_PGM_RSRC2:TGID_Y_EN: 0
; COMPUTE_PGM_RSRC2:TGID_Z_EN: 0
; COMPUTE_PGM_RSRC2:TIDIG_COMP_CNT: 0
; COMPUTE_PGM_RSRC3_GFX90A:ACCUM_OFFSET: 5
; COMPUTE_PGM_RSRC3_GFX90A:TG_SPLIT: 0
	.section	.text._ZN5aiter20topk_softplus_kernelI6__halfS1_Dv4_fLb0ELi1EEEvPKT_PKT0_PfPimiiif,"axG",@progbits,_ZN5aiter20topk_softplus_kernelI6__halfS1_Dv4_fLb0ELi1EEEvPKT_PKT0_PfPimiiif,comdat
	.protected	_ZN5aiter20topk_softplus_kernelI6__halfS1_Dv4_fLb0ELi1EEEvPKT_PKT0_PfPimiiif ; -- Begin function _ZN5aiter20topk_softplus_kernelI6__halfS1_Dv4_fLb0ELi1EEEvPKT_PKT0_PfPimiiif
	.globl	_ZN5aiter20topk_softplus_kernelI6__halfS1_Dv4_fLb0ELi1EEEvPKT_PKT0_PfPimiiif
	.p2align	8
	.type	_ZN5aiter20topk_softplus_kernelI6__halfS1_Dv4_fLb0ELi1EEEvPKT_PKT0_PfPimiiif,@function
_ZN5aiter20topk_softplus_kernelI6__halfS1_Dv4_fLb0ELi1EEEvPKT_PKT0_PfPimiiif: ; @_ZN5aiter20topk_softplus_kernelI6__halfS1_Dv4_fLb0ELi1EEEvPKT_PKT0_PfPimiiif
; %bb.0:
	s_load_dwordx2 s[16:17], s[4:5], 0x28
	s_load_dwordx8 s[8:15], s[4:5], 0x0
	v_lshlrev_b32_e32 v1, 2, v0
	v_lshl_add_u32 v12, v0, 4, 0
	s_waitcnt lgkmcnt(0)
	s_ashr_i32 s0, s16, 31
	s_lshr_b32 s0, s0, 30
	s_add_i32 s0, s16, s0
	s_mul_i32 s18, s6, s16
	s_ashr_i32 s7, s0, 2
	s_ashr_i32 s19, s18, 31
	v_cmp_gt_i32_e64 s[0:1], s7, v0
	s_and_saveexec_b64 s[20:21], s[0:1]
	s_cbranch_execz .LBB146_11
; %bb.1:
	s_load_dword s24, s[4:5], 0x44
	s_cmp_lg_u64 s[10:11], 0
	s_cselect_b64 s[2:3], -1, 0
	v_lshlrev_b32_e32 v2, 3, v0
	s_mov_b64 s[22:23], 0
	s_waitcnt lgkmcnt(0)
	s_and_b32 s24, s24, 0xffff
	s_add_u32 s25, s10, 2
	s_addc_u32 s26, s11, 0
	s_add_u32 s27, s10, 4
	s_addc_u32 s28, s11, 0
	;; [unrolled: 2-line block ×3, first 2 shown]
	s_lshl_b64 s[34:35], s[18:19], 1
	s_add_u32 s33, s8, s34
	s_addc_u32 s34, s9, s35
	v_mov_b32_e32 v3, s34
	v_add_co_u32_e32 v6, vcc, s33, v2
	v_cndmask_b32_e64 v2, 0, 1, s[2:3]
	s_mov_b32 s31, 0
	v_addc_co_u32_e32 v7, vcc, 0, v3, vcc
	s_lshl_b32 s33, s24, 3
	v_lshlrev_b32_e32 v8, 2, v0
	s_lshl_b32 s34, s24, 2
	v_lshl_add_u32 v13, v0, 4, 0
	s_lshl_b32 s35, s24, 4
	v_mov_b32_e32 v9, 0
	s_mov_b32 s36, 0xbfb8aa3b
	s_mov_b32 s37, 0xc2fc0000
	v_mov_b32_e32 v14, 0x1f800000
	v_mov_b32_e32 v15, 0x42800000
	v_cmp_ne_u32_e64 s[2:3], 1, v2
	v_mov_b32_e32 v16, v0
	s_branch .LBB146_3
.LBB146_2:                              ;   in Loop: Header=BB146_3 Depth=1
	ds_write_b128 v13, v[2:5]
	v_mov_b32_e32 v2, s31
	v_add_co_u32_e32 v6, vcc, s33, v6
	v_add_u32_e32 v16, s24, v16
	v_addc_co_u32_e32 v7, vcc, v7, v2, vcc
	v_cmp_le_i32_e32 vcc, s7, v16
	v_add_u32_e32 v8, s34, v8
	s_or_b64 s[22:23], vcc, s[22:23]
	v_add_u32_e32 v13, s35, v13
	s_andn2_b64 exec, exec, s[22:23]
	s_cbranch_execz .LBB146_11
.LBB146_3:                              ; =>This Inner Loop Header: Depth=1
	global_load_dwordx2 v[4:5], v[6:7], off
	v_lshlrev_b64 v[10:11], 1, v[8:9]
	s_waitcnt vmcnt(0)
	v_cvt_f32_f16_e32 v2, v4
	v_mul_f32_e32 v2, 0xbfb8aa3b, v2
	v_cmp_gt_f32_e32 vcc, s37, v2
	v_cndmask_b32_e32 v3, 0, v15, vcc
	v_fma_mix_f32 v3, v4, s36, v3 op_sel_hi:[1,0,0]
	v_exp_f32_e32 v3, v3
	v_cndmask_b32_e32 v2, 1.0, v14, vcc
	s_and_b64 vcc, exec, s[2:3]
	v_fma_f32 v2, v3, v2, 1.0
	v_rcp_f32_e32 v2, v2
	s_cbranch_vccnz .LBB146_5
; %bb.4:                                ;   in Loop: Header=BB146_3 Depth=1
	v_mov_b32_e32 v3, s11
	v_add_co_u32_e32 v18, vcc, s10, v10
	v_addc_co_u32_e32 v19, vcc, v3, v11, vcc
	global_load_ushort v3, v[18:19], off
	s_waitcnt vmcnt(0)
	v_cvt_f32_f16_e32 v3, v3
	v_add_f32_e32 v2, v2, v3
.LBB146_5:                              ;   in Loop: Header=BB146_3 Depth=1
	v_cvt_f32_f16_sdwa v3, v4 dst_sel:DWORD dst_unused:UNUSED_PAD src0_sel:WORD_1
	v_mul_f32_e32 v3, 0xbfb8aa3b, v3
	v_cmp_gt_f32_e32 vcc, s37, v3
	v_cndmask_b32_e32 v17, 0, v15, vcc
	v_fma_mix_f32 v4, v4, s36, v17 op_sel:[1,0,0] op_sel_hi:[1,0,0]
	v_exp_f32_e32 v4, v4
	v_cndmask_b32_e32 v3, 1.0, v14, vcc
	s_and_b64 vcc, exec, s[2:3]
	v_fma_f32 v3, v4, v3, 1.0
	v_rcp_f32_e32 v3, v3
	s_cbranch_vccnz .LBB146_7
; %bb.6:                                ;   in Loop: Header=BB146_3 Depth=1
	v_mov_b32_e32 v4, s26
	v_add_co_u32_e32 v18, vcc, s25, v10
	v_addc_co_u32_e32 v19, vcc, v4, v11, vcc
	global_load_ushort v4, v[18:19], off
	s_waitcnt vmcnt(0)
	v_cvt_f32_f16_e32 v4, v4
	v_add_f32_e32 v3, v3, v4
.LBB146_7:                              ;   in Loop: Header=BB146_3 Depth=1
	v_cvt_f32_f16_e32 v4, v5
	v_mul_f32_e32 v4, 0xbfb8aa3b, v4
	v_cmp_gt_f32_e32 vcc, s37, v4
	v_cndmask_b32_e32 v17, 0, v15, vcc
	v_fma_mix_f32 v17, v5, s36, v17 op_sel_hi:[1,0,0]
	v_exp_f32_e32 v17, v17
	v_cndmask_b32_e32 v4, 1.0, v14, vcc
	s_and_b64 vcc, exec, s[2:3]
	v_fma_f32 v4, v17, v4, 1.0
	v_rcp_f32_e32 v4, v4
	s_cbranch_vccnz .LBB146_9
; %bb.8:                                ;   in Loop: Header=BB146_3 Depth=1
	v_mov_b32_e32 v17, s28
	v_add_co_u32_e32 v18, vcc, s27, v10
	v_addc_co_u32_e32 v19, vcc, v17, v11, vcc
	global_load_ushort v17, v[18:19], off
	s_waitcnt vmcnt(0)
	v_cvt_f32_f16_e32 v17, v17
	v_add_f32_e32 v4, v4, v17
.LBB146_9:                              ;   in Loop: Header=BB146_3 Depth=1
	v_cvt_f32_f16_sdwa v17, v5 dst_sel:DWORD dst_unused:UNUSED_PAD src0_sel:WORD_1
	v_mul_f32_e32 v17, 0xbfb8aa3b, v17
	v_cmp_gt_f32_e32 vcc, s37, v17
	v_cndmask_b32_e32 v18, 0, v15, vcc
	v_fma_mix_f32 v5, v5, s36, v18 op_sel:[1,0,0] op_sel_hi:[1,0,0]
	v_exp_f32_e32 v5, v5
	v_cndmask_b32_e32 v17, 1.0, v14, vcc
	s_and_b64 vcc, exec, s[2:3]
	v_fma_f32 v5, v5, v17, 1.0
	v_rcp_f32_e32 v5, v5
	s_cbranch_vccnz .LBB146_2
; %bb.10:                               ;   in Loop: Header=BB146_3 Depth=1
	v_mov_b32_e32 v17, s30
	v_add_co_u32_e32 v10, vcc, s29, v10
	v_addc_co_u32_e32 v11, vcc, v17, v11, vcc
	global_load_ushort v10, v[10:11], off
	s_waitcnt vmcnt(0)
	v_cvt_f32_f16_e32 v10, v10
	v_add_f32_e32 v5, v5, v10
	s_branch .LBB146_2
.LBB146_11:
	s_or_b64 exec, exec, s[20:21]
	v_lshl_add_u32 v2, s7, 2, v0
	v_cmp_gt_i32_e32 vcc, s16, v2
	s_and_saveexec_b64 s[20:21], vcc
	s_cbranch_execz .LBB146_16
; %bb.12:
	s_lshl_b64 s[2:3], s[18:19], 1
	s_load_dword s19, s[4:5], 0x44
	s_add_u32 s18, s8, s2
	s_addc_u32 s23, s9, s3
	s_cmp_lg_u64 s[10:11], 0
	s_cselect_b64 s[2:3], -1, 0
	s_lshl_b32 s22, s7, 4
	s_waitcnt lgkmcnt(0)
	s_and_b32 s19, s19, 0xffff
	s_add_i32 s22, s22, 0
	v_cndmask_b32_e64 v3, 0, 1, s[2:3]
	s_mov_b64 s[8:9], 0
	v_lshl_add_u32 v6, v0, 2, s22
	s_lshl_b32 s22, s19, 2
	v_mov_b32_e32 v7, s23
	s_mov_b32 s23, 0xbfb8aa3b
	s_mov_b32 s24, 0xc2fc0000
	v_mov_b32_e32 v8, 0x42800000
	v_mov_b32_e32 v9, 0x1f800000
	v_cmp_ne_u32_e64 s[2:3], 1, v3
	s_branch .LBB146_14
.LBB146_13:                             ;   in Loop: Header=BB146_14 Depth=1
	v_add_u32_e32 v2, s19, v2
	v_cmp_le_i32_e32 vcc, s16, v2
	s_or_b64 s[8:9], vcc, s[8:9]
	v_add_u32_e32 v6, s22, v6
	s_andn2_b64 exec, exec, s[8:9]
	s_cbranch_execz .LBB146_16
.LBB146_14:                             ; =>This Inner Loop Header: Depth=1
	v_ashrrev_i32_e32 v3, 31, v2
	v_lshlrev_b64 v[4:5], 1, v[2:3]
	v_add_co_u32_e32 v10, vcc, s18, v4
	v_addc_co_u32_e32 v11, vcc, v7, v5, vcc
	global_load_ushort v3, v[10:11], off
	s_waitcnt vmcnt(0)
	v_cvt_f32_f16_e32 v10, v3
	v_mul_f32_e32 v10, 0xbfb8aa3b, v10
	v_cmp_gt_f32_e32 vcc, s24, v10
	v_cndmask_b32_e32 v10, 0, v8, vcc
	v_fma_mix_f32 v3, v3, s23, v10 op_sel_hi:[1,0,0]
	v_exp_f32_e32 v3, v3
	v_cndmask_b32_e32 v10, 1.0, v9, vcc
	s_and_b64 vcc, exec, s[2:3]
	v_fma_f32 v3, v3, v10, 1.0
	v_rcp_f32_e32 v3, v3
	ds_write_b32 v6, v3
	s_cbranch_vccnz .LBB146_13
; %bb.15:                               ;   in Loop: Header=BB146_14 Depth=1
	v_mov_b32_e32 v10, s11
	v_add_co_u32_e32 v4, vcc, s10, v4
	v_addc_co_u32_e32 v5, vcc, v10, v5, vcc
	global_load_ushort v4, v[4:5], off
	s_waitcnt vmcnt(0)
	v_cvt_f32_f16_e32 v4, v4
	v_add_f32_e32 v3, v3, v4
	ds_write_b32 v6, v3
	s_branch .LBB146_13
.LBB146_16:
	s_or_b64 exec, exec, s[20:21]
	s_cmp_lt_i32 s17, 1
	s_waitcnt lgkmcnt(0)
	s_barrier
	s_cbranch_scc1 .LBB146_25
; %bb.17:
	s_add_u32 s2, s4, 56
	s_addc_u32 s3, s5, 0
	v_mbcnt_lo_u32_b32 v3, -1, 0
	s_cmp_lg_u64 s[10:11], 0
	v_mbcnt_hi_u32_b32 v3, -1, v3
	v_bfrev_b32_e32 v5, 0.5
	s_cselect_b64 s[8:9], -1, 0
	s_mov_b32 s16, 0
	v_mov_b32_e32 v2, 0
	v_mov_b32_e32 v4, 0
	v_lshl_or_b32 v5, v3, 2, v5
	v_mov_b32_e32 v6, 0xff800000
	v_mov_b32_e32 v3, 0
	s_branch .LBB146_19
.LBB146_18:                             ;   in Loop: Header=BB146_19 Depth=1
	s_lshl_b32 s19, s18, 2
	s_add_i32 s19, s19, 0
	v_mov_b32_e32 v7, s19
	ds_write_b32 v7, v6
	v_mov_b32_e32 v7, s18
	v_cmp_eq_u32_e32 vcc, s16, v0
	s_add_i32 s16, s16, 1
	v_cndmask_b32_e32 v2, v2, v7, vcc
	s_cmp_eq_u32 s16, s17
	v_cndmask_b32_e32 v3, v3, v9, vcc
	s_cbranch_scc1 .LBB146_26
.LBB146_19:                             ; =>This Loop Header: Depth=1
                                        ;     Child Loop BB146_21 Depth 2
	v_mov_b32_e32 v7, s16
	v_mov_b32_e32 v8, 0xff800000
	s_and_saveexec_b64 s[18:19], s[0:1]
	s_cbranch_execz .LBB146_23
; %bb.20:                               ;   in Loop: Header=BB146_19 Depth=1
	s_load_dword s22, s[2:3], 0xc
	s_mov_b64 s[20:21], 0
	v_mov_b32_e32 v7, s16
	v_mov_b32_e32 v8, 0xff800000
	;; [unrolled: 1-line block ×3, first 2 shown]
	s_waitcnt lgkmcnt(0)
	s_and_b32 s22, s22, 0xffff
	s_lshl_b32 s23, s22, 2
	s_lshl_b32 s24, s22, 4
	v_mov_b32_e32 v10, v1
	v_mov_b32_e32 v11, v0
.LBB146_21:                             ;   Parent Loop BB146_19 Depth=1
                                        ; =>  This Inner Loop Header: Depth=2
	ds_read_b128 v[14:17], v9
	v_add_u32_e32 v11, s22, v11
	v_cmp_le_i32_e32 vcc, s7, v11
	s_or_b64 s[20:21], vcc, s[20:21]
	v_add_u32_e32 v13, 1, v10
	s_waitcnt lgkmcnt(0)
	v_cmp_gt_f32_e32 vcc, v14, v8
	v_cndmask_b32_e32 v8, v8, v14, vcc
	v_cndmask_b32_e32 v7, v7, v10, vcc
	v_cmp_gt_f32_e32 vcc, v15, v8
	v_cndmask_b32_e32 v8, v8, v15, vcc
	v_cndmask_b32_e32 v7, v7, v13, vcc
	v_cmp_gt_f32_e32 vcc, v16, v8
	v_add_u32_e32 v18, 2, v10
	v_cndmask_b32_e32 v8, v8, v16, vcc
	v_add_u32_e32 v19, 3, v10
	v_cndmask_b32_e32 v7, v7, v18, vcc
	v_cmp_gt_f32_e32 vcc, v17, v8
	v_add_u32_e32 v9, s24, v9
	v_add_u32_e32 v10, s23, v10
	v_cndmask_b32_e32 v8, v8, v17, vcc
	v_cndmask_b32_e32 v7, v7, v19, vcc
	s_andn2_b64 exec, exec, s[20:21]
	s_cbranch_execnz .LBB146_21
; %bb.22:                               ;   in Loop: Header=BB146_19 Depth=1
	s_or_b64 exec, exec, s[20:21]
.LBB146_23:                             ;   in Loop: Header=BB146_19 Depth=1
	s_or_b64 exec, exec, s[18:19]
	;;#ASMSTART
	v_max_f32 v9, v8, v8 quad_perm:[1,0,3,2] row_mask:0xf bank_mask:0xf bound_ctrl:1
	;;#ASMEND
	;;#ASMSTART
	v_max_f32 v10, v9, v9 quad_perm:[2,3,0,1] row_mask:0xf bank_mask:0xf bound_ctrl:1
	;;#ASMEND
	;;#ASMSTART
	v_max_f32 v9, v10, v10 row_half_mirror row_mask:0xf bank_mask:0xf bound_ctrl:1
	;;#ASMEND
	;;#ASMSTART
	v_max_f32 v10, v9, v9 row_mirror row_mask:0xf bank_mask:0xf bound_ctrl:1
	;;#ASMEND
	;;#ASMSTART
	v_max_f32 v9, v10, v10 row_ror:4 row_mask:0xf bank_mask:0xf bound_ctrl:1
	;;#ASMEND
	;;#ASMSTART
	v_max_f32 v10, v9, v9 row_ror:8 row_mask:0xf bank_mask:0xf bound_ctrl:1
	;;#ASMEND
	;;#ASMSTART
	v_max_f32 v9, v10, v10 row_bcast:15 row_mask:0xf bank_mask:0xf bound_ctrl:1
	;;#ASMEND
	;;#ASMSTART
	v_max_f32 v10, v9, v9 row_bcast:31 row_mask:0xf bank_mask:0xf bound_ctrl:1
	;;#ASMEND
	ds_bpermute_b32 v9, v5, v10
	s_waitcnt lgkmcnt(0)
	v_cmp_eq_f32_e32 vcc, v8, v9
	s_ff1_i32_b64 s18, vcc
	s_cmp_lg_u64 vcc, 0
	s_cselect_b32 s18, s18, 0
	s_and_b64 vcc, exec, s[8:9]
	v_readlane_b32 s18, v7, s18
	s_cbranch_vccz .LBB146_18
; %bb.24:                               ;   in Loop: Header=BB146_19 Depth=1
	s_ashr_i32 s19, s18, 31
	s_lshl_b64 s[20:21], s[18:19], 1
	s_add_u32 s20, s10, s20
	s_addc_u32 s21, s11, s21
	global_load_ushort v7, v4, s[20:21]
	s_waitcnt vmcnt(0)
	v_cvt_f32_f16_e32 v7, v7
	v_sub_f32_e32 v9, v9, v7
	s_branch .LBB146_18
.LBB146_25:
	v_mov_b32_e32 v3, 0
	v_mov_b32_e32 v2, 0
.LBB146_26:
	v_cmp_gt_i32_e32 vcc, s17, v0
	s_and_saveexec_b64 s[0:1], vcc
	s_cbranch_execz .LBB146_29
; %bb.27:
	s_load_dword s2, s[4:5], 0x34
	s_load_dwordx2 s[0:1], s[4:5], 0x20
	s_ashr_i32 s3, s6, 31
	s_load_dword s4, s[4:5], 0x44
	v_mov_b32_e32 v4, s13
	s_waitcnt lgkmcnt(0)
	v_mul_f32_e32 v1, s2, v3
	s_mul_i32 s1, s6, s1
	s_mul_hi_u32 s2, s6, s0
	s_add_i32 s1, s2, s1
	s_mul_i32 s3, s3, s0
	s_add_i32 s5, s1, s3
	s_mul_i32 s2, s6, s0
	s_and_b32 s3, s4, 0xffff
	s_mov_b64 s[0:1], 0
	v_mov_b32_e32 v3, s5
	v_mov_b32_e32 v5, s15
.LBB146_28:                             ; =>This Inner Loop Header: Depth=1
	v_ashrrev_i32_e32 v7, 31, v0
	v_add_co_u32_e32 v6, vcc, s2, v0
	v_addc_co_u32_e32 v7, vcc, v3, v7, vcc
	v_add_u32_e32 v0, s3, v0
	v_cmp_le_i32_e32 vcc, s17, v0
	v_lshlrev_b64 v[6:7], 2, v[6:7]
	s_or_b64 s[0:1], vcc, s[0:1]
	v_add_co_u32_e32 v8, vcc, s12, v6
	v_addc_co_u32_e32 v9, vcc, v4, v7, vcc
	v_add_co_u32_e32 v6, vcc, s14, v6
	v_addc_co_u32_e32 v7, vcc, v5, v7, vcc
	global_store_dword v[8:9], v1, off
	global_store_dword v[6:7], v2, off
	s_andn2_b64 exec, exec, s[0:1]
	s_cbranch_execnz .LBB146_28
.LBB146_29:
	s_endpgm
	.section	.rodata,"a",@progbits
	.p2align	6, 0x0
	.amdhsa_kernel _ZN5aiter20topk_softplus_kernelI6__halfS1_Dv4_fLb0ELi1EEEvPKT_PKT0_PfPimiiif
		.amdhsa_group_segment_fixed_size 0
		.amdhsa_private_segment_fixed_size 0
		.amdhsa_kernarg_size 312
		.amdhsa_user_sgpr_count 6
		.amdhsa_user_sgpr_private_segment_buffer 1
		.amdhsa_user_sgpr_dispatch_ptr 0
		.amdhsa_user_sgpr_queue_ptr 0
		.amdhsa_user_sgpr_kernarg_segment_ptr 1
		.amdhsa_user_sgpr_dispatch_id 0
		.amdhsa_user_sgpr_flat_scratch_init 0
		.amdhsa_user_sgpr_kernarg_preload_length 0
		.amdhsa_user_sgpr_kernarg_preload_offset 0
		.amdhsa_user_sgpr_private_segment_size 0
		.amdhsa_uses_dynamic_stack 0
		.amdhsa_system_sgpr_private_segment_wavefront_offset 0
		.amdhsa_system_sgpr_workgroup_id_x 1
		.amdhsa_system_sgpr_workgroup_id_y 0
		.amdhsa_system_sgpr_workgroup_id_z 0
		.amdhsa_system_sgpr_workgroup_info 0
		.amdhsa_system_vgpr_workitem_id 0
		.amdhsa_next_free_vgpr 20
		.amdhsa_next_free_sgpr 38
		.amdhsa_accum_offset 20
		.amdhsa_reserve_vcc 1
		.amdhsa_reserve_flat_scratch 0
		.amdhsa_float_round_mode_32 0
		.amdhsa_float_round_mode_16_64 0
		.amdhsa_float_denorm_mode_32 3
		.amdhsa_float_denorm_mode_16_64 3
		.amdhsa_dx10_clamp 1
		.amdhsa_ieee_mode 1
		.amdhsa_fp16_overflow 0
		.amdhsa_tg_split 0
		.amdhsa_exception_fp_ieee_invalid_op 0
		.amdhsa_exception_fp_denorm_src 0
		.amdhsa_exception_fp_ieee_div_zero 0
		.amdhsa_exception_fp_ieee_overflow 0
		.amdhsa_exception_fp_ieee_underflow 0
		.amdhsa_exception_fp_ieee_inexact 0
		.amdhsa_exception_int_div_zero 0
	.end_amdhsa_kernel
	.section	.text._ZN5aiter20topk_softplus_kernelI6__halfS1_Dv4_fLb0ELi1EEEvPKT_PKT0_PfPimiiif,"axG",@progbits,_ZN5aiter20topk_softplus_kernelI6__halfS1_Dv4_fLb0ELi1EEEvPKT_PKT0_PfPimiiif,comdat
.Lfunc_end146:
	.size	_ZN5aiter20topk_softplus_kernelI6__halfS1_Dv4_fLb0ELi1EEEvPKT_PKT0_PfPimiiif, .Lfunc_end146-_ZN5aiter20topk_softplus_kernelI6__halfS1_Dv4_fLb0ELi1EEEvPKT_PKT0_PfPimiiif
                                        ; -- End function
	.section	.AMDGPU.csdata,"",@progbits
; Kernel info:
; codeLenInByte = 1636
; NumSgprs: 42
; NumVgprs: 20
; NumAgprs: 0
; TotalNumVgprs: 20
; ScratchSize: 0
; MemoryBound: 0
; FloatMode: 240
; IeeeMode: 1
; LDSByteSize: 0 bytes/workgroup (compile time only)
; SGPRBlocks: 5
; VGPRBlocks: 2
; NumSGPRsForWavesPerEU: 42
; NumVGPRsForWavesPerEU: 20
; AccumOffset: 20
; Occupancy: 8
; WaveLimiterHint : 0
; COMPUTE_PGM_RSRC2:SCRATCH_EN: 0
; COMPUTE_PGM_RSRC2:USER_SGPR: 6
; COMPUTE_PGM_RSRC2:TRAP_HANDLER: 0
; COMPUTE_PGM_RSRC2:TGID_X_EN: 1
; COMPUTE_PGM_RSRC2:TGID_Y_EN: 0
; COMPUTE_PGM_RSRC2:TGID_Z_EN: 0
; COMPUTE_PGM_RSRC2:TIDIG_COMP_CNT: 0
; COMPUTE_PGM_RSRC3_GFX90A:ACCUM_OFFSET: 4
; COMPUTE_PGM_RSRC3_GFX90A:TG_SPLIT: 0
	.section	.text._ZN5aiter20topk_softplus_kernelI6__halfS1_Dv2_fLb1ELi1EEEvPKT_PKT0_PfPimiiif,"axG",@progbits,_ZN5aiter20topk_softplus_kernelI6__halfS1_Dv2_fLb1ELi1EEEvPKT_PKT0_PfPimiiif,comdat
	.protected	_ZN5aiter20topk_softplus_kernelI6__halfS1_Dv2_fLb1ELi1EEEvPKT_PKT0_PfPimiiif ; -- Begin function _ZN5aiter20topk_softplus_kernelI6__halfS1_Dv2_fLb1ELi1EEEvPKT_PKT0_PfPimiiif
	.globl	_ZN5aiter20topk_softplus_kernelI6__halfS1_Dv2_fLb1ELi1EEEvPKT_PKT0_PfPimiiif
	.p2align	8
	.type	_ZN5aiter20topk_softplus_kernelI6__halfS1_Dv2_fLb1ELi1EEEvPKT_PKT0_PfPimiiif,@function
_ZN5aiter20topk_softplus_kernelI6__halfS1_Dv2_fLb1ELi1EEEvPKT_PKT0_PfPimiiif: ; @_ZN5aiter20topk_softplus_kernelI6__halfS1_Dv2_fLb1ELi1EEEvPKT_PKT0_PfPimiiif
; %bb.0:
	s_load_dwordx2 s[16:17], s[4:5], 0x28
	s_load_dwordx8 s[8:15], s[4:5], 0x0
	v_lshl_add_u32 v6, v0, 3, 0
	s_waitcnt lgkmcnt(0)
	s_lshr_b32 s1, s16, 31
	s_mul_i32 s0, s6, s16
	s_add_i32 s1, s16, s1
	s_ashr_i32 s7, s1, 1
	s_ashr_i32 s1, s0, 31
	s_lshl_b64 s[0:1], s[0:1], 1
	s_add_u32 s20, s8, s0
	s_addc_u32 s21, s9, s1
	v_cmp_gt_i32_e64 s[0:1], s7, v0
	s_and_saveexec_b64 s[8:9], s[0:1]
	s_cbranch_execz .LBB147_7
; %bb.1:
	s_load_dword s22, s[4:5], 0x44
	s_cmp_lg_u64 s[10:11], 0
	s_cselect_b64 s[2:3], -1, 0
	s_mov_b32 s27, 0
	v_cndmask_b32_e64 v4, 0, 1, s[2:3]
	s_waitcnt lgkmcnt(0)
	s_and_b32 s22, s22, 0xffff
	s_mov_b64 s[18:19], 0
	v_lshlrev_b32_e32 v2, 2, v0
	v_mov_b32_e32 v1, 0
	s_lshl_b32 s23, s22, 2
	v_lshl_add_u32 v3, v0, 3, 0
	s_lshl_b32 s24, s22, 3
	v_mov_b32_e32 v7, s21
	s_mov_b32 s25, 0xbfb8aa3b
	s_mov_b32 s26, 0xc2fc0000
	v_mov_b32_e32 v8, 0x42800000
	v_mov_b32_e32 v9, 0x1f800000
	v_cmp_ne_u32_e64 s[2:3], 1, v4
	v_mov_b32_e32 v10, s27
	v_mov_b32_e32 v11, v0
	s_branch .LBB147_3
.LBB147_2:                              ;   in Loop: Header=BB147_3 Depth=1
	v_add_co_u32_e32 v2, vcc, s23, v2
	v_add_u32_e32 v11, s22, v11
	v_addc_co_u32_e32 v1, vcc, v1, v10, vcc
	v_cmp_le_i32_e32 vcc, s7, v11
	ds_write_b64 v3, v[4:5]
	s_or_b64 s[18:19], vcc, s[18:19]
	v_add_u32_e32 v3, s24, v3
	s_andn2_b64 exec, exec, s[18:19]
	s_cbranch_execz .LBB147_7
.LBB147_3:                              ; =>This Inner Loop Header: Depth=1
	v_add_co_u32_e32 v4, vcc, s20, v2
	v_addc_co_u32_e32 v5, vcc, v7, v1, vcc
	global_load_dword v5, v[4:5], off
	s_waitcnt vmcnt(0)
	v_cvt_f32_f16_e32 v4, v5
	v_mul_f32_e32 v4, 0xbfb8aa3b, v4
	v_cmp_gt_f32_e32 vcc, s26, v4
	v_cndmask_b32_e32 v4, 0, v8, vcc
	v_fma_mix_f32 v4, v5, s25, v4 op_sel_hi:[1,0,0]
	v_exp_f32_e32 v4, v4
	v_cndmask_b32_e32 v12, 1.0, v9, vcc
	s_and_b64 vcc, exec, s[2:3]
	v_fma_f32 v4, v4, v12, 1.0
	v_rcp_f32_e32 v4, v4
	s_cbranch_vccnz .LBB147_5
; %bb.4:                                ;   in Loop: Header=BB147_3 Depth=1
	v_mov_b32_e32 v13, s11
	v_add_co_u32_e32 v12, vcc, s10, v2
	v_addc_co_u32_e32 v13, vcc, v13, v1, vcc
	global_load_ushort v12, v[12:13], off
	s_waitcnt vmcnt(0)
	v_cvt_f32_f16_e32 v12, v12
	v_add_f32_e32 v4, v4, v12
.LBB147_5:                              ;   in Loop: Header=BB147_3 Depth=1
	v_cvt_f32_f16_sdwa v12, v5 dst_sel:DWORD dst_unused:UNUSED_PAD src0_sel:WORD_1
	v_mul_f32_e32 v12, 0xbfb8aa3b, v12
	v_cmp_gt_f32_e32 vcc, s26, v12
	v_cndmask_b32_e32 v13, 0, v8, vcc
	v_fma_mix_f32 v5, v5, s25, v13 op_sel:[1,0,0] op_sel_hi:[1,0,0]
	v_exp_f32_e32 v5, v5
	v_cndmask_b32_e32 v12, 1.0, v9, vcc
	s_and_b64 vcc, exec, s[2:3]
	v_fma_f32 v5, v5, v12, 1.0
	v_rcp_f32_e32 v5, v5
	s_cbranch_vccnz .LBB147_2
; %bb.6:                                ;   in Loop: Header=BB147_3 Depth=1
	v_mov_b32_e32 v13, s11
	v_add_co_u32_e32 v12, vcc, s10, v2
	v_addc_co_u32_e32 v13, vcc, v13, v1, vcc
	global_load_ushort v12, v[12:13], off offset:2
	s_waitcnt vmcnt(0)
	v_cvt_f32_f16_e32 v12, v12
	v_add_f32_e32 v5, v5, v12
	s_branch .LBB147_2
.LBB147_7:
	s_or_b64 exec, exec, s[8:9]
	v_lshl_add_u32 v2, s7, 1, v0
	v_cmp_gt_i32_e32 vcc, s16, v2
	s_and_saveexec_b64 s[8:9], vcc
	s_cbranch_execz .LBB147_12
; %bb.8:
	s_load_dword s22, s[4:5], 0x44
	s_cmp_lg_u64 s[10:11], 0
	s_cselect_b64 s[2:3], -1, 0
	s_lshl_b32 s23, s7, 3
	s_add_i32 s23, s23, 0
	s_waitcnt lgkmcnt(0)
	s_and_b32 s22, s22, 0xffff
	v_cndmask_b32_e64 v3, 0, 1, s[2:3]
	s_mov_b64 s[18:19], 0
	v_lshl_add_u32 v1, v0, 2, s23
	s_lshl_b32 s23, s22, 2
	v_mov_b32_e32 v7, s21
	s_mov_b32 s21, 0xbfb8aa3b
	s_mov_b32 s24, 0xc2fc0000
	v_mov_b32_e32 v8, 0x42800000
	v_mov_b32_e32 v9, 0x1f800000
	v_cmp_ne_u32_e64 s[2:3], 1, v3
	s_branch .LBB147_10
.LBB147_9:                              ;   in Loop: Header=BB147_10 Depth=1
	v_add_u32_e32 v2, s22, v2
	v_cmp_le_i32_e32 vcc, s16, v2
	s_or_b64 s[18:19], vcc, s[18:19]
	v_add_u32_e32 v1, s23, v1
	s_andn2_b64 exec, exec, s[18:19]
	s_cbranch_execz .LBB147_12
.LBB147_10:                             ; =>This Inner Loop Header: Depth=1
	v_ashrrev_i32_e32 v3, 31, v2
	v_lshlrev_b64 v[4:5], 1, v[2:3]
	v_add_co_u32_e32 v10, vcc, s20, v4
	v_addc_co_u32_e32 v11, vcc, v7, v5, vcc
	global_load_ushort v3, v[10:11], off
	s_waitcnt vmcnt(0)
	v_cvt_f32_f16_e32 v10, v3
	v_mul_f32_e32 v10, 0xbfb8aa3b, v10
	v_cmp_gt_f32_e32 vcc, s24, v10
	v_cndmask_b32_e32 v10, 0, v8, vcc
	v_fma_mix_f32 v3, v3, s21, v10 op_sel_hi:[1,0,0]
	v_exp_f32_e32 v3, v3
	v_cndmask_b32_e32 v10, 1.0, v9, vcc
	s_and_b64 vcc, exec, s[2:3]
	v_fma_f32 v3, v3, v10, 1.0
	v_rcp_f32_e32 v3, v3
	ds_write_b32 v1, v3
	s_cbranch_vccnz .LBB147_9
; %bb.11:                               ;   in Loop: Header=BB147_10 Depth=1
	v_mov_b32_e32 v10, s11
	v_add_co_u32_e32 v4, vcc, s10, v4
	v_addc_co_u32_e32 v5, vcc, v10, v5, vcc
	global_load_ushort v4, v[4:5], off
	s_waitcnt vmcnt(0)
	v_cvt_f32_f16_e32 v4, v4
	v_add_f32_e32 v3, v3, v4
	ds_write_b32 v1, v3
	s_branch .LBB147_9
.LBB147_12:
	s_or_b64 exec, exec, s[8:9]
	s_cmp_lt_i32 s17, 1
	v_mov_b32_e32 v2, 0
	s_waitcnt lgkmcnt(0)
	s_barrier
	s_cbranch_scc1 .LBB147_21
; %bb.13:
	s_add_u32 s2, s4, 56
	s_addc_u32 s3, s5, 0
	v_mbcnt_lo_u32_b32 v1, -1, 0
	s_cmp_lg_u64 s[10:11], 0
	v_mbcnt_hi_u32_b32 v1, -1, v1
	v_bfrev_b32_e32 v3, 0.5
	s_cselect_b64 s[8:9], -1, 0
	v_lshlrev_b32_e32 v4, 1, v0
	s_mov_b32 s16, 0
	v_mov_b32_e32 v2, 0
	v_lshl_or_b32 v5, v1, 2, v3
	v_mov_b32_e32 v7, 0
	v_mov_b32_e32 v8, 0xff800000
	;; [unrolled: 1-line block ×4, first 2 shown]
	s_branch .LBB147_15
.LBB147_14:                             ;   in Loop: Header=BB147_15 Depth=1
	s_lshl_b32 s19, s18, 2
	s_add_i32 s19, s19, 0
	v_mov_b32_e32 v9, s19
	ds_write_b32 v9, v8
	v_mov_b32_e32 v9, s18
	v_cmp_eq_u32_e32 vcc, s16, v0
	s_add_i32 s16, s16, 1
	v_cndmask_b32_e32 v1, v1, v9, vcc
	v_cndmask_b32_e32 v2, v2, v11, vcc
	s_cmp_eq_u32 s16, s17
	v_add_f32_e32 v3, v3, v11
	s_cbranch_scc1 .LBB147_22
.LBB147_15:                             ; =>This Loop Header: Depth=1
                                        ;     Child Loop BB147_17 Depth 2
	v_mov_b32_e32 v9, s16
	v_mov_b32_e32 v10, 0xff800000
	s_and_saveexec_b64 s[18:19], s[0:1]
	s_cbranch_execz .LBB147_19
; %bb.16:                               ;   in Loop: Header=BB147_15 Depth=1
	s_load_dword s22, s[2:3], 0xc
	s_mov_b64 s[20:21], 0
	v_mov_b32_e32 v9, s16
	v_mov_b32_e32 v10, 0xff800000
	;; [unrolled: 1-line block ×3, first 2 shown]
	s_waitcnt lgkmcnt(0)
	s_and_b32 s22, s22, 0xffff
	s_lshl_b32 s23, s22, 1
	s_lshl_b32 s24, s22, 3
	v_mov_b32_e32 v12, v4
	v_mov_b32_e32 v13, v0
.LBB147_17:                             ;   Parent Loop BB147_15 Depth=1
                                        ; =>  This Inner Loop Header: Depth=2
	ds_read_b64 v[14:15], v11
	v_add_u32_e32 v13, s22, v13
	v_cmp_le_i32_e32 vcc, s7, v13
	s_or_b64 s[20:21], vcc, s[20:21]
	v_add_u32_e32 v16, 1, v12
	s_waitcnt lgkmcnt(0)
	v_cmp_gt_f32_e32 vcc, v14, v10
	v_cndmask_b32_e32 v10, v10, v14, vcc
	v_cndmask_b32_e32 v9, v9, v12, vcc
	v_cmp_gt_f32_e32 vcc, v15, v10
	v_add_u32_e32 v11, s24, v11
	v_cndmask_b32_e32 v10, v10, v15, vcc
	v_add_u32_e32 v12, s23, v12
	v_cndmask_b32_e32 v9, v9, v16, vcc
	s_andn2_b64 exec, exec, s[20:21]
	s_cbranch_execnz .LBB147_17
; %bb.18:                               ;   in Loop: Header=BB147_15 Depth=1
	s_or_b64 exec, exec, s[20:21]
.LBB147_19:                             ;   in Loop: Header=BB147_15 Depth=1
	s_or_b64 exec, exec, s[18:19]
	;;#ASMSTART
	v_max_f32 v11, v10, v10 quad_perm:[1,0,3,2] row_mask:0xf bank_mask:0xf bound_ctrl:1
	;;#ASMEND
	;;#ASMSTART
	v_max_f32 v12, v11, v11 quad_perm:[2,3,0,1] row_mask:0xf bank_mask:0xf bound_ctrl:1
	;;#ASMEND
	;;#ASMSTART
	v_max_f32 v11, v12, v12 row_half_mirror row_mask:0xf bank_mask:0xf bound_ctrl:1
	;;#ASMEND
	;;#ASMSTART
	v_max_f32 v12, v11, v11 row_mirror row_mask:0xf bank_mask:0xf bound_ctrl:1
	;;#ASMEND
	;;#ASMSTART
	v_max_f32 v11, v12, v12 row_ror:4 row_mask:0xf bank_mask:0xf bound_ctrl:1
	;;#ASMEND
	;;#ASMSTART
	v_max_f32 v12, v11, v11 row_ror:8 row_mask:0xf bank_mask:0xf bound_ctrl:1
	;;#ASMEND
	;;#ASMSTART
	v_max_f32 v11, v12, v12 row_bcast:15 row_mask:0xf bank_mask:0xf bound_ctrl:1
	;;#ASMEND
	;;#ASMSTART
	v_max_f32 v12, v11, v11 row_bcast:31 row_mask:0xf bank_mask:0xf bound_ctrl:1
	;;#ASMEND
	ds_bpermute_b32 v11, v5, v12
	s_waitcnt lgkmcnt(0)
	v_cmp_eq_f32_e32 vcc, v10, v11
	s_ff1_i32_b64 s18, vcc
	s_cmp_lg_u64 vcc, 0
	s_cselect_b32 s18, s18, 0
	s_and_b64 vcc, exec, s[8:9]
	v_readlane_b32 s18, v9, s18
	s_cbranch_vccz .LBB147_14
; %bb.20:                               ;   in Loop: Header=BB147_15 Depth=1
	s_ashr_i32 s19, s18, 31
	s_lshl_b64 s[20:21], s[18:19], 1
	s_add_u32 s20, s10, s20
	s_addc_u32 s21, s11, s21
	global_load_ushort v9, v7, s[20:21]
	s_waitcnt vmcnt(0)
	v_cvt_f32_f16_e32 v9, v9
	v_sub_f32_e32 v11, v11, v9
	s_branch .LBB147_14
.LBB147_21:
	v_mov_b32_e32 v1, 0
	v_mov_b32_e32 v3, 0
.LBB147_22:
	v_cmp_gt_i32_e32 vcc, s17, v0
	s_and_saveexec_b64 s[0:1], vcc
	s_cbranch_execz .LBB147_25
; %bb.23:
	s_load_dword s2, s[4:5], 0x34
	v_max_f32_e32 v3, v3, v3
	v_max_f32_e32 v3, 0x1e3ce508, v3
	s_load_dword s3, s[4:5], 0x44
	s_waitcnt lgkmcnt(0)
	v_div_scale_f32 v4, s[0:1], v3, v3, s2
	s_load_dwordx2 s[0:1], s[4:5], 0x20
	v_rcp_f32_e32 v5, v4
	v_div_scale_f32 v6, vcc, s2, v3, s2
	s_and_b32 s3, s3, 0xffff
	v_fma_f32 v7, -v4, v5, 1.0
	v_fmac_f32_e32 v5, v7, v5
	v_mul_f32_e32 v7, v6, v5
	v_fma_f32 v8, -v4, v7, v6
	v_fmac_f32_e32 v7, v8, v5
	v_fma_f32 v4, -v4, v7, v6
	v_div_fmas_f32 v4, v4, v5, v7
	v_div_fixup_f32 v3, v4, v3, s2
	s_ashr_i32 s2, s6, 31
	s_waitcnt lgkmcnt(0)
	s_mul_i32 s1, s6, s1
	s_mul_hi_u32 s4, s6, s0
	s_add_i32 s1, s4, s1
	s_mul_i32 s2, s2, s0
	s_add_i32 s4, s1, s2
	v_mul_f32_e32 v2, v2, v3
	s_mul_i32 s2, s6, s0
	s_mov_b64 s[0:1], 0
	v_mov_b32_e32 v3, s4
	v_mov_b32_e32 v4, s13
	;; [unrolled: 1-line block ×3, first 2 shown]
.LBB147_24:                             ; =>This Inner Loop Header: Depth=1
	v_ashrrev_i32_e32 v7, 31, v0
	v_add_co_u32_e32 v6, vcc, s2, v0
	v_addc_co_u32_e32 v7, vcc, v3, v7, vcc
	v_add_u32_e32 v0, s3, v0
	v_cmp_le_i32_e32 vcc, s17, v0
	v_lshlrev_b64 v[6:7], 2, v[6:7]
	s_or_b64 s[0:1], vcc, s[0:1]
	v_add_co_u32_e32 v8, vcc, s12, v6
	v_addc_co_u32_e32 v9, vcc, v4, v7, vcc
	v_add_co_u32_e32 v6, vcc, s14, v6
	v_addc_co_u32_e32 v7, vcc, v5, v7, vcc
	global_store_dword v[8:9], v2, off
	global_store_dword v[6:7], v1, off
	s_andn2_b64 exec, exec, s[0:1]
	s_cbranch_execnz .LBB147_24
.LBB147_25:
	s_endpgm
	.section	.rodata,"a",@progbits
	.p2align	6, 0x0
	.amdhsa_kernel _ZN5aiter20topk_softplus_kernelI6__halfS1_Dv2_fLb1ELi1EEEvPKT_PKT0_PfPimiiif
		.amdhsa_group_segment_fixed_size 0
		.amdhsa_private_segment_fixed_size 0
		.amdhsa_kernarg_size 312
		.amdhsa_user_sgpr_count 6
		.amdhsa_user_sgpr_private_segment_buffer 1
		.amdhsa_user_sgpr_dispatch_ptr 0
		.amdhsa_user_sgpr_queue_ptr 0
		.amdhsa_user_sgpr_kernarg_segment_ptr 1
		.amdhsa_user_sgpr_dispatch_id 0
		.amdhsa_user_sgpr_flat_scratch_init 0
		.amdhsa_user_sgpr_kernarg_preload_length 0
		.amdhsa_user_sgpr_kernarg_preload_offset 0
		.amdhsa_user_sgpr_private_segment_size 0
		.amdhsa_uses_dynamic_stack 0
		.amdhsa_system_sgpr_private_segment_wavefront_offset 0
		.amdhsa_system_sgpr_workgroup_id_x 1
		.amdhsa_system_sgpr_workgroup_id_y 0
		.amdhsa_system_sgpr_workgroup_id_z 0
		.amdhsa_system_sgpr_workgroup_info 0
		.amdhsa_system_vgpr_workitem_id 0
		.amdhsa_next_free_vgpr 17
		.amdhsa_next_free_sgpr 28
		.amdhsa_accum_offset 20
		.amdhsa_reserve_vcc 1
		.amdhsa_reserve_flat_scratch 0
		.amdhsa_float_round_mode_32 0
		.amdhsa_float_round_mode_16_64 0
		.amdhsa_float_denorm_mode_32 3
		.amdhsa_float_denorm_mode_16_64 3
		.amdhsa_dx10_clamp 1
		.amdhsa_ieee_mode 1
		.amdhsa_fp16_overflow 0
		.amdhsa_tg_split 0
		.amdhsa_exception_fp_ieee_invalid_op 0
		.amdhsa_exception_fp_denorm_src 0
		.amdhsa_exception_fp_ieee_div_zero 0
		.amdhsa_exception_fp_ieee_overflow 0
		.amdhsa_exception_fp_ieee_underflow 0
		.amdhsa_exception_fp_ieee_inexact 0
		.amdhsa_exception_int_div_zero 0
	.end_amdhsa_kernel
	.section	.text._ZN5aiter20topk_softplus_kernelI6__halfS1_Dv2_fLb1ELi1EEEvPKT_PKT0_PfPimiiif,"axG",@progbits,_ZN5aiter20topk_softplus_kernelI6__halfS1_Dv2_fLb1ELi1EEEvPKT_PKT0_PfPimiiif,comdat
.Lfunc_end147:
	.size	_ZN5aiter20topk_softplus_kernelI6__halfS1_Dv2_fLb1ELi1EEEvPKT_PKT0_PfPimiiif, .Lfunc_end147-_ZN5aiter20topk_softplus_kernelI6__halfS1_Dv2_fLb1ELi1EEEvPKT_PKT0_PfPimiiif
                                        ; -- End function
	.section	.AMDGPU.csdata,"",@progbits
; Kernel info:
; codeLenInByte = 1464
; NumSgprs: 32
; NumVgprs: 17
; NumAgprs: 0
; TotalNumVgprs: 17
; ScratchSize: 0
; MemoryBound: 0
; FloatMode: 240
; IeeeMode: 1
; LDSByteSize: 0 bytes/workgroup (compile time only)
; SGPRBlocks: 3
; VGPRBlocks: 2
; NumSGPRsForWavesPerEU: 32
; NumVGPRsForWavesPerEU: 17
; AccumOffset: 20
; Occupancy: 8
; WaveLimiterHint : 0
; COMPUTE_PGM_RSRC2:SCRATCH_EN: 0
; COMPUTE_PGM_RSRC2:USER_SGPR: 6
; COMPUTE_PGM_RSRC2:TRAP_HANDLER: 0
; COMPUTE_PGM_RSRC2:TGID_X_EN: 1
; COMPUTE_PGM_RSRC2:TGID_Y_EN: 0
; COMPUTE_PGM_RSRC2:TGID_Z_EN: 0
; COMPUTE_PGM_RSRC2:TIDIG_COMP_CNT: 0
; COMPUTE_PGM_RSRC3_GFX90A:ACCUM_OFFSET: 4
; COMPUTE_PGM_RSRC3_GFX90A:TG_SPLIT: 0
	.section	.text._ZN5aiter20topk_softplus_kernelI6__halfS1_Dv2_fLb0ELi1EEEvPKT_PKT0_PfPimiiif,"axG",@progbits,_ZN5aiter20topk_softplus_kernelI6__halfS1_Dv2_fLb0ELi1EEEvPKT_PKT0_PfPimiiif,comdat
	.protected	_ZN5aiter20topk_softplus_kernelI6__halfS1_Dv2_fLb0ELi1EEEvPKT_PKT0_PfPimiiif ; -- Begin function _ZN5aiter20topk_softplus_kernelI6__halfS1_Dv2_fLb0ELi1EEEvPKT_PKT0_PfPimiiif
	.globl	_ZN5aiter20topk_softplus_kernelI6__halfS1_Dv2_fLb0ELi1EEEvPKT_PKT0_PfPimiiif
	.p2align	8
	.type	_ZN5aiter20topk_softplus_kernelI6__halfS1_Dv2_fLb0ELi1EEEvPKT_PKT0_PfPimiiif,@function
_ZN5aiter20topk_softplus_kernelI6__halfS1_Dv2_fLb0ELi1EEEvPKT_PKT0_PfPimiiif: ; @_ZN5aiter20topk_softplus_kernelI6__halfS1_Dv2_fLb0ELi1EEEvPKT_PKT0_PfPimiiif
; %bb.0:
	s_load_dwordx2 s[16:17], s[4:5], 0x28
	s_load_dwordx8 s[8:15], s[4:5], 0x0
	v_lshl_add_u32 v6, v0, 3, 0
	s_waitcnt lgkmcnt(0)
	s_lshr_b32 s1, s16, 31
	s_mul_i32 s0, s6, s16
	s_add_i32 s1, s16, s1
	s_ashr_i32 s7, s1, 1
	s_ashr_i32 s1, s0, 31
	s_lshl_b64 s[0:1], s[0:1], 1
	s_add_u32 s20, s8, s0
	s_addc_u32 s21, s9, s1
	v_cmp_gt_i32_e64 s[0:1], s7, v0
	s_and_saveexec_b64 s[8:9], s[0:1]
	s_cbranch_execz .LBB148_7
; %bb.1:
	s_load_dword s22, s[4:5], 0x44
	s_cmp_lg_u64 s[10:11], 0
	s_cselect_b64 s[2:3], -1, 0
	s_mov_b32 s27, 0
	v_cndmask_b32_e64 v4, 0, 1, s[2:3]
	s_waitcnt lgkmcnt(0)
	s_and_b32 s22, s22, 0xffff
	s_mov_b64 s[18:19], 0
	v_lshlrev_b32_e32 v2, 2, v0
	v_mov_b32_e32 v1, 0
	s_lshl_b32 s23, s22, 2
	v_lshl_add_u32 v3, v0, 3, 0
	s_lshl_b32 s24, s22, 3
	v_mov_b32_e32 v7, s21
	s_mov_b32 s25, 0xbfb8aa3b
	s_mov_b32 s26, 0xc2fc0000
	v_mov_b32_e32 v8, 0x42800000
	v_mov_b32_e32 v9, 0x1f800000
	v_cmp_ne_u32_e64 s[2:3], 1, v4
	v_mov_b32_e32 v10, s27
	v_mov_b32_e32 v11, v0
	s_branch .LBB148_3
.LBB148_2:                              ;   in Loop: Header=BB148_3 Depth=1
	v_add_co_u32_e32 v2, vcc, s23, v2
	v_add_u32_e32 v11, s22, v11
	v_addc_co_u32_e32 v1, vcc, v1, v10, vcc
	v_cmp_le_i32_e32 vcc, s7, v11
	ds_write_b64 v3, v[4:5]
	s_or_b64 s[18:19], vcc, s[18:19]
	v_add_u32_e32 v3, s24, v3
	s_andn2_b64 exec, exec, s[18:19]
	s_cbranch_execz .LBB148_7
.LBB148_3:                              ; =>This Inner Loop Header: Depth=1
	v_add_co_u32_e32 v4, vcc, s20, v2
	v_addc_co_u32_e32 v5, vcc, v7, v1, vcc
	global_load_dword v5, v[4:5], off
	s_waitcnt vmcnt(0)
	v_cvt_f32_f16_e32 v4, v5
	v_mul_f32_e32 v4, 0xbfb8aa3b, v4
	v_cmp_gt_f32_e32 vcc, s26, v4
	v_cndmask_b32_e32 v4, 0, v8, vcc
	v_fma_mix_f32 v4, v5, s25, v4 op_sel_hi:[1,0,0]
	v_exp_f32_e32 v4, v4
	v_cndmask_b32_e32 v12, 1.0, v9, vcc
	s_and_b64 vcc, exec, s[2:3]
	v_fma_f32 v4, v4, v12, 1.0
	v_rcp_f32_e32 v4, v4
	s_cbranch_vccnz .LBB148_5
; %bb.4:                                ;   in Loop: Header=BB148_3 Depth=1
	v_mov_b32_e32 v13, s11
	v_add_co_u32_e32 v12, vcc, s10, v2
	v_addc_co_u32_e32 v13, vcc, v13, v1, vcc
	global_load_ushort v12, v[12:13], off
	s_waitcnt vmcnt(0)
	v_cvt_f32_f16_e32 v12, v12
	v_add_f32_e32 v4, v4, v12
.LBB148_5:                              ;   in Loop: Header=BB148_3 Depth=1
	v_cvt_f32_f16_sdwa v12, v5 dst_sel:DWORD dst_unused:UNUSED_PAD src0_sel:WORD_1
	v_mul_f32_e32 v12, 0xbfb8aa3b, v12
	v_cmp_gt_f32_e32 vcc, s26, v12
	v_cndmask_b32_e32 v13, 0, v8, vcc
	v_fma_mix_f32 v5, v5, s25, v13 op_sel:[1,0,0] op_sel_hi:[1,0,0]
	v_exp_f32_e32 v5, v5
	v_cndmask_b32_e32 v12, 1.0, v9, vcc
	s_and_b64 vcc, exec, s[2:3]
	v_fma_f32 v5, v5, v12, 1.0
	v_rcp_f32_e32 v5, v5
	s_cbranch_vccnz .LBB148_2
; %bb.6:                                ;   in Loop: Header=BB148_3 Depth=1
	v_mov_b32_e32 v13, s11
	v_add_co_u32_e32 v12, vcc, s10, v2
	v_addc_co_u32_e32 v13, vcc, v13, v1, vcc
	global_load_ushort v12, v[12:13], off offset:2
	s_waitcnt vmcnt(0)
	v_cvt_f32_f16_e32 v12, v12
	v_add_f32_e32 v5, v5, v12
	s_branch .LBB148_2
.LBB148_7:
	s_or_b64 exec, exec, s[8:9]
	v_lshl_add_u32 v2, s7, 1, v0
	v_cmp_gt_i32_e32 vcc, s16, v2
	s_and_saveexec_b64 s[8:9], vcc
	s_cbranch_execz .LBB148_12
; %bb.8:
	s_load_dword s22, s[4:5], 0x44
	s_cmp_lg_u64 s[10:11], 0
	s_cselect_b64 s[2:3], -1, 0
	s_lshl_b32 s23, s7, 3
	s_add_i32 s23, s23, 0
	s_waitcnt lgkmcnt(0)
	s_and_b32 s22, s22, 0xffff
	v_cndmask_b32_e64 v3, 0, 1, s[2:3]
	s_mov_b64 s[18:19], 0
	v_lshl_add_u32 v1, v0, 2, s23
	s_lshl_b32 s23, s22, 2
	v_mov_b32_e32 v7, s21
	s_mov_b32 s21, 0xbfb8aa3b
	s_mov_b32 s24, 0xc2fc0000
	v_mov_b32_e32 v8, 0x42800000
	v_mov_b32_e32 v9, 0x1f800000
	v_cmp_ne_u32_e64 s[2:3], 1, v3
	s_branch .LBB148_10
.LBB148_9:                              ;   in Loop: Header=BB148_10 Depth=1
	v_add_u32_e32 v2, s22, v2
	v_cmp_le_i32_e32 vcc, s16, v2
	s_or_b64 s[18:19], vcc, s[18:19]
	v_add_u32_e32 v1, s23, v1
	s_andn2_b64 exec, exec, s[18:19]
	s_cbranch_execz .LBB148_12
.LBB148_10:                             ; =>This Inner Loop Header: Depth=1
	v_ashrrev_i32_e32 v3, 31, v2
	v_lshlrev_b64 v[4:5], 1, v[2:3]
	v_add_co_u32_e32 v10, vcc, s20, v4
	v_addc_co_u32_e32 v11, vcc, v7, v5, vcc
	global_load_ushort v3, v[10:11], off
	s_waitcnt vmcnt(0)
	v_cvt_f32_f16_e32 v10, v3
	v_mul_f32_e32 v10, 0xbfb8aa3b, v10
	v_cmp_gt_f32_e32 vcc, s24, v10
	v_cndmask_b32_e32 v10, 0, v8, vcc
	v_fma_mix_f32 v3, v3, s21, v10 op_sel_hi:[1,0,0]
	v_exp_f32_e32 v3, v3
	v_cndmask_b32_e32 v10, 1.0, v9, vcc
	s_and_b64 vcc, exec, s[2:3]
	v_fma_f32 v3, v3, v10, 1.0
	v_rcp_f32_e32 v3, v3
	ds_write_b32 v1, v3
	s_cbranch_vccnz .LBB148_9
; %bb.11:                               ;   in Loop: Header=BB148_10 Depth=1
	v_mov_b32_e32 v10, s11
	v_add_co_u32_e32 v4, vcc, s10, v4
	v_addc_co_u32_e32 v5, vcc, v10, v5, vcc
	global_load_ushort v4, v[4:5], off
	s_waitcnt vmcnt(0)
	v_cvt_f32_f16_e32 v4, v4
	v_add_f32_e32 v3, v3, v4
	ds_write_b32 v1, v3
	s_branch .LBB148_9
.LBB148_12:
	s_or_b64 exec, exec, s[8:9]
	s_cmp_lt_i32 s17, 1
	s_waitcnt lgkmcnt(0)
	s_barrier
	s_cbranch_scc1 .LBB148_21
; %bb.13:
	s_add_u32 s2, s4, 56
	s_addc_u32 s3, s5, 0
	v_mbcnt_lo_u32_b32 v2, -1, 0
	s_cmp_lg_u64 s[10:11], 0
	v_mbcnt_hi_u32_b32 v2, -1, v2
	v_bfrev_b32_e32 v5, 0.5
	s_cselect_b64 s[8:9], -1, 0
	v_lshlrev_b32_e32 v3, 1, v0
	s_mov_b32 s16, 0
	v_mov_b32_e32 v1, 0
	v_mov_b32_e32 v4, 0
	v_lshl_or_b32 v5, v2, 2, v5
	v_mov_b32_e32 v7, 0xff800000
	v_mov_b32_e32 v2, 0
	s_branch .LBB148_15
.LBB148_14:                             ;   in Loop: Header=BB148_15 Depth=1
	s_lshl_b32 s19, s18, 2
	s_add_i32 s19, s19, 0
	v_mov_b32_e32 v8, s19
	ds_write_b32 v8, v7
	v_mov_b32_e32 v8, s18
	v_cmp_eq_u32_e32 vcc, s16, v0
	s_add_i32 s16, s16, 1
	v_cndmask_b32_e32 v1, v1, v8, vcc
	s_cmp_eq_u32 s16, s17
	v_cndmask_b32_e32 v2, v2, v10, vcc
	s_cbranch_scc1 .LBB148_22
.LBB148_15:                             ; =>This Loop Header: Depth=1
                                        ;     Child Loop BB148_17 Depth 2
	v_mov_b32_e32 v8, s16
	v_mov_b32_e32 v9, 0xff800000
	s_and_saveexec_b64 s[18:19], s[0:1]
	s_cbranch_execz .LBB148_19
; %bb.16:                               ;   in Loop: Header=BB148_15 Depth=1
	s_load_dword s22, s[2:3], 0xc
	s_mov_b64 s[20:21], 0
	v_mov_b32_e32 v8, s16
	v_mov_b32_e32 v9, 0xff800000
	;; [unrolled: 1-line block ×3, first 2 shown]
	s_waitcnt lgkmcnt(0)
	s_and_b32 s22, s22, 0xffff
	s_lshl_b32 s23, s22, 1
	s_lshl_b32 s24, s22, 3
	v_mov_b32_e32 v11, v3
	v_mov_b32_e32 v12, v0
.LBB148_17:                             ;   Parent Loop BB148_15 Depth=1
                                        ; =>  This Inner Loop Header: Depth=2
	ds_read_b64 v[14:15], v10
	v_add_u32_e32 v12, s22, v12
	v_cmp_le_i32_e32 vcc, s7, v12
	s_or_b64 s[20:21], vcc, s[20:21]
	v_add_u32_e32 v13, 1, v11
	s_waitcnt lgkmcnt(0)
	v_cmp_gt_f32_e32 vcc, v14, v9
	v_cndmask_b32_e32 v9, v9, v14, vcc
	v_cndmask_b32_e32 v8, v8, v11, vcc
	v_cmp_gt_f32_e32 vcc, v15, v9
	v_add_u32_e32 v10, s24, v10
	v_cndmask_b32_e32 v9, v9, v15, vcc
	v_add_u32_e32 v11, s23, v11
	v_cndmask_b32_e32 v8, v8, v13, vcc
	s_andn2_b64 exec, exec, s[20:21]
	s_cbranch_execnz .LBB148_17
; %bb.18:                               ;   in Loop: Header=BB148_15 Depth=1
	s_or_b64 exec, exec, s[20:21]
.LBB148_19:                             ;   in Loop: Header=BB148_15 Depth=1
	s_or_b64 exec, exec, s[18:19]
	;;#ASMSTART
	v_max_f32 v10, v9, v9 quad_perm:[1,0,3,2] row_mask:0xf bank_mask:0xf bound_ctrl:1
	;;#ASMEND
	;;#ASMSTART
	v_max_f32 v11, v10, v10 quad_perm:[2,3,0,1] row_mask:0xf bank_mask:0xf bound_ctrl:1
	;;#ASMEND
	;;#ASMSTART
	v_max_f32 v10, v11, v11 row_half_mirror row_mask:0xf bank_mask:0xf bound_ctrl:1
	;;#ASMEND
	;;#ASMSTART
	v_max_f32 v11, v10, v10 row_mirror row_mask:0xf bank_mask:0xf bound_ctrl:1
	;;#ASMEND
	;;#ASMSTART
	v_max_f32 v10, v11, v11 row_ror:4 row_mask:0xf bank_mask:0xf bound_ctrl:1
	;;#ASMEND
	;;#ASMSTART
	v_max_f32 v11, v10, v10 row_ror:8 row_mask:0xf bank_mask:0xf bound_ctrl:1
	;;#ASMEND
	;;#ASMSTART
	v_max_f32 v10, v11, v11 row_bcast:15 row_mask:0xf bank_mask:0xf bound_ctrl:1
	;;#ASMEND
	;;#ASMSTART
	v_max_f32 v11, v10, v10 row_bcast:31 row_mask:0xf bank_mask:0xf bound_ctrl:1
	;;#ASMEND
	ds_bpermute_b32 v10, v5, v11
	s_waitcnt lgkmcnt(0)
	v_cmp_eq_f32_e32 vcc, v9, v10
	s_ff1_i32_b64 s18, vcc
	s_cmp_lg_u64 vcc, 0
	s_cselect_b32 s18, s18, 0
	s_and_b64 vcc, exec, s[8:9]
	v_readlane_b32 s18, v8, s18
	s_cbranch_vccz .LBB148_14
; %bb.20:                               ;   in Loop: Header=BB148_15 Depth=1
	s_ashr_i32 s19, s18, 31
	s_lshl_b64 s[20:21], s[18:19], 1
	s_add_u32 s20, s10, s20
	s_addc_u32 s21, s11, s21
	global_load_ushort v8, v4, s[20:21]
	s_waitcnt vmcnt(0)
	v_cvt_f32_f16_e32 v8, v8
	v_sub_f32_e32 v10, v10, v8
	s_branch .LBB148_14
.LBB148_21:
	v_mov_b32_e32 v2, 0
	v_mov_b32_e32 v1, 0
.LBB148_22:
	v_cmp_gt_i32_e32 vcc, s17, v0
	s_and_saveexec_b64 s[0:1], vcc
	s_cbranch_execz .LBB148_25
; %bb.23:
	s_load_dword s2, s[4:5], 0x34
	s_load_dwordx2 s[0:1], s[4:5], 0x20
	s_ashr_i32 s3, s6, 31
	s_load_dword s4, s[4:5], 0x44
	v_mov_b32_e32 v4, s13
	s_waitcnt lgkmcnt(0)
	v_mul_f32_e32 v2, s2, v2
	s_mul_i32 s1, s6, s1
	s_mul_hi_u32 s2, s6, s0
	s_add_i32 s1, s2, s1
	s_mul_i32 s3, s3, s0
	s_add_i32 s5, s1, s3
	s_mul_i32 s2, s6, s0
	s_and_b32 s3, s4, 0xffff
	s_mov_b64 s[0:1], 0
	v_mov_b32_e32 v3, s5
	v_mov_b32_e32 v5, s15
.LBB148_24:                             ; =>This Inner Loop Header: Depth=1
	v_ashrrev_i32_e32 v7, 31, v0
	v_add_co_u32_e32 v6, vcc, s2, v0
	v_addc_co_u32_e32 v7, vcc, v3, v7, vcc
	v_add_u32_e32 v0, s3, v0
	v_cmp_le_i32_e32 vcc, s17, v0
	v_lshlrev_b64 v[6:7], 2, v[6:7]
	s_or_b64 s[0:1], vcc, s[0:1]
	v_add_co_u32_e32 v8, vcc, s12, v6
	v_addc_co_u32_e32 v9, vcc, v4, v7, vcc
	v_add_co_u32_e32 v6, vcc, s14, v6
	v_addc_co_u32_e32 v7, vcc, v5, v7, vcc
	global_store_dword v[8:9], v2, off
	global_store_dword v[6:7], v1, off
	s_andn2_b64 exec, exec, s[0:1]
	s_cbranch_execnz .LBB148_24
.LBB148_25:
	s_endpgm
	.section	.rodata,"a",@progbits
	.p2align	6, 0x0
	.amdhsa_kernel _ZN5aiter20topk_softplus_kernelI6__halfS1_Dv2_fLb0ELi1EEEvPKT_PKT0_PfPimiiif
		.amdhsa_group_segment_fixed_size 0
		.amdhsa_private_segment_fixed_size 0
		.amdhsa_kernarg_size 312
		.amdhsa_user_sgpr_count 6
		.amdhsa_user_sgpr_private_segment_buffer 1
		.amdhsa_user_sgpr_dispatch_ptr 0
		.amdhsa_user_sgpr_queue_ptr 0
		.amdhsa_user_sgpr_kernarg_segment_ptr 1
		.amdhsa_user_sgpr_dispatch_id 0
		.amdhsa_user_sgpr_flat_scratch_init 0
		.amdhsa_user_sgpr_kernarg_preload_length 0
		.amdhsa_user_sgpr_kernarg_preload_offset 0
		.amdhsa_user_sgpr_private_segment_size 0
		.amdhsa_uses_dynamic_stack 0
		.amdhsa_system_sgpr_private_segment_wavefront_offset 0
		.amdhsa_system_sgpr_workgroup_id_x 1
		.amdhsa_system_sgpr_workgroup_id_y 0
		.amdhsa_system_sgpr_workgroup_id_z 0
		.amdhsa_system_sgpr_workgroup_info 0
		.amdhsa_system_vgpr_workitem_id 0
		.amdhsa_next_free_vgpr 16
		.amdhsa_next_free_sgpr 28
		.amdhsa_accum_offset 16
		.amdhsa_reserve_vcc 1
		.amdhsa_reserve_flat_scratch 0
		.amdhsa_float_round_mode_32 0
		.amdhsa_float_round_mode_16_64 0
		.amdhsa_float_denorm_mode_32 3
		.amdhsa_float_denorm_mode_16_64 3
		.amdhsa_dx10_clamp 1
		.amdhsa_ieee_mode 1
		.amdhsa_fp16_overflow 0
		.amdhsa_tg_split 0
		.amdhsa_exception_fp_ieee_invalid_op 0
		.amdhsa_exception_fp_denorm_src 0
		.amdhsa_exception_fp_ieee_div_zero 0
		.amdhsa_exception_fp_ieee_overflow 0
		.amdhsa_exception_fp_ieee_underflow 0
		.amdhsa_exception_fp_ieee_inexact 0
		.amdhsa_exception_int_div_zero 0
	.end_amdhsa_kernel
	.section	.text._ZN5aiter20topk_softplus_kernelI6__halfS1_Dv2_fLb0ELi1EEEvPKT_PKT0_PfPimiiif,"axG",@progbits,_ZN5aiter20topk_softplus_kernelI6__halfS1_Dv2_fLb0ELi1EEEvPKT_PKT0_PfPimiiif,comdat
.Lfunc_end148:
	.size	_ZN5aiter20topk_softplus_kernelI6__halfS1_Dv2_fLb0ELi1EEEvPKT_PKT0_PfPimiiif, .Lfunc_end148-_ZN5aiter20topk_softplus_kernelI6__halfS1_Dv2_fLb0ELi1EEEvPKT_PKT0_PfPimiiif
                                        ; -- End function
	.section	.AMDGPU.csdata,"",@progbits
; Kernel info:
; codeLenInByte = 1364
; NumSgprs: 32
; NumVgprs: 16
; NumAgprs: 0
; TotalNumVgprs: 16
; ScratchSize: 0
; MemoryBound: 0
; FloatMode: 240
; IeeeMode: 1
; LDSByteSize: 0 bytes/workgroup (compile time only)
; SGPRBlocks: 3
; VGPRBlocks: 1
; NumSGPRsForWavesPerEU: 32
; NumVGPRsForWavesPerEU: 16
; AccumOffset: 16
; Occupancy: 8
; WaveLimiterHint : 0
; COMPUTE_PGM_RSRC2:SCRATCH_EN: 0
; COMPUTE_PGM_RSRC2:USER_SGPR: 6
; COMPUTE_PGM_RSRC2:TRAP_HANDLER: 0
; COMPUTE_PGM_RSRC2:TGID_X_EN: 1
; COMPUTE_PGM_RSRC2:TGID_Y_EN: 0
; COMPUTE_PGM_RSRC2:TGID_Z_EN: 0
; COMPUTE_PGM_RSRC2:TIDIG_COMP_CNT: 0
; COMPUTE_PGM_RSRC3_GFX90A:ACCUM_OFFSET: 3
; COMPUTE_PGM_RSRC3_GFX90A:TG_SPLIT: 0
	.section	.text._ZN5aiter20topk_softplus_kernelI6__halfS1_Dv1_fLb1ELi1EEEvPKT_PKT0_PfPimiiif,"axG",@progbits,_ZN5aiter20topk_softplus_kernelI6__halfS1_Dv1_fLb1ELi1EEEvPKT_PKT0_PfPimiiif,comdat
	.protected	_ZN5aiter20topk_softplus_kernelI6__halfS1_Dv1_fLb1ELi1EEEvPKT_PKT0_PfPimiiif ; -- Begin function _ZN5aiter20topk_softplus_kernelI6__halfS1_Dv1_fLb1ELi1EEEvPKT_PKT0_PfPimiiif
	.globl	_ZN5aiter20topk_softplus_kernelI6__halfS1_Dv1_fLb1ELi1EEEvPKT_PKT0_PfPimiiif
	.p2align	8
	.type	_ZN5aiter20topk_softplus_kernelI6__halfS1_Dv1_fLb1ELi1EEEvPKT_PKT0_PfPimiiif,@function
_ZN5aiter20topk_softplus_kernelI6__halfS1_Dv1_fLb1ELi1EEEvPKT_PKT0_PfPimiiif: ; @_ZN5aiter20topk_softplus_kernelI6__halfS1_Dv1_fLb1ELi1EEEvPKT_PKT0_PfPimiiif
; %bb.0:
	s_load_dwordx2 s[16:17], s[4:5], 0x28
	s_load_dwordx8 s[8:15], s[4:5], 0x0
	v_lshl_add_u32 v1, v0, 2, 0
	s_waitcnt lgkmcnt(0)
	s_mul_i32 s2, s6, s16
	s_ashr_i32 s3, s2, 31
	s_lshl_b64 s[2:3], s[2:3], 1
	s_add_u32 s7, s8, s2
	v_cmp_gt_i32_e64 s[0:1], s16, v0
	s_addc_u32 s20, s9, s3
	s_and_saveexec_b64 s[8:9], s[0:1]
	s_cbranch_execz .LBB149_5
; %bb.1:
	s_load_dword s21, s[4:5], 0x44
	s_cmp_lg_u64 s[10:11], 0
	s_cselect_b64 s[2:3], -1, 0
	v_cndmask_b32_e64 v2, 0, 1, s[2:3]
	s_mov_b64 s[18:19], 0
	s_waitcnt lgkmcnt(0)
	s_and_b32 s21, s21, 0xffff
	v_lshl_add_u32 v6, v0, 2, 0
	s_lshl_b32 s22, s21, 2
	v_mov_b32_e32 v7, s20
	s_mov_b32 s23, 0xbfb8aa3b
	s_mov_b32 s24, 0xc2fc0000
	v_mov_b32_e32 v8, 0x42800000
	v_mov_b32_e32 v9, 0x1f800000
	v_cmp_ne_u32_e64 s[2:3], 1, v2
	v_mov_b32_e32 v2, v0
	s_branch .LBB149_3
.LBB149_2:                              ;   in Loop: Header=BB149_3 Depth=1
	v_add_u32_e32 v2, s21, v2
	v_cmp_le_i32_e32 vcc, s16, v2
	ds_write_b32 v6, v3
	s_or_b64 s[18:19], vcc, s[18:19]
	v_add_u32_e32 v6, s22, v6
	s_andn2_b64 exec, exec, s[18:19]
	s_cbranch_execz .LBB149_5
.LBB149_3:                              ; =>This Inner Loop Header: Depth=1
	v_ashrrev_i32_e32 v3, 31, v2
	v_lshlrev_b64 v[4:5], 1, v[2:3]
	v_add_co_u32_e32 v10, vcc, s7, v4
	v_addc_co_u32_e32 v11, vcc, v7, v5, vcc
	global_load_ushort v3, v[10:11], off
	s_waitcnt vmcnt(0)
	v_cvt_f32_f16_e32 v10, v3
	v_mul_f32_e32 v10, 0xbfb8aa3b, v10
	v_cmp_gt_f32_e32 vcc, s24, v10
	v_cndmask_b32_e32 v10, 0, v8, vcc
	v_fma_mix_f32 v3, v3, s23, v10 op_sel_hi:[1,0,0]
	v_exp_f32_e32 v3, v3
	v_cndmask_b32_e32 v10, 1.0, v9, vcc
	s_and_b64 vcc, exec, s[2:3]
	v_fma_f32 v3, v3, v10, 1.0
	v_rcp_f32_e32 v3, v3
	s_cbranch_vccnz .LBB149_2
; %bb.4:                                ;   in Loop: Header=BB149_3 Depth=1
	v_mov_b32_e32 v10, s11
	v_add_co_u32_e32 v4, vcc, s10, v4
	v_addc_co_u32_e32 v5, vcc, v10, v5, vcc
	global_load_ushort v4, v[4:5], off
	s_waitcnt vmcnt(0)
	v_cvt_f32_f16_e32 v4, v4
	v_add_f32_e32 v3, v3, v4
	s_branch .LBB149_2
.LBB149_5:
	s_or_b64 exec, exec, s[8:9]
	v_add_u32_e32 v2, s16, v0
	v_cmp_gt_i32_e32 vcc, s16, v2
	s_and_saveexec_b64 s[8:9], vcc
	s_cbranch_execz .LBB149_10
; %bb.6:
	s_load_dword s21, s[4:5], 0x44
	s_cmp_lg_u64 s[10:11], 0
	s_cselect_b64 s[2:3], -1, 0
	v_cndmask_b32_e64 v3, 0, 1, s[2:3]
	s_mov_b64 s[18:19], 0
	s_waitcnt lgkmcnt(0)
	s_and_b32 s21, s21, 0xffff
	v_lshl_add_u32 v6, v2, 2, 0
	s_lshl_b32 s22, s21, 2
	v_mov_b32_e32 v7, s20
	s_mov_b32 s20, 0xbfb8aa3b
	s_mov_b32 s23, 0xc2fc0000
	v_mov_b32_e32 v8, 0x42800000
	v_mov_b32_e32 v9, 0x1f800000
	v_cmp_ne_u32_e64 s[2:3], 1, v3
	s_branch .LBB149_8
.LBB149_7:                              ;   in Loop: Header=BB149_8 Depth=1
	v_add_u32_e32 v2, s21, v2
	v_cmp_le_i32_e32 vcc, s16, v2
	s_or_b64 s[18:19], vcc, s[18:19]
	v_add_u32_e32 v6, s22, v6
	s_andn2_b64 exec, exec, s[18:19]
	s_cbranch_execz .LBB149_10
.LBB149_8:                              ; =>This Inner Loop Header: Depth=1
	v_ashrrev_i32_e32 v3, 31, v2
	v_lshlrev_b64 v[4:5], 1, v[2:3]
	v_add_co_u32_e32 v10, vcc, s7, v4
	v_addc_co_u32_e32 v11, vcc, v7, v5, vcc
	global_load_ushort v3, v[10:11], off
	s_waitcnt vmcnt(0)
	v_cvt_f32_f16_e32 v10, v3
	v_mul_f32_e32 v10, 0xbfb8aa3b, v10
	v_cmp_gt_f32_e32 vcc, s23, v10
	v_cndmask_b32_e32 v10, 0, v8, vcc
	v_fma_mix_f32 v3, v3, s20, v10 op_sel_hi:[1,0,0]
	v_exp_f32_e32 v3, v3
	v_cndmask_b32_e32 v10, 1.0, v9, vcc
	s_and_b64 vcc, exec, s[2:3]
	v_fma_f32 v3, v3, v10, 1.0
	v_rcp_f32_e32 v3, v3
	ds_write_b32 v6, v3
	s_cbranch_vccnz .LBB149_7
; %bb.9:                                ;   in Loop: Header=BB149_8 Depth=1
	v_mov_b32_e32 v10, s11
	v_add_co_u32_e32 v4, vcc, s10, v4
	v_addc_co_u32_e32 v5, vcc, v10, v5, vcc
	global_load_ushort v4, v[4:5], off
	s_waitcnt vmcnt(0)
	v_cvt_f32_f16_e32 v4, v4
	v_add_f32_e32 v3, v3, v4
	ds_write_b32 v6, v3
	s_branch .LBB149_7
.LBB149_10:
	s_or_b64 exec, exec, s[8:9]
	s_cmp_lt_i32 s17, 1
	v_mov_b32_e32 v3, 0
	s_waitcnt lgkmcnt(0)
	s_barrier
	s_cbranch_scc1 .LBB149_19
; %bb.11:
	s_add_u32 s2, s4, 56
	s_addc_u32 s3, s5, 0
	v_mbcnt_lo_u32_b32 v2, -1, 0
	s_cmp_lg_u64 s[10:11], 0
	v_mbcnt_hi_u32_b32 v2, -1, v2
	v_bfrev_b32_e32 v4, 0.5
	s_cselect_b64 s[8:9], -1, 0
	s_mov_b32 s7, 0
	v_mov_b32_e32 v3, 0
	v_lshl_or_b32 v5, v2, 2, v4
	v_mov_b32_e32 v6, 0
	v_mov_b32_e32 v7, 0xff800000
	;; [unrolled: 1-line block ×4, first 2 shown]
	s_branch .LBB149_13
.LBB149_12:                             ;   in Loop: Header=BB149_13 Depth=1
	s_lshl_b32 s19, s18, 2
	s_add_i32 s19, s19, 0
	v_mov_b32_e32 v8, s19
	ds_write_b32 v8, v7
	v_mov_b32_e32 v8, s18
	v_cmp_eq_u32_e32 vcc, s7, v0
	s_add_i32 s7, s7, 1
	v_cndmask_b32_e32 v2, v2, v8, vcc
	v_cndmask_b32_e32 v3, v3, v10, vcc
	s_cmp_eq_u32 s7, s17
	v_add_f32_e32 v4, v4, v10
	s_cbranch_scc1 .LBB149_20
.LBB149_13:                             ; =>This Loop Header: Depth=1
                                        ;     Child Loop BB149_15 Depth 2
	v_mov_b32_e32 v8, s7
	v_mov_b32_e32 v9, 0xff800000
	s_and_saveexec_b64 s[18:19], s[0:1]
	s_cbranch_execz .LBB149_17
; %bb.14:                               ;   in Loop: Header=BB149_13 Depth=1
	s_load_dword s22, s[2:3], 0xc
	s_mov_b64 s[20:21], 0
	v_mov_b32_e32 v8, s7
	v_mov_b32_e32 v9, 0xff800000
	;; [unrolled: 1-line block ×3, first 2 shown]
	s_waitcnt lgkmcnt(0)
	s_and_b32 s22, s22, 0xffff
	s_lshl_b32 s23, s22, 2
	v_mov_b32_e32 v11, v0
.LBB149_15:                             ;   Parent Loop BB149_13 Depth=1
                                        ; =>  This Inner Loop Header: Depth=2
	ds_read_b32 v12, v10
	v_add_u32_e32 v10, s23, v10
	s_waitcnt lgkmcnt(0)
	v_cmp_gt_f32_e32 vcc, v12, v9
	v_cndmask_b32_e32 v8, v8, v11, vcc
	v_add_u32_e32 v11, s22, v11
	v_cndmask_b32_e32 v9, v9, v12, vcc
	v_cmp_le_i32_e32 vcc, s16, v11
	s_or_b64 s[20:21], vcc, s[20:21]
	s_andn2_b64 exec, exec, s[20:21]
	s_cbranch_execnz .LBB149_15
; %bb.16:                               ;   in Loop: Header=BB149_13 Depth=1
	s_or_b64 exec, exec, s[20:21]
.LBB149_17:                             ;   in Loop: Header=BB149_13 Depth=1
	s_or_b64 exec, exec, s[18:19]
	;;#ASMSTART
	v_max_f32 v10, v9, v9 quad_perm:[1,0,3,2] row_mask:0xf bank_mask:0xf bound_ctrl:1
	;;#ASMEND
	;;#ASMSTART
	v_max_f32 v11, v10, v10 quad_perm:[2,3,0,1] row_mask:0xf bank_mask:0xf bound_ctrl:1
	;;#ASMEND
	;;#ASMSTART
	v_max_f32 v10, v11, v11 row_half_mirror row_mask:0xf bank_mask:0xf bound_ctrl:1
	;;#ASMEND
	;;#ASMSTART
	v_max_f32 v11, v10, v10 row_mirror row_mask:0xf bank_mask:0xf bound_ctrl:1
	;;#ASMEND
	;;#ASMSTART
	v_max_f32 v10, v11, v11 row_ror:4 row_mask:0xf bank_mask:0xf bound_ctrl:1
	;;#ASMEND
	;;#ASMSTART
	v_max_f32 v11, v10, v10 row_ror:8 row_mask:0xf bank_mask:0xf bound_ctrl:1
	;;#ASMEND
	;;#ASMSTART
	v_max_f32 v10, v11, v11 row_bcast:15 row_mask:0xf bank_mask:0xf bound_ctrl:1
	;;#ASMEND
	;;#ASMSTART
	v_max_f32 v11, v10, v10 row_bcast:31 row_mask:0xf bank_mask:0xf bound_ctrl:1
	;;#ASMEND
	ds_bpermute_b32 v10, v5, v11
	s_waitcnt lgkmcnt(0)
	v_cmp_eq_f32_e32 vcc, v9, v10
	s_ff1_i32_b64 s18, vcc
	s_cmp_lg_u64 vcc, 0
	s_cselect_b32 s18, s18, 0
	s_and_b64 vcc, exec, s[8:9]
	v_readlane_b32 s18, v8, s18
	s_cbranch_vccz .LBB149_12
; %bb.18:                               ;   in Loop: Header=BB149_13 Depth=1
	s_ashr_i32 s19, s18, 31
	s_lshl_b64 s[20:21], s[18:19], 1
	s_add_u32 s20, s10, s20
	s_addc_u32 s21, s11, s21
	global_load_ushort v8, v6, s[20:21]
	s_waitcnt vmcnt(0)
	v_cvt_f32_f16_e32 v8, v8
	v_sub_f32_e32 v10, v10, v8
	s_branch .LBB149_12
.LBB149_19:
	v_mov_b32_e32 v2, 0
	v_mov_b32_e32 v4, 0
.LBB149_20:
	v_cmp_gt_i32_e32 vcc, s17, v0
	s_and_saveexec_b64 s[0:1], vcc
	s_cbranch_execz .LBB149_23
; %bb.21:
	s_load_dword s2, s[4:5], 0x34
	v_max_f32_e32 v1, v4, v4
	v_max_f32_e32 v1, 0x1e3ce508, v1
	s_load_dword s3, s[4:5], 0x44
	s_waitcnt lgkmcnt(0)
	v_div_scale_f32 v4, s[0:1], v1, v1, s2
	s_load_dwordx2 s[0:1], s[4:5], 0x20
	v_rcp_f32_e32 v5, v4
	v_div_scale_f32 v6, vcc, s2, v1, s2
	s_and_b32 s3, s3, 0xffff
	v_fma_f32 v7, -v4, v5, 1.0
	v_fmac_f32_e32 v5, v7, v5
	v_mul_f32_e32 v7, v6, v5
	v_fma_f32 v8, -v4, v7, v6
	v_fmac_f32_e32 v7, v8, v5
	v_fma_f32 v4, -v4, v7, v6
	v_div_fmas_f32 v4, v4, v5, v7
	v_div_fixup_f32 v1, v4, v1, s2
	s_ashr_i32 s2, s6, 31
	s_waitcnt lgkmcnt(0)
	s_mul_i32 s1, s6, s1
	s_mul_hi_u32 s4, s6, s0
	s_add_i32 s1, s4, s1
	s_mul_i32 s2, s2, s0
	s_add_i32 s4, s1, s2
	v_mul_f32_e32 v1, v3, v1
	s_mul_i32 s2, s6, s0
	s_mov_b64 s[0:1], 0
	v_mov_b32_e32 v3, s4
	v_mov_b32_e32 v4, s13
	;; [unrolled: 1-line block ×3, first 2 shown]
.LBB149_22:                             ; =>This Inner Loop Header: Depth=1
	v_ashrrev_i32_e32 v7, 31, v0
	v_add_co_u32_e32 v6, vcc, s2, v0
	v_addc_co_u32_e32 v7, vcc, v3, v7, vcc
	v_add_u32_e32 v0, s3, v0
	v_cmp_le_i32_e32 vcc, s17, v0
	v_lshlrev_b64 v[6:7], 2, v[6:7]
	s_or_b64 s[0:1], vcc, s[0:1]
	v_add_co_u32_e32 v8, vcc, s12, v6
	v_addc_co_u32_e32 v9, vcc, v4, v7, vcc
	v_add_co_u32_e32 v6, vcc, s14, v6
	v_addc_co_u32_e32 v7, vcc, v5, v7, vcc
	global_store_dword v[8:9], v1, off
	global_store_dword v[6:7], v2, off
	s_andn2_b64 exec, exec, s[0:1]
	s_cbranch_execnz .LBB149_22
.LBB149_23:
	s_endpgm
	.section	.rodata,"a",@progbits
	.p2align	6, 0x0
	.amdhsa_kernel _ZN5aiter20topk_softplus_kernelI6__halfS1_Dv1_fLb1ELi1EEEvPKT_PKT0_PfPimiiif
		.amdhsa_group_segment_fixed_size 0
		.amdhsa_private_segment_fixed_size 0
		.amdhsa_kernarg_size 312
		.amdhsa_user_sgpr_count 6
		.amdhsa_user_sgpr_private_segment_buffer 1
		.amdhsa_user_sgpr_dispatch_ptr 0
		.amdhsa_user_sgpr_queue_ptr 0
		.amdhsa_user_sgpr_kernarg_segment_ptr 1
		.amdhsa_user_sgpr_dispatch_id 0
		.amdhsa_user_sgpr_flat_scratch_init 0
		.amdhsa_user_sgpr_kernarg_preload_length 0
		.amdhsa_user_sgpr_kernarg_preload_offset 0
		.amdhsa_user_sgpr_private_segment_size 0
		.amdhsa_uses_dynamic_stack 0
		.amdhsa_system_sgpr_private_segment_wavefront_offset 0
		.amdhsa_system_sgpr_workgroup_id_x 1
		.amdhsa_system_sgpr_workgroup_id_y 0
		.amdhsa_system_sgpr_workgroup_id_z 0
		.amdhsa_system_sgpr_workgroup_info 0
		.amdhsa_system_vgpr_workitem_id 0
		.amdhsa_next_free_vgpr 13
		.amdhsa_next_free_sgpr 25
		.amdhsa_accum_offset 16
		.amdhsa_reserve_vcc 1
		.amdhsa_reserve_flat_scratch 0
		.amdhsa_float_round_mode_32 0
		.amdhsa_float_round_mode_16_64 0
		.amdhsa_float_denorm_mode_32 3
		.amdhsa_float_denorm_mode_16_64 3
		.amdhsa_dx10_clamp 1
		.amdhsa_ieee_mode 1
		.amdhsa_fp16_overflow 0
		.amdhsa_tg_split 0
		.amdhsa_exception_fp_ieee_invalid_op 0
		.amdhsa_exception_fp_denorm_src 0
		.amdhsa_exception_fp_ieee_div_zero 0
		.amdhsa_exception_fp_ieee_overflow 0
		.amdhsa_exception_fp_ieee_underflow 0
		.amdhsa_exception_fp_ieee_inexact 0
		.amdhsa_exception_int_div_zero 0
	.end_amdhsa_kernel
	.section	.text._ZN5aiter20topk_softplus_kernelI6__halfS1_Dv1_fLb1ELi1EEEvPKT_PKT0_PfPimiiif,"axG",@progbits,_ZN5aiter20topk_softplus_kernelI6__halfS1_Dv1_fLb1ELi1EEEvPKT_PKT0_PfPimiiif,comdat
.Lfunc_end149:
	.size	_ZN5aiter20topk_softplus_kernelI6__halfS1_Dv1_fLb1ELi1EEEvPKT_PKT0_PfPimiiif, .Lfunc_end149-_ZN5aiter20topk_softplus_kernelI6__halfS1_Dv1_fLb1ELi1EEEvPKT_PKT0_PfPimiiif
                                        ; -- End function
	.section	.AMDGPU.csdata,"",@progbits
; Kernel info:
; codeLenInByte = 1300
; NumSgprs: 29
; NumVgprs: 13
; NumAgprs: 0
; TotalNumVgprs: 13
; ScratchSize: 0
; MemoryBound: 0
; FloatMode: 240
; IeeeMode: 1
; LDSByteSize: 0 bytes/workgroup (compile time only)
; SGPRBlocks: 3
; VGPRBlocks: 1
; NumSGPRsForWavesPerEU: 29
; NumVGPRsForWavesPerEU: 13
; AccumOffset: 16
; Occupancy: 8
; WaveLimiterHint : 0
; COMPUTE_PGM_RSRC2:SCRATCH_EN: 0
; COMPUTE_PGM_RSRC2:USER_SGPR: 6
; COMPUTE_PGM_RSRC2:TRAP_HANDLER: 0
; COMPUTE_PGM_RSRC2:TGID_X_EN: 1
; COMPUTE_PGM_RSRC2:TGID_Y_EN: 0
; COMPUTE_PGM_RSRC2:TGID_Z_EN: 0
; COMPUTE_PGM_RSRC2:TIDIG_COMP_CNT: 0
; COMPUTE_PGM_RSRC3_GFX90A:ACCUM_OFFSET: 3
; COMPUTE_PGM_RSRC3_GFX90A:TG_SPLIT: 0
	.section	.text._ZN5aiter20topk_softplus_kernelI6__halfS1_Dv1_fLb0ELi1EEEvPKT_PKT0_PfPimiiif,"axG",@progbits,_ZN5aiter20topk_softplus_kernelI6__halfS1_Dv1_fLb0ELi1EEEvPKT_PKT0_PfPimiiif,comdat
	.protected	_ZN5aiter20topk_softplus_kernelI6__halfS1_Dv1_fLb0ELi1EEEvPKT_PKT0_PfPimiiif ; -- Begin function _ZN5aiter20topk_softplus_kernelI6__halfS1_Dv1_fLb0ELi1EEEvPKT_PKT0_PfPimiiif
	.globl	_ZN5aiter20topk_softplus_kernelI6__halfS1_Dv1_fLb0ELi1EEEvPKT_PKT0_PfPimiiif
	.p2align	8
	.type	_ZN5aiter20topk_softplus_kernelI6__halfS1_Dv1_fLb0ELi1EEEvPKT_PKT0_PfPimiiif,@function
_ZN5aiter20topk_softplus_kernelI6__halfS1_Dv1_fLb0ELi1EEEvPKT_PKT0_PfPimiiif: ; @_ZN5aiter20topk_softplus_kernelI6__halfS1_Dv1_fLb0ELi1EEEvPKT_PKT0_PfPimiiif
; %bb.0:
	s_load_dwordx2 s[16:17], s[4:5], 0x28
	s_load_dwordx8 s[8:15], s[4:5], 0x0
	v_lshl_add_u32 v1, v0, 2, 0
	s_waitcnt lgkmcnt(0)
	s_mul_i32 s2, s6, s16
	s_ashr_i32 s3, s2, 31
	s_lshl_b64 s[2:3], s[2:3], 1
	s_add_u32 s7, s8, s2
	v_cmp_gt_i32_e64 s[0:1], s16, v0
	s_addc_u32 s20, s9, s3
	s_and_saveexec_b64 s[8:9], s[0:1]
	s_cbranch_execz .LBB150_5
; %bb.1:
	s_load_dword s21, s[4:5], 0x44
	s_cmp_lg_u64 s[10:11], 0
	s_cselect_b64 s[2:3], -1, 0
	v_cndmask_b32_e64 v2, 0, 1, s[2:3]
	s_mov_b64 s[18:19], 0
	s_waitcnt lgkmcnt(0)
	s_and_b32 s21, s21, 0xffff
	v_lshl_add_u32 v6, v0, 2, 0
	s_lshl_b32 s22, s21, 2
	v_mov_b32_e32 v7, s20
	s_mov_b32 s23, 0xbfb8aa3b
	s_mov_b32 s24, 0xc2fc0000
	v_mov_b32_e32 v8, 0x42800000
	v_mov_b32_e32 v9, 0x1f800000
	v_cmp_ne_u32_e64 s[2:3], 1, v2
	v_mov_b32_e32 v2, v0
	s_branch .LBB150_3
.LBB150_2:                              ;   in Loop: Header=BB150_3 Depth=1
	v_add_u32_e32 v2, s21, v2
	v_cmp_le_i32_e32 vcc, s16, v2
	ds_write_b32 v6, v3
	s_or_b64 s[18:19], vcc, s[18:19]
	v_add_u32_e32 v6, s22, v6
	s_andn2_b64 exec, exec, s[18:19]
	s_cbranch_execz .LBB150_5
.LBB150_3:                              ; =>This Inner Loop Header: Depth=1
	v_ashrrev_i32_e32 v3, 31, v2
	v_lshlrev_b64 v[4:5], 1, v[2:3]
	v_add_co_u32_e32 v10, vcc, s7, v4
	v_addc_co_u32_e32 v11, vcc, v7, v5, vcc
	global_load_ushort v3, v[10:11], off
	s_waitcnt vmcnt(0)
	v_cvt_f32_f16_e32 v10, v3
	v_mul_f32_e32 v10, 0xbfb8aa3b, v10
	v_cmp_gt_f32_e32 vcc, s24, v10
	v_cndmask_b32_e32 v10, 0, v8, vcc
	v_fma_mix_f32 v3, v3, s23, v10 op_sel_hi:[1,0,0]
	v_exp_f32_e32 v3, v3
	v_cndmask_b32_e32 v10, 1.0, v9, vcc
	s_and_b64 vcc, exec, s[2:3]
	v_fma_f32 v3, v3, v10, 1.0
	v_rcp_f32_e32 v3, v3
	s_cbranch_vccnz .LBB150_2
; %bb.4:                                ;   in Loop: Header=BB150_3 Depth=1
	v_mov_b32_e32 v10, s11
	v_add_co_u32_e32 v4, vcc, s10, v4
	v_addc_co_u32_e32 v5, vcc, v10, v5, vcc
	global_load_ushort v4, v[4:5], off
	s_waitcnt vmcnt(0)
	v_cvt_f32_f16_e32 v4, v4
	v_add_f32_e32 v3, v3, v4
	s_branch .LBB150_2
.LBB150_5:
	s_or_b64 exec, exec, s[8:9]
	v_add_u32_e32 v2, s16, v0
	v_cmp_gt_i32_e32 vcc, s16, v2
	s_and_saveexec_b64 s[8:9], vcc
	s_cbranch_execz .LBB150_10
; %bb.6:
	s_load_dword s21, s[4:5], 0x44
	s_cmp_lg_u64 s[10:11], 0
	s_cselect_b64 s[2:3], -1, 0
	v_cndmask_b32_e64 v3, 0, 1, s[2:3]
	s_mov_b64 s[18:19], 0
	s_waitcnt lgkmcnt(0)
	s_and_b32 s21, s21, 0xffff
	v_lshl_add_u32 v6, v2, 2, 0
	s_lshl_b32 s22, s21, 2
	v_mov_b32_e32 v7, s20
	s_mov_b32 s20, 0xbfb8aa3b
	s_mov_b32 s23, 0xc2fc0000
	v_mov_b32_e32 v8, 0x42800000
	v_mov_b32_e32 v9, 0x1f800000
	v_cmp_ne_u32_e64 s[2:3], 1, v3
	s_branch .LBB150_8
.LBB150_7:                              ;   in Loop: Header=BB150_8 Depth=1
	v_add_u32_e32 v2, s21, v2
	v_cmp_le_i32_e32 vcc, s16, v2
	s_or_b64 s[18:19], vcc, s[18:19]
	v_add_u32_e32 v6, s22, v6
	s_andn2_b64 exec, exec, s[18:19]
	s_cbranch_execz .LBB150_10
.LBB150_8:                              ; =>This Inner Loop Header: Depth=1
	v_ashrrev_i32_e32 v3, 31, v2
	v_lshlrev_b64 v[4:5], 1, v[2:3]
	v_add_co_u32_e32 v10, vcc, s7, v4
	v_addc_co_u32_e32 v11, vcc, v7, v5, vcc
	global_load_ushort v3, v[10:11], off
	s_waitcnt vmcnt(0)
	v_cvt_f32_f16_e32 v10, v3
	v_mul_f32_e32 v10, 0xbfb8aa3b, v10
	v_cmp_gt_f32_e32 vcc, s23, v10
	v_cndmask_b32_e32 v10, 0, v8, vcc
	v_fma_mix_f32 v3, v3, s20, v10 op_sel_hi:[1,0,0]
	v_exp_f32_e32 v3, v3
	v_cndmask_b32_e32 v10, 1.0, v9, vcc
	s_and_b64 vcc, exec, s[2:3]
	v_fma_f32 v3, v3, v10, 1.0
	v_rcp_f32_e32 v3, v3
	ds_write_b32 v6, v3
	s_cbranch_vccnz .LBB150_7
; %bb.9:                                ;   in Loop: Header=BB150_8 Depth=1
	v_mov_b32_e32 v10, s11
	v_add_co_u32_e32 v4, vcc, s10, v4
	v_addc_co_u32_e32 v5, vcc, v10, v5, vcc
	global_load_ushort v4, v[4:5], off
	s_waitcnt vmcnt(0)
	v_cvt_f32_f16_e32 v4, v4
	v_add_f32_e32 v3, v3, v4
	ds_write_b32 v6, v3
	s_branch .LBB150_7
.LBB150_10:
	s_or_b64 exec, exec, s[8:9]
	s_cmp_lt_i32 s17, 1
	s_waitcnt lgkmcnt(0)
	s_barrier
	s_cbranch_scc1 .LBB150_19
; %bb.11:
	s_add_u32 s2, s4, 56
	s_addc_u32 s3, s5, 0
	v_mbcnt_lo_u32_b32 v3, -1, 0
	s_cmp_lg_u64 s[10:11], 0
	v_mbcnt_hi_u32_b32 v3, -1, v3
	v_bfrev_b32_e32 v5, 0.5
	s_cselect_b64 s[8:9], -1, 0
	s_mov_b32 s7, 0
	v_mov_b32_e32 v2, 0
	v_mov_b32_e32 v4, 0
	v_lshl_or_b32 v5, v3, 2, v5
	v_mov_b32_e32 v6, 0xff800000
	v_mov_b32_e32 v3, 0
	s_branch .LBB150_13
.LBB150_12:                             ;   in Loop: Header=BB150_13 Depth=1
	s_lshl_b32 s19, s18, 2
	s_add_i32 s19, s19, 0
	v_mov_b32_e32 v7, s19
	ds_write_b32 v7, v6
	v_mov_b32_e32 v7, s18
	v_cmp_eq_u32_e32 vcc, s7, v0
	s_add_i32 s7, s7, 1
	v_cndmask_b32_e32 v2, v2, v7, vcc
	s_cmp_eq_u32 s7, s17
	v_cndmask_b32_e32 v3, v3, v9, vcc
	s_cbranch_scc1 .LBB150_20
.LBB150_13:                             ; =>This Loop Header: Depth=1
                                        ;     Child Loop BB150_15 Depth 2
	v_mov_b32_e32 v7, s7
	v_mov_b32_e32 v8, 0xff800000
	s_and_saveexec_b64 s[18:19], s[0:1]
	s_cbranch_execz .LBB150_17
; %bb.14:                               ;   in Loop: Header=BB150_13 Depth=1
	s_load_dword s22, s[2:3], 0xc
	s_mov_b64 s[20:21], 0
	v_mov_b32_e32 v7, s7
	v_mov_b32_e32 v8, 0xff800000
	;; [unrolled: 1-line block ×3, first 2 shown]
	s_waitcnt lgkmcnt(0)
	s_and_b32 s22, s22, 0xffff
	s_lshl_b32 s23, s22, 2
	v_mov_b32_e32 v10, v0
.LBB150_15:                             ;   Parent Loop BB150_13 Depth=1
                                        ; =>  This Inner Loop Header: Depth=2
	ds_read_b32 v11, v9
	v_add_u32_e32 v9, s23, v9
	s_waitcnt lgkmcnt(0)
	v_cmp_gt_f32_e32 vcc, v11, v8
	v_cndmask_b32_e32 v7, v7, v10, vcc
	v_add_u32_e32 v10, s22, v10
	v_cndmask_b32_e32 v8, v8, v11, vcc
	v_cmp_le_i32_e32 vcc, s16, v10
	s_or_b64 s[20:21], vcc, s[20:21]
	s_andn2_b64 exec, exec, s[20:21]
	s_cbranch_execnz .LBB150_15
; %bb.16:                               ;   in Loop: Header=BB150_13 Depth=1
	s_or_b64 exec, exec, s[20:21]
.LBB150_17:                             ;   in Loop: Header=BB150_13 Depth=1
	s_or_b64 exec, exec, s[18:19]
	;;#ASMSTART
	v_max_f32 v9, v8, v8 quad_perm:[1,0,3,2] row_mask:0xf bank_mask:0xf bound_ctrl:1
	;;#ASMEND
	;;#ASMSTART
	v_max_f32 v10, v9, v9 quad_perm:[2,3,0,1] row_mask:0xf bank_mask:0xf bound_ctrl:1
	;;#ASMEND
	;;#ASMSTART
	v_max_f32 v9, v10, v10 row_half_mirror row_mask:0xf bank_mask:0xf bound_ctrl:1
	;;#ASMEND
	;;#ASMSTART
	v_max_f32 v10, v9, v9 row_mirror row_mask:0xf bank_mask:0xf bound_ctrl:1
	;;#ASMEND
	;;#ASMSTART
	v_max_f32 v9, v10, v10 row_ror:4 row_mask:0xf bank_mask:0xf bound_ctrl:1
	;;#ASMEND
	;;#ASMSTART
	v_max_f32 v10, v9, v9 row_ror:8 row_mask:0xf bank_mask:0xf bound_ctrl:1
	;;#ASMEND
	;;#ASMSTART
	v_max_f32 v9, v10, v10 row_bcast:15 row_mask:0xf bank_mask:0xf bound_ctrl:1
	;;#ASMEND
	;;#ASMSTART
	v_max_f32 v10, v9, v9 row_bcast:31 row_mask:0xf bank_mask:0xf bound_ctrl:1
	;;#ASMEND
	ds_bpermute_b32 v9, v5, v10
	s_waitcnt lgkmcnt(0)
	v_cmp_eq_f32_e32 vcc, v8, v9
	s_ff1_i32_b64 s18, vcc
	s_cmp_lg_u64 vcc, 0
	s_cselect_b32 s18, s18, 0
	s_and_b64 vcc, exec, s[8:9]
	v_readlane_b32 s18, v7, s18
	s_cbranch_vccz .LBB150_12
; %bb.18:                               ;   in Loop: Header=BB150_13 Depth=1
	s_ashr_i32 s19, s18, 31
	s_lshl_b64 s[20:21], s[18:19], 1
	s_add_u32 s20, s10, s20
	s_addc_u32 s21, s11, s21
	global_load_ushort v7, v4, s[20:21]
	s_waitcnt vmcnt(0)
	v_cvt_f32_f16_e32 v7, v7
	v_sub_f32_e32 v9, v9, v7
	s_branch .LBB150_12
.LBB150_19:
	v_mov_b32_e32 v3, 0
	v_mov_b32_e32 v2, 0
.LBB150_20:
	v_cmp_gt_i32_e32 vcc, s17, v0
	s_and_saveexec_b64 s[0:1], vcc
	s_cbranch_execz .LBB150_23
; %bb.21:
	s_load_dword s2, s[4:5], 0x34
	s_load_dwordx2 s[0:1], s[4:5], 0x20
	s_ashr_i32 s3, s6, 31
	s_load_dword s4, s[4:5], 0x44
	v_mov_b32_e32 v4, s13
	s_waitcnt lgkmcnt(0)
	v_mul_f32_e32 v1, s2, v3
	s_mul_i32 s1, s6, s1
	s_mul_hi_u32 s2, s6, s0
	s_add_i32 s1, s2, s1
	s_mul_i32 s3, s3, s0
	s_add_i32 s5, s1, s3
	s_mul_i32 s2, s6, s0
	s_and_b32 s3, s4, 0xffff
	s_mov_b64 s[0:1], 0
	v_mov_b32_e32 v3, s5
	v_mov_b32_e32 v5, s15
.LBB150_22:                             ; =>This Inner Loop Header: Depth=1
	v_ashrrev_i32_e32 v7, 31, v0
	v_add_co_u32_e32 v6, vcc, s2, v0
	v_addc_co_u32_e32 v7, vcc, v3, v7, vcc
	v_add_u32_e32 v0, s3, v0
	v_cmp_le_i32_e32 vcc, s17, v0
	v_lshlrev_b64 v[6:7], 2, v[6:7]
	s_or_b64 s[0:1], vcc, s[0:1]
	v_add_co_u32_e32 v8, vcc, s12, v6
	v_addc_co_u32_e32 v9, vcc, v4, v7, vcc
	v_add_co_u32_e32 v6, vcc, s14, v6
	v_addc_co_u32_e32 v7, vcc, v5, v7, vcc
	global_store_dword v[8:9], v1, off
	global_store_dword v[6:7], v2, off
	s_andn2_b64 exec, exec, s[0:1]
	s_cbranch_execnz .LBB150_22
.LBB150_23:
	s_endpgm
	.section	.rodata,"a",@progbits
	.p2align	6, 0x0
	.amdhsa_kernel _ZN5aiter20topk_softplus_kernelI6__halfS1_Dv1_fLb0ELi1EEEvPKT_PKT0_PfPimiiif
		.amdhsa_group_segment_fixed_size 0
		.amdhsa_private_segment_fixed_size 0
		.amdhsa_kernarg_size 312
		.amdhsa_user_sgpr_count 6
		.amdhsa_user_sgpr_private_segment_buffer 1
		.amdhsa_user_sgpr_dispatch_ptr 0
		.amdhsa_user_sgpr_queue_ptr 0
		.amdhsa_user_sgpr_kernarg_segment_ptr 1
		.amdhsa_user_sgpr_dispatch_id 0
		.amdhsa_user_sgpr_flat_scratch_init 0
		.amdhsa_user_sgpr_kernarg_preload_length 0
		.amdhsa_user_sgpr_kernarg_preload_offset 0
		.amdhsa_user_sgpr_private_segment_size 0
		.amdhsa_uses_dynamic_stack 0
		.amdhsa_system_sgpr_private_segment_wavefront_offset 0
		.amdhsa_system_sgpr_workgroup_id_x 1
		.amdhsa_system_sgpr_workgroup_id_y 0
		.amdhsa_system_sgpr_workgroup_id_z 0
		.amdhsa_system_sgpr_workgroup_info 0
		.amdhsa_system_vgpr_workitem_id 0
		.amdhsa_next_free_vgpr 12
		.amdhsa_next_free_sgpr 25
		.amdhsa_accum_offset 12
		.amdhsa_reserve_vcc 1
		.amdhsa_reserve_flat_scratch 0
		.amdhsa_float_round_mode_32 0
		.amdhsa_float_round_mode_16_64 0
		.amdhsa_float_denorm_mode_32 3
		.amdhsa_float_denorm_mode_16_64 3
		.amdhsa_dx10_clamp 1
		.amdhsa_ieee_mode 1
		.amdhsa_fp16_overflow 0
		.amdhsa_tg_split 0
		.amdhsa_exception_fp_ieee_invalid_op 0
		.amdhsa_exception_fp_denorm_src 0
		.amdhsa_exception_fp_ieee_div_zero 0
		.amdhsa_exception_fp_ieee_overflow 0
		.amdhsa_exception_fp_ieee_underflow 0
		.amdhsa_exception_fp_ieee_inexact 0
		.amdhsa_exception_int_div_zero 0
	.end_amdhsa_kernel
	.section	.text._ZN5aiter20topk_softplus_kernelI6__halfS1_Dv1_fLb0ELi1EEEvPKT_PKT0_PfPimiiif,"axG",@progbits,_ZN5aiter20topk_softplus_kernelI6__halfS1_Dv1_fLb0ELi1EEEvPKT_PKT0_PfPimiiif,comdat
.Lfunc_end150:
	.size	_ZN5aiter20topk_softplus_kernelI6__halfS1_Dv1_fLb0ELi1EEEvPKT_PKT0_PfPimiiif, .Lfunc_end150-_ZN5aiter20topk_softplus_kernelI6__halfS1_Dv1_fLb0ELi1EEEvPKT_PKT0_PfPimiiif
                                        ; -- End function
	.section	.AMDGPU.csdata,"",@progbits
; Kernel info:
; codeLenInByte = 1200
; NumSgprs: 29
; NumVgprs: 12
; NumAgprs: 0
; TotalNumVgprs: 12
; ScratchSize: 0
; MemoryBound: 0
; FloatMode: 240
; IeeeMode: 1
; LDSByteSize: 0 bytes/workgroup (compile time only)
; SGPRBlocks: 3
; VGPRBlocks: 1
; NumSGPRsForWavesPerEU: 29
; NumVGPRsForWavesPerEU: 12
; AccumOffset: 12
; Occupancy: 8
; WaveLimiterHint : 0
; COMPUTE_PGM_RSRC2:SCRATCH_EN: 0
; COMPUTE_PGM_RSRC2:USER_SGPR: 6
; COMPUTE_PGM_RSRC2:TRAP_HANDLER: 0
; COMPUTE_PGM_RSRC2:TGID_X_EN: 1
; COMPUTE_PGM_RSRC2:TGID_Y_EN: 0
; COMPUTE_PGM_RSRC2:TGID_Z_EN: 0
; COMPUTE_PGM_RSRC2:TIDIG_COMP_CNT: 0
; COMPUTE_PGM_RSRC3_GFX90A:ACCUM_OFFSET: 2
; COMPUTE_PGM_RSRC3_GFX90A:TG_SPLIT: 0
	.section	.text._ZN5aiter20topk_softplus_kernelI6__halfS1_Dv4_fLb1ELi2EEEvPKT_PKT0_PfPimiiif,"axG",@progbits,_ZN5aiter20topk_softplus_kernelI6__halfS1_Dv4_fLb1ELi2EEEvPKT_PKT0_PfPimiiif,comdat
	.protected	_ZN5aiter20topk_softplus_kernelI6__halfS1_Dv4_fLb1ELi2EEEvPKT_PKT0_PfPimiiif ; -- Begin function _ZN5aiter20topk_softplus_kernelI6__halfS1_Dv4_fLb1ELi2EEEvPKT_PKT0_PfPimiiif
	.globl	_ZN5aiter20topk_softplus_kernelI6__halfS1_Dv4_fLb1ELi2EEEvPKT_PKT0_PfPimiiif
	.p2align	8
	.type	_ZN5aiter20topk_softplus_kernelI6__halfS1_Dv4_fLb1ELi2EEEvPKT_PKT0_PfPimiiif,@function
_ZN5aiter20topk_softplus_kernelI6__halfS1_Dv4_fLb1ELi2EEEvPKT_PKT0_PfPimiiif: ; @_ZN5aiter20topk_softplus_kernelI6__halfS1_Dv4_fLb1ELi2EEEvPKT_PKT0_PfPimiiif
; %bb.0:
	s_load_dwordx2 s[16:17], s[4:5], 0x28
	s_load_dwordx8 s[8:15], s[4:5], 0x0
	v_lshl_add_u32 v1, v0, 4, 0
	s_waitcnt lgkmcnt(0)
	s_ashr_i32 s0, s16, 31
	s_lshr_b32 s0, s0, 30
	s_add_i32 s0, s16, s0
	s_mul_i32 s2, s6, s16
	s_ashr_i32 s7, s0, 2
	s_ashr_i32 s3, s2, 31
	v_cmp_gt_i32_e64 s[0:1], s7, v0
	s_and_saveexec_b64 s[18:19], s[0:1]
	s_cbranch_execz .LBB151_3
; %bb.1:
	s_load_dword s22, s[4:5], 0x44
	s_lshl_b64 s[20:21], s[2:3], 1
	v_lshlrev_b32_e32 v2, 3, v0
	s_mov_b32 s25, 0
	v_lshl_add_u32 v4, v0, 4, 0
	s_waitcnt lgkmcnt(0)
	s_and_b32 s22, s22, 0xffff
	s_add_u32 s20, s8, s20
	s_addc_u32 s21, s9, s21
	v_mov_b32_e32 v3, s21
	v_add_co_u32_e32 v2, vcc, s20, v2
	v_addc_co_u32_e32 v3, vcc, 0, v3, vcc
	s_lshl_b32 s23, s22, 3
	s_lshl_b32 s24, s22, 4
	s_mov_b64 s[20:21], 0
	v_mov_b32_e32 v5, s25
	v_mov_b32_e32 v6, v0
.LBB151_2:                              ; =>This Inner Loop Header: Depth=1
	global_load_dwordx2 v[12:13], v[2:3], off
	v_add_co_u32_e32 v2, vcc, s23, v2
	v_add_u32_e32 v6, s22, v6
	v_addc_co_u32_e32 v3, vcc, v3, v5, vcc
	v_cmp_le_i32_e32 vcc, s7, v6
	s_or_b64 s[20:21], vcc, s[20:21]
	s_waitcnt vmcnt(0)
	v_cvt_f32_f16_sdwa v9, v12 dst_sel:DWORD dst_unused:UNUSED_PAD src0_sel:WORD_1
	v_cvt_f32_f16_e32 v8, v12
	v_cvt_f32_f16_sdwa v11, v13 dst_sel:DWORD dst_unused:UNUSED_PAD src0_sel:WORD_1
	v_cvt_f32_f16_e32 v10, v13
	ds_write_b128 v4, v[8:11]
	v_add_u32_e32 v4, s24, v4
	s_andn2_b64 exec, exec, s[20:21]
	s_cbranch_execnz .LBB151_2
.LBB151_3:
	s_or_b64 exec, exec, s[18:19]
	v_lshl_add_u32 v2, s7, 2, v0
	v_cmp_gt_i32_e32 vcc, s16, v2
	s_and_saveexec_b64 s[18:19], vcc
	s_cbranch_execz .LBB151_6
; %bb.4:
	s_load_dword s20, s[4:5], 0x44
	s_lshl_b64 s[2:3], s[2:3], 1
	s_add_u32 s8, s8, s2
	s_addc_u32 s21, s9, s3
	s_lshl_b32 s2, s7, 4
	s_waitcnt lgkmcnt(0)
	s_and_b32 s9, s20, 0xffff
	s_add_i32 s2, s2, 0
	v_lshl_add_u32 v4, v0, 2, s2
	s_lshl_b32 s20, s9, 2
	s_mov_b64 s[2:3], 0
	v_mov_b32_e32 v5, s21
.LBB151_5:                              ; =>This Inner Loop Header: Depth=1
	v_ashrrev_i32_e32 v3, 31, v2
	v_lshlrev_b64 v[6:7], 1, v[2:3]
	v_add_co_u32_e32 v6, vcc, s8, v6
	v_addc_co_u32_e32 v7, vcc, v5, v7, vcc
	global_load_ushort v3, v[6:7], off
	v_add_u32_e32 v2, s9, v2
	v_cmp_le_i32_e32 vcc, s16, v2
	s_or_b64 s[2:3], vcc, s[2:3]
	s_waitcnt vmcnt(0)
	v_cvt_f32_f16_e32 v3, v3
	ds_write_b32 v4, v3
	v_add_u32_e32 v4, s20, v4
	s_andn2_b64 exec, exec, s[2:3]
	s_cbranch_execnz .LBB151_5
.LBB151_6:
	s_or_b64 exec, exec, s[18:19]
	v_cmp_gt_i32_e32 vcc, s16, v0
	v_mov_b32_e32 v2, 0xff800000
	s_waitcnt lgkmcnt(0)
	s_barrier
	s_and_saveexec_b64 s[8:9], vcc
	s_cbranch_execz .LBB151_10
; %bb.7:
	s_load_dword s2, s[4:5], 0x44
	v_lshl_add_u32 v3, v0, 2, 0
	s_mov_b64 s[18:19], 0
	v_mov_b32_e32 v2, 0xff800000
	v_mov_b32_e32 v4, v0
	s_waitcnt lgkmcnt(0)
	s_and_b32 s20, s2, 0xffff
	s_lshl_b32 s21, s20, 2
.LBB151_8:                              ; =>This Inner Loop Header: Depth=1
	ds_read_b32 v5, v3
	v_add_u32_e32 v4, s20, v4
	v_max_f32_e32 v2, v2, v2
	v_cmp_le_i32_e64 s[2:3], s16, v4
	v_add_u32_e32 v3, s21, v3
	s_waitcnt lgkmcnt(0)
	v_max_f32_e32 v5, v5, v5
	s_or_b64 s[18:19], s[2:3], s[18:19]
	v_max_f32_e32 v2, v2, v5
	s_andn2_b64 exec, exec, s[18:19]
	s_cbranch_execnz .LBB151_8
; %bb.9:
	s_or_b64 exec, exec, s[18:19]
.LBB151_10:
	s_or_b64 exec, exec, s[8:9]
	;;#ASMSTART
	v_max_f32 v3, v2, v2 quad_perm:[1,0,3,2] row_mask:0xf bank_mask:0xf bound_ctrl:1
	;;#ASMEND
	;;#ASMSTART
	v_max_f32 v2, v3, v3 quad_perm:[2,3,0,1] row_mask:0xf bank_mask:0xf bound_ctrl:1
	;;#ASMEND
	;;#ASMSTART
	v_max_f32 v3, v2, v2 row_half_mirror row_mask:0xf bank_mask:0xf bound_ctrl:1
	;;#ASMEND
	;;#ASMSTART
	v_max_f32 v2, v3, v3 row_mirror row_mask:0xf bank_mask:0xf bound_ctrl:1
	;;#ASMEND
	;;#ASMSTART
	v_max_f32 v3, v2, v2 row_ror:4 row_mask:0xf bank_mask:0xf bound_ctrl:1
	;;#ASMEND
	;;#ASMSTART
	v_max_f32 v2, v3, v3 row_ror:8 row_mask:0xf bank_mask:0xf bound_ctrl:1
	;;#ASMEND
	;;#ASMSTART
	v_max_f32 v3, v2, v2 row_bcast:15 row_mask:0xf bank_mask:0xf bound_ctrl:1
	;;#ASMEND
	;;#ASMSTART
	v_max_f32 v2, v3, v3 row_bcast:31 row_mask:0xf bank_mask:0xf bound_ctrl:1
	;;#ASMEND
	v_mbcnt_lo_u32_b32 v3, -1, 0
	v_mbcnt_hi_u32_b32 v3, -1, v3
	v_bfrev_b32_e32 v4, 0.5
	v_lshl_or_b32 v4, v3, 2, v4
	ds_bpermute_b32 v3, v4, v2
	v_mov_b32_e32 v2, 0
	s_and_saveexec_b64 s[18:19], vcc
	s_cbranch_execz .LBB151_14
; %bb.11:
	s_load_dword s2, s[4:5], 0x44
	v_lshl_add_u32 v5, v0, 2, 0
	s_mov_b64 s[20:21], 0
	v_mov_b32_e32 v2, 0
	s_mov_b32 s22, 0xc2fc0000
	s_waitcnt lgkmcnt(0)
	s_and_b32 s23, s2, 0xffff
	s_lshl_b32 s24, s23, 2
	v_mov_b32_e32 v6, 0x42800000
	v_mov_b32_e32 v7, 0x1f800000
	;; [unrolled: 1-line block ×3, first 2 shown]
.LBB151_12:                             ; =>This Inner Loop Header: Depth=1
	ds_read_b32 v9, v5
	v_add_u32_e32 v8, s23, v8
	v_cmp_le_i32_e64 s[8:9], s16, v8
	s_or_b64 s[20:21], s[8:9], s[20:21]
	s_waitcnt lgkmcnt(0)
	v_sub_f32_e32 v9, v9, v3
	v_mul_f32_e32 v10, 0x3fb8aa3b, v9
	v_cmp_gt_f32_e64 s[2:3], s22, v10
	v_cndmask_b32_e64 v10, 0, v6, s[2:3]
	v_fmac_f32_e32 v10, 0x3fb8aa3b, v9
	v_exp_f32_e32 v9, v10
	v_cndmask_b32_e64 v10, 1.0, v7, s[2:3]
	v_mul_f32_e32 v11, v9, v10
	v_fmac_f32_e32 v2, v9, v10
	ds_write_b32 v5, v11
	v_add_u32_e32 v5, s24, v5
	s_andn2_b64 exec, exec, s[20:21]
	s_cbranch_execnz .LBB151_12
; %bb.13:
	s_or_b64 exec, exec, s[20:21]
.LBB151_14:
	s_or_b64 exec, exec, s[18:19]
	s_waitcnt lgkmcnt(0)
	v_mov_b32_dpp v3, v2 quad_perm:[1,0,3,2] row_mask:0xf bank_mask:0xf
	v_add_f32_e32 v2, v2, v3
	s_nop 1
	v_mov_b32_dpp v3, v2 quad_perm:[2,3,0,1] row_mask:0xf bank_mask:0xf
	v_add_f32_e32 v2, v2, v3
	s_nop 1
	v_mov_b32_dpp v3, v2 row_half_mirror row_mask:0xf bank_mask:0xf
	v_add_f32_e32 v2, v2, v3
	s_nop 1
	v_mov_b32_dpp v3, v2 row_mirror row_mask:0xf bank_mask:0xf
	v_add_f32_e32 v2, v2, v3
	s_nop 1
	v_mov_b32_dpp v3, v2 row_bcast:15 row_mask:0xf bank_mask:0xf
	v_add_f32_e32 v2, v2, v3
	s_nop 1
	v_mov_b32_dpp v3, v2 row_bcast:31 row_mask:0xf bank_mask:0xf
	v_add_f32_e32 v2, v2, v3
	ds_bpermute_b32 v2, v4, v2
	s_and_saveexec_b64 s[8:9], vcc
	s_cbranch_execz .LBB151_19
; %bb.15:
	s_load_dword s20, s[4:5], 0x44
	s_waitcnt lgkmcnt(0)
	v_rcp_f32_e32 v5, v2
	s_cmp_lg_u64 s[10:11], 0
	s_cselect_b64 s[2:3], -1, 0
	v_cndmask_b32_e64 v2, 0, 1, s[2:3]
	s_and_b32 s20, s20, 0xffff
	s_mov_b64 s[18:19], 0
	v_lshl_add_u32 v6, v0, 2, 0
	s_lshl_b32 s21, s20, 2
	v_cmp_ne_u32_e64 s[2:3], 1, v2
	v_mov_b32_e32 v2, v0
	s_branch .LBB151_17
.LBB151_16:                             ;   in Loop: Header=BB151_17 Depth=1
	v_add_u32_e32 v2, s20, v2
	v_cmp_le_i32_e32 vcc, s16, v2
	s_or_b64 s[18:19], vcc, s[18:19]
	v_add_u32_e32 v6, s21, v6
	s_andn2_b64 exec, exec, s[18:19]
	s_cbranch_execz .LBB151_19
.LBB151_17:                             ; =>This Inner Loop Header: Depth=1
	ds_read_b32 v3, v6
	s_and_b64 vcc, exec, s[2:3]
	s_waitcnt lgkmcnt(0)
	v_mul_f32_e32 v7, v5, v3
	ds_write_b32 v6, v7
	s_cbranch_vccnz .LBB151_16
; %bb.18:                               ;   in Loop: Header=BB151_17 Depth=1
	v_ashrrev_i32_e32 v3, 31, v2
	v_lshlrev_b64 v[8:9], 1, v[2:3]
	v_mov_b32_e32 v3, s11
	v_add_co_u32_e32 v8, vcc, s10, v8
	v_addc_co_u32_e32 v9, vcc, v3, v9, vcc
	global_load_ushort v3, v[8:9], off
	s_waitcnt vmcnt(0)
	v_cvt_f32_f16_e32 v3, v3
	v_add_f32_e32 v3, v7, v3
	ds_write_b32 v6, v3
	s_branch .LBB151_16
.LBB151_19:
	s_or_b64 exec, exec, s[8:9]
	s_cmp_lt_i32 s17, 1
	v_mov_b32_e32 v3, 0
	s_waitcnt lgkmcnt(0)
	s_barrier
	s_cbranch_scc1 .LBB151_28
; %bb.20:
	s_add_u32 s2, s4, 56
	s_addc_u32 s3, s5, 0
	s_cmp_lg_u64 s[10:11], 0
	s_cselect_b64 s[8:9], -1, 0
	v_lshlrev_b32_e32 v6, 2, v0
	s_mov_b32 s16, 0
	v_mov_b32_e32 v3, 0
	v_mov_b32_e32 v7, 0
	;; [unrolled: 1-line block ×5, first 2 shown]
	s_branch .LBB151_22
.LBB151_21:                             ;   in Loop: Header=BB151_22 Depth=1
	s_lshl_b32 s19, s18, 2
	s_add_i32 s19, s19, 0
	v_mov_b32_e32 v9, s19
	ds_write_b32 v9, v8
	v_mov_b32_e32 v9, s18
	v_cmp_eq_u32_e32 vcc, s16, v0
	s_add_i32 s16, s16, 1
	v_cndmask_b32_e32 v2, v2, v9, vcc
	v_cndmask_b32_e32 v3, v3, v11, vcc
	s_cmp_eq_u32 s16, s17
	v_add_f32_e32 v5, v5, v11
	s_cbranch_scc1 .LBB151_29
.LBB151_22:                             ; =>This Loop Header: Depth=1
                                        ;     Child Loop BB151_24 Depth 2
	v_mov_b32_e32 v9, s16
	v_mov_b32_e32 v10, 0xff800000
	s_and_saveexec_b64 s[18:19], s[0:1]
	s_cbranch_execz .LBB151_26
; %bb.23:                               ;   in Loop: Header=BB151_22 Depth=1
	s_load_dword s22, s[2:3], 0xc
	s_mov_b64 s[20:21], 0
	v_mov_b32_e32 v9, s16
	v_mov_b32_e32 v10, 0xff800000
	;; [unrolled: 1-line block ×3, first 2 shown]
	s_waitcnt lgkmcnt(0)
	s_and_b32 s22, s22, 0xffff
	s_lshl_b32 s23, s22, 2
	s_lshl_b32 s24, s22, 4
	v_mov_b32_e32 v12, v6
	v_mov_b32_e32 v13, v0
.LBB151_24:                             ;   Parent Loop BB151_22 Depth=1
                                        ; =>  This Inner Loop Header: Depth=2
	ds_read_b128 v[14:17], v11
	v_add_u32_e32 v13, s22, v13
	v_cmp_le_i32_e32 vcc, s7, v13
	s_or_b64 s[20:21], vcc, s[20:21]
	v_add_u32_e32 v18, 1, v12
	s_waitcnt lgkmcnt(0)
	v_cmp_gt_f32_e32 vcc, v14, v10
	v_cndmask_b32_e32 v10, v10, v14, vcc
	v_cndmask_b32_e32 v9, v9, v12, vcc
	v_cmp_gt_f32_e32 vcc, v15, v10
	v_cndmask_b32_e32 v10, v10, v15, vcc
	v_cndmask_b32_e32 v9, v9, v18, vcc
	v_cmp_gt_f32_e32 vcc, v16, v10
	v_add_u32_e32 v19, 2, v12
	v_cndmask_b32_e32 v10, v10, v16, vcc
	v_add_u32_e32 v20, 3, v12
	v_cndmask_b32_e32 v9, v9, v19, vcc
	v_cmp_gt_f32_e32 vcc, v17, v10
	v_add_u32_e32 v11, s24, v11
	v_add_u32_e32 v12, s23, v12
	v_cndmask_b32_e32 v10, v10, v17, vcc
	v_cndmask_b32_e32 v9, v9, v20, vcc
	s_andn2_b64 exec, exec, s[20:21]
	s_cbranch_execnz .LBB151_24
; %bb.25:                               ;   in Loop: Header=BB151_22 Depth=1
	s_or_b64 exec, exec, s[20:21]
.LBB151_26:                             ;   in Loop: Header=BB151_22 Depth=1
	s_or_b64 exec, exec, s[18:19]
	;;#ASMSTART
	v_max_f32 v11, v10, v10 quad_perm:[1,0,3,2] row_mask:0xf bank_mask:0xf bound_ctrl:1
	;;#ASMEND
	;;#ASMSTART
	v_max_f32 v12, v11, v11 quad_perm:[2,3,0,1] row_mask:0xf bank_mask:0xf bound_ctrl:1
	;;#ASMEND
	;;#ASMSTART
	v_max_f32 v11, v12, v12 row_half_mirror row_mask:0xf bank_mask:0xf bound_ctrl:1
	;;#ASMEND
	;;#ASMSTART
	v_max_f32 v12, v11, v11 row_mirror row_mask:0xf bank_mask:0xf bound_ctrl:1
	;;#ASMEND
	;;#ASMSTART
	v_max_f32 v11, v12, v12 row_ror:4 row_mask:0xf bank_mask:0xf bound_ctrl:1
	;;#ASMEND
	;;#ASMSTART
	v_max_f32 v12, v11, v11 row_ror:8 row_mask:0xf bank_mask:0xf bound_ctrl:1
	;;#ASMEND
	;;#ASMSTART
	v_max_f32 v11, v12, v12 row_bcast:15 row_mask:0xf bank_mask:0xf bound_ctrl:1
	;;#ASMEND
	;;#ASMSTART
	v_max_f32 v12, v11, v11 row_bcast:31 row_mask:0xf bank_mask:0xf bound_ctrl:1
	;;#ASMEND
	ds_bpermute_b32 v11, v4, v12
	s_waitcnt lgkmcnt(0)
	v_cmp_eq_f32_e32 vcc, v10, v11
	s_ff1_i32_b64 s18, vcc
	s_cmp_lg_u64 vcc, 0
	s_cselect_b32 s18, s18, 0
	s_and_b64 vcc, exec, s[8:9]
	v_readlane_b32 s18, v9, s18
	s_cbranch_vccz .LBB151_21
; %bb.27:                               ;   in Loop: Header=BB151_22 Depth=1
	s_ashr_i32 s19, s18, 31
	s_lshl_b64 s[20:21], s[18:19], 1
	s_add_u32 s20, s10, s20
	s_addc_u32 s21, s11, s21
	global_load_ushort v9, v7, s[20:21]
	s_waitcnt vmcnt(0)
	v_cvt_f32_f16_e32 v9, v9
	v_sub_f32_e32 v11, v11, v9
	s_branch .LBB151_21
.LBB151_28:
	v_mov_b32_e32 v2, 0
	v_mov_b32_e32 v5, 0
.LBB151_29:
	v_cmp_gt_i32_e32 vcc, s17, v0
	s_and_saveexec_b64 s[0:1], vcc
	s_cbranch_execz .LBB151_32
; %bb.30:
	s_load_dword s2, s[4:5], 0x34
	v_max_f32_e32 v1, v5, v5
	v_max_f32_e32 v1, 0x1e3ce508, v1
	s_load_dword s3, s[4:5], 0x44
	s_waitcnt lgkmcnt(0)
	v_div_scale_f32 v4, s[0:1], v1, v1, s2
	s_load_dwordx2 s[0:1], s[4:5], 0x20
	v_rcp_f32_e32 v5, v4
	v_div_scale_f32 v6, vcc, s2, v1, s2
	s_and_b32 s3, s3, 0xffff
	v_fma_f32 v7, -v4, v5, 1.0
	v_fmac_f32_e32 v5, v7, v5
	v_mul_f32_e32 v7, v6, v5
	v_fma_f32 v8, -v4, v7, v6
	v_fmac_f32_e32 v7, v8, v5
	v_fma_f32 v4, -v4, v7, v6
	v_div_fmas_f32 v4, v4, v5, v7
	v_div_fixup_f32 v1, v4, v1, s2
	s_ashr_i32 s2, s6, 31
	s_waitcnt lgkmcnt(0)
	s_mul_i32 s1, s6, s1
	s_mul_hi_u32 s4, s6, s0
	s_add_i32 s1, s4, s1
	s_mul_i32 s2, s2, s0
	s_add_i32 s4, s1, s2
	v_mul_f32_e32 v1, v3, v1
	s_mul_i32 s2, s6, s0
	s_mov_b64 s[0:1], 0
	v_mov_b32_e32 v3, s4
	v_mov_b32_e32 v4, s13
	;; [unrolled: 1-line block ×3, first 2 shown]
.LBB151_31:                             ; =>This Inner Loop Header: Depth=1
	v_ashrrev_i32_e32 v7, 31, v0
	v_add_co_u32_e32 v6, vcc, s2, v0
	v_addc_co_u32_e32 v7, vcc, v3, v7, vcc
	v_add_u32_e32 v0, s3, v0
	v_cmp_le_i32_e32 vcc, s17, v0
	v_lshlrev_b64 v[6:7], 2, v[6:7]
	s_or_b64 s[0:1], vcc, s[0:1]
	v_add_co_u32_e32 v8, vcc, s12, v6
	v_addc_co_u32_e32 v9, vcc, v4, v7, vcc
	v_add_co_u32_e32 v6, vcc, s14, v6
	v_addc_co_u32_e32 v7, vcc, v5, v7, vcc
	global_store_dword v[8:9], v1, off
	global_store_dword v[6:7], v2, off
	s_andn2_b64 exec, exec, s[0:1]
	s_cbranch_execnz .LBB151_31
.LBB151_32:
	s_endpgm
	.section	.rodata,"a",@progbits
	.p2align	6, 0x0
	.amdhsa_kernel _ZN5aiter20topk_softplus_kernelI6__halfS1_Dv4_fLb1ELi2EEEvPKT_PKT0_PfPimiiif
		.amdhsa_group_segment_fixed_size 0
		.amdhsa_private_segment_fixed_size 0
		.amdhsa_kernarg_size 312
		.amdhsa_user_sgpr_count 6
		.amdhsa_user_sgpr_private_segment_buffer 1
		.amdhsa_user_sgpr_dispatch_ptr 0
		.amdhsa_user_sgpr_queue_ptr 0
		.amdhsa_user_sgpr_kernarg_segment_ptr 1
		.amdhsa_user_sgpr_dispatch_id 0
		.amdhsa_user_sgpr_flat_scratch_init 0
		.amdhsa_user_sgpr_kernarg_preload_length 0
		.amdhsa_user_sgpr_kernarg_preload_offset 0
		.amdhsa_user_sgpr_private_segment_size 0
		.amdhsa_uses_dynamic_stack 0
		.amdhsa_system_sgpr_private_segment_wavefront_offset 0
		.amdhsa_system_sgpr_workgroup_id_x 1
		.amdhsa_system_sgpr_workgroup_id_y 0
		.amdhsa_system_sgpr_workgroup_id_z 0
		.amdhsa_system_sgpr_workgroup_info 0
		.amdhsa_system_vgpr_workitem_id 0
		.amdhsa_next_free_vgpr 21
		.amdhsa_next_free_sgpr 26
		.amdhsa_accum_offset 24
		.amdhsa_reserve_vcc 1
		.amdhsa_reserve_flat_scratch 0
		.amdhsa_float_round_mode_32 0
		.amdhsa_float_round_mode_16_64 0
		.amdhsa_float_denorm_mode_32 3
		.amdhsa_float_denorm_mode_16_64 3
		.amdhsa_dx10_clamp 1
		.amdhsa_ieee_mode 1
		.amdhsa_fp16_overflow 0
		.amdhsa_tg_split 0
		.amdhsa_exception_fp_ieee_invalid_op 0
		.amdhsa_exception_fp_denorm_src 0
		.amdhsa_exception_fp_ieee_div_zero 0
		.amdhsa_exception_fp_ieee_overflow 0
		.amdhsa_exception_fp_ieee_underflow 0
		.amdhsa_exception_fp_ieee_inexact 0
		.amdhsa_exception_int_div_zero 0
	.end_amdhsa_kernel
	.section	.text._ZN5aiter20topk_softplus_kernelI6__halfS1_Dv4_fLb1ELi2EEEvPKT_PKT0_PfPimiiif,"axG",@progbits,_ZN5aiter20topk_softplus_kernelI6__halfS1_Dv4_fLb1ELi2EEEvPKT_PKT0_PfPimiiif,comdat
.Lfunc_end151:
	.size	_ZN5aiter20topk_softplus_kernelI6__halfS1_Dv4_fLb1ELi2EEEvPKT_PKT0_PfPimiiif, .Lfunc_end151-_ZN5aiter20topk_softplus_kernelI6__halfS1_Dv4_fLb1ELi2EEEvPKT_PKT0_PfPimiiif
                                        ; -- End function
	.section	.AMDGPU.csdata,"",@progbits
; Kernel info:
; codeLenInByte = 1832
; NumSgprs: 30
; NumVgprs: 21
; NumAgprs: 0
; TotalNumVgprs: 21
; ScratchSize: 0
; MemoryBound: 0
; FloatMode: 240
; IeeeMode: 1
; LDSByteSize: 0 bytes/workgroup (compile time only)
; SGPRBlocks: 3
; VGPRBlocks: 2
; NumSGPRsForWavesPerEU: 30
; NumVGPRsForWavesPerEU: 21
; AccumOffset: 24
; Occupancy: 8
; WaveLimiterHint : 0
; COMPUTE_PGM_RSRC2:SCRATCH_EN: 0
; COMPUTE_PGM_RSRC2:USER_SGPR: 6
; COMPUTE_PGM_RSRC2:TRAP_HANDLER: 0
; COMPUTE_PGM_RSRC2:TGID_X_EN: 1
; COMPUTE_PGM_RSRC2:TGID_Y_EN: 0
; COMPUTE_PGM_RSRC2:TGID_Z_EN: 0
; COMPUTE_PGM_RSRC2:TIDIG_COMP_CNT: 0
; COMPUTE_PGM_RSRC3_GFX90A:ACCUM_OFFSET: 5
; COMPUTE_PGM_RSRC3_GFX90A:TG_SPLIT: 0
	.section	.text._ZN5aiter20topk_softplus_kernelI6__halfS1_Dv4_fLb0ELi2EEEvPKT_PKT0_PfPimiiif,"axG",@progbits,_ZN5aiter20topk_softplus_kernelI6__halfS1_Dv4_fLb0ELi2EEEvPKT_PKT0_PfPimiiif,comdat
	.protected	_ZN5aiter20topk_softplus_kernelI6__halfS1_Dv4_fLb0ELi2EEEvPKT_PKT0_PfPimiiif ; -- Begin function _ZN5aiter20topk_softplus_kernelI6__halfS1_Dv4_fLb0ELi2EEEvPKT_PKT0_PfPimiiif
	.globl	_ZN5aiter20topk_softplus_kernelI6__halfS1_Dv4_fLb0ELi2EEEvPKT_PKT0_PfPimiiif
	.p2align	8
	.type	_ZN5aiter20topk_softplus_kernelI6__halfS1_Dv4_fLb0ELi2EEEvPKT_PKT0_PfPimiiif,@function
_ZN5aiter20topk_softplus_kernelI6__halfS1_Dv4_fLb0ELi2EEEvPKT_PKT0_PfPimiiif: ; @_ZN5aiter20topk_softplus_kernelI6__halfS1_Dv4_fLb0ELi2EEEvPKT_PKT0_PfPimiiif
; %bb.0:
	s_load_dwordx2 s[16:17], s[4:5], 0x28
	s_load_dwordx8 s[8:15], s[4:5], 0x0
	v_lshl_add_u32 v1, v0, 4, 0
	s_waitcnt lgkmcnt(0)
	s_ashr_i32 s0, s16, 31
	s_lshr_b32 s0, s0, 30
	s_add_i32 s0, s16, s0
	s_mul_i32 s2, s6, s16
	s_ashr_i32 s7, s0, 2
	s_ashr_i32 s3, s2, 31
	v_cmp_gt_i32_e64 s[0:1], s7, v0
	s_and_saveexec_b64 s[18:19], s[0:1]
	s_cbranch_execz .LBB152_3
; %bb.1:
	s_load_dword s22, s[4:5], 0x44
	s_lshl_b64 s[20:21], s[2:3], 1
	v_lshlrev_b32_e32 v2, 3, v0
	s_mov_b32 s25, 0
	v_lshl_add_u32 v4, v0, 4, 0
	s_waitcnt lgkmcnt(0)
	s_and_b32 s22, s22, 0xffff
	s_add_u32 s20, s8, s20
	s_addc_u32 s21, s9, s21
	v_mov_b32_e32 v3, s21
	v_add_co_u32_e32 v2, vcc, s20, v2
	v_addc_co_u32_e32 v3, vcc, 0, v3, vcc
	s_lshl_b32 s23, s22, 3
	s_lshl_b32 s24, s22, 4
	s_mov_b64 s[20:21], 0
	v_mov_b32_e32 v5, s25
	v_mov_b32_e32 v6, v0
.LBB152_2:                              ; =>This Inner Loop Header: Depth=1
	global_load_dwordx2 v[12:13], v[2:3], off
	v_add_co_u32_e32 v2, vcc, s23, v2
	v_add_u32_e32 v6, s22, v6
	v_addc_co_u32_e32 v3, vcc, v3, v5, vcc
	v_cmp_le_i32_e32 vcc, s7, v6
	s_or_b64 s[20:21], vcc, s[20:21]
	s_waitcnt vmcnt(0)
	v_cvt_f32_f16_sdwa v9, v12 dst_sel:DWORD dst_unused:UNUSED_PAD src0_sel:WORD_1
	v_cvt_f32_f16_e32 v8, v12
	v_cvt_f32_f16_sdwa v11, v13 dst_sel:DWORD dst_unused:UNUSED_PAD src0_sel:WORD_1
	v_cvt_f32_f16_e32 v10, v13
	ds_write_b128 v4, v[8:11]
	v_add_u32_e32 v4, s24, v4
	s_andn2_b64 exec, exec, s[20:21]
	s_cbranch_execnz .LBB152_2
.LBB152_3:
	s_or_b64 exec, exec, s[18:19]
	v_lshl_add_u32 v2, s7, 2, v0
	v_cmp_gt_i32_e32 vcc, s16, v2
	s_and_saveexec_b64 s[18:19], vcc
	s_cbranch_execz .LBB152_6
; %bb.4:
	s_load_dword s20, s[4:5], 0x44
	s_lshl_b64 s[2:3], s[2:3], 1
	s_add_u32 s8, s8, s2
	s_addc_u32 s21, s9, s3
	s_lshl_b32 s2, s7, 4
	s_waitcnt lgkmcnt(0)
	s_and_b32 s9, s20, 0xffff
	s_add_i32 s2, s2, 0
	v_lshl_add_u32 v4, v0, 2, s2
	s_lshl_b32 s20, s9, 2
	s_mov_b64 s[2:3], 0
	v_mov_b32_e32 v5, s21
.LBB152_5:                              ; =>This Inner Loop Header: Depth=1
	v_ashrrev_i32_e32 v3, 31, v2
	v_lshlrev_b64 v[6:7], 1, v[2:3]
	v_add_co_u32_e32 v6, vcc, s8, v6
	v_addc_co_u32_e32 v7, vcc, v5, v7, vcc
	global_load_ushort v3, v[6:7], off
	v_add_u32_e32 v2, s9, v2
	v_cmp_le_i32_e32 vcc, s16, v2
	s_or_b64 s[2:3], vcc, s[2:3]
	s_waitcnt vmcnt(0)
	v_cvt_f32_f16_e32 v3, v3
	ds_write_b32 v4, v3
	v_add_u32_e32 v4, s20, v4
	s_andn2_b64 exec, exec, s[2:3]
	s_cbranch_execnz .LBB152_5
.LBB152_6:
	s_or_b64 exec, exec, s[18:19]
	v_cmp_gt_i32_e32 vcc, s16, v0
	v_mov_b32_e32 v2, 0xff800000
	s_waitcnt lgkmcnt(0)
	s_barrier
	s_and_saveexec_b64 s[8:9], vcc
	s_cbranch_execz .LBB152_10
; %bb.7:
	s_load_dword s2, s[4:5], 0x44
	v_lshl_add_u32 v3, v0, 2, 0
	s_mov_b64 s[18:19], 0
	v_mov_b32_e32 v2, 0xff800000
	v_mov_b32_e32 v4, v0
	s_waitcnt lgkmcnt(0)
	s_and_b32 s20, s2, 0xffff
	s_lshl_b32 s21, s20, 2
.LBB152_8:                              ; =>This Inner Loop Header: Depth=1
	ds_read_b32 v5, v3
	v_add_u32_e32 v4, s20, v4
	v_max_f32_e32 v2, v2, v2
	v_cmp_le_i32_e64 s[2:3], s16, v4
	v_add_u32_e32 v3, s21, v3
	s_waitcnt lgkmcnt(0)
	v_max_f32_e32 v5, v5, v5
	s_or_b64 s[18:19], s[2:3], s[18:19]
	v_max_f32_e32 v2, v2, v5
	s_andn2_b64 exec, exec, s[18:19]
	s_cbranch_execnz .LBB152_8
; %bb.9:
	s_or_b64 exec, exec, s[18:19]
.LBB152_10:
	s_or_b64 exec, exec, s[8:9]
	;;#ASMSTART
	v_max_f32 v3, v2, v2 quad_perm:[1,0,3,2] row_mask:0xf bank_mask:0xf bound_ctrl:1
	;;#ASMEND
	;;#ASMSTART
	v_max_f32 v2, v3, v3 quad_perm:[2,3,0,1] row_mask:0xf bank_mask:0xf bound_ctrl:1
	;;#ASMEND
	;;#ASMSTART
	v_max_f32 v3, v2, v2 row_half_mirror row_mask:0xf bank_mask:0xf bound_ctrl:1
	;;#ASMEND
	;;#ASMSTART
	v_max_f32 v2, v3, v3 row_mirror row_mask:0xf bank_mask:0xf bound_ctrl:1
	;;#ASMEND
	;;#ASMSTART
	v_max_f32 v3, v2, v2 row_ror:4 row_mask:0xf bank_mask:0xf bound_ctrl:1
	;;#ASMEND
	;;#ASMSTART
	v_max_f32 v2, v3, v3 row_ror:8 row_mask:0xf bank_mask:0xf bound_ctrl:1
	;;#ASMEND
	;;#ASMSTART
	v_max_f32 v3, v2, v2 row_bcast:15 row_mask:0xf bank_mask:0xf bound_ctrl:1
	;;#ASMEND
	;;#ASMSTART
	v_max_f32 v2, v3, v3 row_bcast:31 row_mask:0xf bank_mask:0xf bound_ctrl:1
	;;#ASMEND
	v_mbcnt_lo_u32_b32 v3, -1, 0
	v_mbcnt_hi_u32_b32 v3, -1, v3
	v_bfrev_b32_e32 v4, 0.5
	v_lshl_or_b32 v4, v3, 2, v4
	ds_bpermute_b32 v3, v4, v2
	v_mov_b32_e32 v2, 0
	s_and_saveexec_b64 s[18:19], vcc
	s_cbranch_execz .LBB152_14
; %bb.11:
	s_load_dword s2, s[4:5], 0x44
	v_lshl_add_u32 v5, v0, 2, 0
	s_mov_b64 s[20:21], 0
	v_mov_b32_e32 v2, 0
	s_mov_b32 s22, 0xc2fc0000
	s_waitcnt lgkmcnt(0)
	s_and_b32 s23, s2, 0xffff
	s_lshl_b32 s24, s23, 2
	v_mov_b32_e32 v6, 0x42800000
	v_mov_b32_e32 v7, 0x1f800000
	;; [unrolled: 1-line block ×3, first 2 shown]
.LBB152_12:                             ; =>This Inner Loop Header: Depth=1
	ds_read_b32 v9, v5
	v_add_u32_e32 v8, s23, v8
	v_cmp_le_i32_e64 s[8:9], s16, v8
	s_or_b64 s[20:21], s[8:9], s[20:21]
	s_waitcnt lgkmcnt(0)
	v_sub_f32_e32 v9, v9, v3
	v_mul_f32_e32 v10, 0x3fb8aa3b, v9
	v_cmp_gt_f32_e64 s[2:3], s22, v10
	v_cndmask_b32_e64 v10, 0, v6, s[2:3]
	v_fmac_f32_e32 v10, 0x3fb8aa3b, v9
	v_exp_f32_e32 v9, v10
	v_cndmask_b32_e64 v10, 1.0, v7, s[2:3]
	v_mul_f32_e32 v11, v9, v10
	v_fmac_f32_e32 v2, v9, v10
	ds_write_b32 v5, v11
	v_add_u32_e32 v5, s24, v5
	s_andn2_b64 exec, exec, s[20:21]
	s_cbranch_execnz .LBB152_12
; %bb.13:
	s_or_b64 exec, exec, s[20:21]
.LBB152_14:
	s_or_b64 exec, exec, s[18:19]
	s_waitcnt lgkmcnt(0)
	v_mov_b32_dpp v3, v2 quad_perm:[1,0,3,2] row_mask:0xf bank_mask:0xf
	v_add_f32_e32 v2, v2, v3
	s_nop 1
	v_mov_b32_dpp v3, v2 quad_perm:[2,3,0,1] row_mask:0xf bank_mask:0xf
	v_add_f32_e32 v2, v2, v3
	s_nop 1
	v_mov_b32_dpp v3, v2 row_half_mirror row_mask:0xf bank_mask:0xf
	v_add_f32_e32 v2, v2, v3
	s_nop 1
	v_mov_b32_dpp v3, v2 row_mirror row_mask:0xf bank_mask:0xf
	v_add_f32_e32 v2, v2, v3
	s_nop 1
	v_mov_b32_dpp v3, v2 row_bcast:15 row_mask:0xf bank_mask:0xf
	v_add_f32_e32 v2, v2, v3
	s_nop 1
	v_mov_b32_dpp v3, v2 row_bcast:31 row_mask:0xf bank_mask:0xf
	v_add_f32_e32 v2, v2, v3
	ds_bpermute_b32 v2, v4, v2
	s_and_saveexec_b64 s[8:9], vcc
	s_cbranch_execz .LBB152_19
; %bb.15:
	s_load_dword s20, s[4:5], 0x44
	s_waitcnt lgkmcnt(0)
	v_rcp_f32_e32 v5, v2
	s_cmp_lg_u64 s[10:11], 0
	s_cselect_b64 s[2:3], -1, 0
	v_cndmask_b32_e64 v2, 0, 1, s[2:3]
	s_and_b32 s20, s20, 0xffff
	s_mov_b64 s[18:19], 0
	v_lshl_add_u32 v6, v0, 2, 0
	s_lshl_b32 s21, s20, 2
	v_cmp_ne_u32_e64 s[2:3], 1, v2
	v_mov_b32_e32 v2, v0
	s_branch .LBB152_17
.LBB152_16:                             ;   in Loop: Header=BB152_17 Depth=1
	v_add_u32_e32 v2, s20, v2
	v_cmp_le_i32_e32 vcc, s16, v2
	s_or_b64 s[18:19], vcc, s[18:19]
	v_add_u32_e32 v6, s21, v6
	s_andn2_b64 exec, exec, s[18:19]
	s_cbranch_execz .LBB152_19
.LBB152_17:                             ; =>This Inner Loop Header: Depth=1
	ds_read_b32 v3, v6
	s_and_b64 vcc, exec, s[2:3]
	s_waitcnt lgkmcnt(0)
	v_mul_f32_e32 v7, v5, v3
	ds_write_b32 v6, v7
	s_cbranch_vccnz .LBB152_16
; %bb.18:                               ;   in Loop: Header=BB152_17 Depth=1
	v_ashrrev_i32_e32 v3, 31, v2
	v_lshlrev_b64 v[8:9], 1, v[2:3]
	v_mov_b32_e32 v3, s11
	v_add_co_u32_e32 v8, vcc, s10, v8
	v_addc_co_u32_e32 v9, vcc, v3, v9, vcc
	global_load_ushort v3, v[8:9], off
	s_waitcnt vmcnt(0)
	v_cvt_f32_f16_e32 v3, v3
	v_add_f32_e32 v3, v7, v3
	ds_write_b32 v6, v3
	s_branch .LBB152_16
.LBB152_19:
	s_or_b64 exec, exec, s[8:9]
	s_cmp_lt_i32 s17, 1
	s_waitcnt lgkmcnt(0)
	s_barrier
	s_cbranch_scc1 .LBB152_28
; %bb.20:
	s_add_u32 s2, s4, 56
	s_addc_u32 s3, s5, 0
	s_cmp_lg_u64 s[10:11], 0
	s_cselect_b64 s[8:9], -1, 0
	v_lshlrev_b32_e32 v5, 2, v0
	s_mov_b32 s16, 0
	v_mov_b32_e32 v2, 0
	v_mov_b32_e32 v6, 0
	;; [unrolled: 1-line block ×4, first 2 shown]
	s_branch .LBB152_22
.LBB152_21:                             ;   in Loop: Header=BB152_22 Depth=1
	s_lshl_b32 s19, s18, 2
	s_add_i32 s19, s19, 0
	v_mov_b32_e32 v8, s19
	ds_write_b32 v8, v7
	v_mov_b32_e32 v8, s18
	v_cmp_eq_u32_e32 vcc, s16, v0
	s_add_i32 s16, s16, 1
	v_cndmask_b32_e32 v2, v2, v8, vcc
	s_cmp_eq_u32 s16, s17
	v_cndmask_b32_e32 v3, v3, v10, vcc
	s_cbranch_scc1 .LBB152_29
.LBB152_22:                             ; =>This Loop Header: Depth=1
                                        ;     Child Loop BB152_24 Depth 2
	v_mov_b32_e32 v8, s16
	v_mov_b32_e32 v9, 0xff800000
	s_and_saveexec_b64 s[18:19], s[0:1]
	s_cbranch_execz .LBB152_26
; %bb.23:                               ;   in Loop: Header=BB152_22 Depth=1
	s_load_dword s22, s[2:3], 0xc
	s_mov_b64 s[20:21], 0
	v_mov_b32_e32 v8, s16
	v_mov_b32_e32 v9, 0xff800000
	;; [unrolled: 1-line block ×3, first 2 shown]
	s_waitcnt lgkmcnt(0)
	s_and_b32 s22, s22, 0xffff
	s_lshl_b32 s23, s22, 2
	s_lshl_b32 s24, s22, 4
	v_mov_b32_e32 v11, v5
	v_mov_b32_e32 v12, v0
.LBB152_24:                             ;   Parent Loop BB152_22 Depth=1
                                        ; =>  This Inner Loop Header: Depth=2
	ds_read_b128 v[14:17], v10
	v_add_u32_e32 v12, s22, v12
	v_cmp_le_i32_e32 vcc, s7, v12
	s_or_b64 s[20:21], vcc, s[20:21]
	v_add_u32_e32 v13, 1, v11
	s_waitcnt lgkmcnt(0)
	v_cmp_gt_f32_e32 vcc, v14, v9
	v_cndmask_b32_e32 v9, v9, v14, vcc
	v_cndmask_b32_e32 v8, v8, v11, vcc
	v_cmp_gt_f32_e32 vcc, v15, v9
	v_cndmask_b32_e32 v9, v9, v15, vcc
	v_cndmask_b32_e32 v8, v8, v13, vcc
	v_cmp_gt_f32_e32 vcc, v16, v9
	v_add_u32_e32 v18, 2, v11
	v_cndmask_b32_e32 v9, v9, v16, vcc
	v_add_u32_e32 v19, 3, v11
	v_cndmask_b32_e32 v8, v8, v18, vcc
	v_cmp_gt_f32_e32 vcc, v17, v9
	v_add_u32_e32 v10, s24, v10
	v_add_u32_e32 v11, s23, v11
	v_cndmask_b32_e32 v9, v9, v17, vcc
	v_cndmask_b32_e32 v8, v8, v19, vcc
	s_andn2_b64 exec, exec, s[20:21]
	s_cbranch_execnz .LBB152_24
; %bb.25:                               ;   in Loop: Header=BB152_22 Depth=1
	s_or_b64 exec, exec, s[20:21]
.LBB152_26:                             ;   in Loop: Header=BB152_22 Depth=1
	s_or_b64 exec, exec, s[18:19]
	;;#ASMSTART
	v_max_f32 v10, v9, v9 quad_perm:[1,0,3,2] row_mask:0xf bank_mask:0xf bound_ctrl:1
	;;#ASMEND
	;;#ASMSTART
	v_max_f32 v11, v10, v10 quad_perm:[2,3,0,1] row_mask:0xf bank_mask:0xf bound_ctrl:1
	;;#ASMEND
	;;#ASMSTART
	v_max_f32 v10, v11, v11 row_half_mirror row_mask:0xf bank_mask:0xf bound_ctrl:1
	;;#ASMEND
	;;#ASMSTART
	v_max_f32 v11, v10, v10 row_mirror row_mask:0xf bank_mask:0xf bound_ctrl:1
	;;#ASMEND
	;;#ASMSTART
	v_max_f32 v10, v11, v11 row_ror:4 row_mask:0xf bank_mask:0xf bound_ctrl:1
	;;#ASMEND
	;;#ASMSTART
	v_max_f32 v11, v10, v10 row_ror:8 row_mask:0xf bank_mask:0xf bound_ctrl:1
	;;#ASMEND
	;;#ASMSTART
	v_max_f32 v10, v11, v11 row_bcast:15 row_mask:0xf bank_mask:0xf bound_ctrl:1
	;;#ASMEND
	;;#ASMSTART
	v_max_f32 v11, v10, v10 row_bcast:31 row_mask:0xf bank_mask:0xf bound_ctrl:1
	;;#ASMEND
	ds_bpermute_b32 v10, v4, v11
	s_waitcnt lgkmcnt(0)
	v_cmp_eq_f32_e32 vcc, v9, v10
	s_ff1_i32_b64 s18, vcc
	s_cmp_lg_u64 vcc, 0
	s_cselect_b32 s18, s18, 0
	s_and_b64 vcc, exec, s[8:9]
	v_readlane_b32 s18, v8, s18
	s_cbranch_vccz .LBB152_21
; %bb.27:                               ;   in Loop: Header=BB152_22 Depth=1
	s_ashr_i32 s19, s18, 31
	s_lshl_b64 s[20:21], s[18:19], 1
	s_add_u32 s20, s10, s20
	s_addc_u32 s21, s11, s21
	global_load_ushort v8, v6, s[20:21]
	s_waitcnt vmcnt(0)
	v_cvt_f32_f16_e32 v8, v8
	v_sub_f32_e32 v10, v10, v8
	s_branch .LBB152_21
.LBB152_28:
	v_mov_b32_e32 v3, 0
	v_mov_b32_e32 v2, 0
.LBB152_29:
	v_cmp_gt_i32_e32 vcc, s17, v0
	s_and_saveexec_b64 s[0:1], vcc
	s_cbranch_execz .LBB152_32
; %bb.30:
	s_load_dword s2, s[4:5], 0x34
	s_load_dwordx2 s[0:1], s[4:5], 0x20
	s_ashr_i32 s3, s6, 31
	s_load_dword s4, s[4:5], 0x44
	v_mov_b32_e32 v4, s13
	s_waitcnt lgkmcnt(0)
	v_mul_f32_e32 v1, s2, v3
	s_mul_i32 s1, s6, s1
	s_mul_hi_u32 s2, s6, s0
	s_add_i32 s1, s2, s1
	s_mul_i32 s3, s3, s0
	s_add_i32 s5, s1, s3
	s_mul_i32 s2, s6, s0
	s_and_b32 s3, s4, 0xffff
	s_mov_b64 s[0:1], 0
	v_mov_b32_e32 v3, s5
	v_mov_b32_e32 v5, s15
.LBB152_31:                             ; =>This Inner Loop Header: Depth=1
	v_ashrrev_i32_e32 v7, 31, v0
	v_add_co_u32_e32 v6, vcc, s2, v0
	v_addc_co_u32_e32 v7, vcc, v3, v7, vcc
	v_add_u32_e32 v0, s3, v0
	v_cmp_le_i32_e32 vcc, s17, v0
	v_lshlrev_b64 v[6:7], 2, v[6:7]
	s_or_b64 s[0:1], vcc, s[0:1]
	v_add_co_u32_e32 v8, vcc, s12, v6
	v_addc_co_u32_e32 v9, vcc, v4, v7, vcc
	v_add_co_u32_e32 v6, vcc, s14, v6
	v_addc_co_u32_e32 v7, vcc, v5, v7, vcc
	global_store_dword v[8:9], v1, off
	global_store_dword v[6:7], v2, off
	s_andn2_b64 exec, exec, s[0:1]
	s_cbranch_execnz .LBB152_31
.LBB152_32:
	s_endpgm
	.section	.rodata,"a",@progbits
	.p2align	6, 0x0
	.amdhsa_kernel _ZN5aiter20topk_softplus_kernelI6__halfS1_Dv4_fLb0ELi2EEEvPKT_PKT0_PfPimiiif
		.amdhsa_group_segment_fixed_size 0
		.amdhsa_private_segment_fixed_size 0
		.amdhsa_kernarg_size 312
		.amdhsa_user_sgpr_count 6
		.amdhsa_user_sgpr_private_segment_buffer 1
		.amdhsa_user_sgpr_dispatch_ptr 0
		.amdhsa_user_sgpr_queue_ptr 0
		.amdhsa_user_sgpr_kernarg_segment_ptr 1
		.amdhsa_user_sgpr_dispatch_id 0
		.amdhsa_user_sgpr_flat_scratch_init 0
		.amdhsa_user_sgpr_kernarg_preload_length 0
		.amdhsa_user_sgpr_kernarg_preload_offset 0
		.amdhsa_user_sgpr_private_segment_size 0
		.amdhsa_uses_dynamic_stack 0
		.amdhsa_system_sgpr_private_segment_wavefront_offset 0
		.amdhsa_system_sgpr_workgroup_id_x 1
		.amdhsa_system_sgpr_workgroup_id_y 0
		.amdhsa_system_sgpr_workgroup_id_z 0
		.amdhsa_system_sgpr_workgroup_info 0
		.amdhsa_system_vgpr_workitem_id 0
		.amdhsa_next_free_vgpr 20
		.amdhsa_next_free_sgpr 26
		.amdhsa_accum_offset 20
		.amdhsa_reserve_vcc 1
		.amdhsa_reserve_flat_scratch 0
		.amdhsa_float_round_mode_32 0
		.amdhsa_float_round_mode_16_64 0
		.amdhsa_float_denorm_mode_32 3
		.amdhsa_float_denorm_mode_16_64 3
		.amdhsa_dx10_clamp 1
		.amdhsa_ieee_mode 1
		.amdhsa_fp16_overflow 0
		.amdhsa_tg_split 0
		.amdhsa_exception_fp_ieee_invalid_op 0
		.amdhsa_exception_fp_denorm_src 0
		.amdhsa_exception_fp_ieee_div_zero 0
		.amdhsa_exception_fp_ieee_overflow 0
		.amdhsa_exception_fp_ieee_underflow 0
		.amdhsa_exception_fp_ieee_inexact 0
		.amdhsa_exception_int_div_zero 0
	.end_amdhsa_kernel
	.section	.text._ZN5aiter20topk_softplus_kernelI6__halfS1_Dv4_fLb0ELi2EEEvPKT_PKT0_PfPimiiif,"axG",@progbits,_ZN5aiter20topk_softplus_kernelI6__halfS1_Dv4_fLb0ELi2EEEvPKT_PKT0_PfPimiiif,comdat
.Lfunc_end152:
	.size	_ZN5aiter20topk_softplus_kernelI6__halfS1_Dv4_fLb0ELi2EEEvPKT_PKT0_PfPimiiif, .Lfunc_end152-_ZN5aiter20topk_softplus_kernelI6__halfS1_Dv4_fLb0ELi2EEEvPKT_PKT0_PfPimiiif
                                        ; -- End function
	.section	.AMDGPU.csdata,"",@progbits
; Kernel info:
; codeLenInByte = 1732
; NumSgprs: 30
; NumVgprs: 20
; NumAgprs: 0
; TotalNumVgprs: 20
; ScratchSize: 0
; MemoryBound: 0
; FloatMode: 240
; IeeeMode: 1
; LDSByteSize: 0 bytes/workgroup (compile time only)
; SGPRBlocks: 3
; VGPRBlocks: 2
; NumSGPRsForWavesPerEU: 30
; NumVGPRsForWavesPerEU: 20
; AccumOffset: 20
; Occupancy: 8
; WaveLimiterHint : 0
; COMPUTE_PGM_RSRC2:SCRATCH_EN: 0
; COMPUTE_PGM_RSRC2:USER_SGPR: 6
; COMPUTE_PGM_RSRC2:TRAP_HANDLER: 0
; COMPUTE_PGM_RSRC2:TGID_X_EN: 1
; COMPUTE_PGM_RSRC2:TGID_Y_EN: 0
; COMPUTE_PGM_RSRC2:TGID_Z_EN: 0
; COMPUTE_PGM_RSRC2:TIDIG_COMP_CNT: 0
; COMPUTE_PGM_RSRC3_GFX90A:ACCUM_OFFSET: 4
; COMPUTE_PGM_RSRC3_GFX90A:TG_SPLIT: 0
	.section	.text._ZN5aiter20topk_softplus_kernelI6__halfS1_Dv2_fLb1ELi2EEEvPKT_PKT0_PfPimiiif,"axG",@progbits,_ZN5aiter20topk_softplus_kernelI6__halfS1_Dv2_fLb1ELi2EEEvPKT_PKT0_PfPimiiif,comdat
	.protected	_ZN5aiter20topk_softplus_kernelI6__halfS1_Dv2_fLb1ELi2EEEvPKT_PKT0_PfPimiiif ; -- Begin function _ZN5aiter20topk_softplus_kernelI6__halfS1_Dv2_fLb1ELi2EEEvPKT_PKT0_PfPimiiif
	.globl	_ZN5aiter20topk_softplus_kernelI6__halfS1_Dv2_fLb1ELi2EEEvPKT_PKT0_PfPimiiif
	.p2align	8
	.type	_ZN5aiter20topk_softplus_kernelI6__halfS1_Dv2_fLb1ELi2EEEvPKT_PKT0_PfPimiiif,@function
_ZN5aiter20topk_softplus_kernelI6__halfS1_Dv2_fLb1ELi2EEEvPKT_PKT0_PfPimiiif: ; @_ZN5aiter20topk_softplus_kernelI6__halfS1_Dv2_fLb1ELi2EEEvPKT_PKT0_PfPimiiif
; %bb.0:
	s_load_dwordx2 s[16:17], s[4:5], 0x28
	s_load_dwordx8 s[8:15], s[4:5], 0x0
	v_lshl_add_u32 v1, v0, 3, 0
	s_waitcnt lgkmcnt(0)
	s_lshr_b32 s0, s16, 31
	s_add_i32 s0, s16, s0
	s_mul_i32 s2, s6, s16
	s_ashr_i32 s7, s0, 1
	s_ashr_i32 s3, s2, 31
	v_cmp_gt_i32_e64 s[0:1], s7, v0
	s_and_saveexec_b64 s[18:19], s[0:1]
	s_cbranch_execz .LBB153_3
; %bb.1:
	s_load_dword s22, s[4:5], 0x44
	s_lshl_b64 s[20:21], s[2:3], 1
	v_lshlrev_b32_e32 v2, 2, v0
	s_mov_b32 s25, 0
	v_lshl_add_u32 v4, v0, 3, 0
	s_waitcnt lgkmcnt(0)
	s_and_b32 s22, s22, 0xffff
	s_add_u32 s20, s8, s20
	s_addc_u32 s21, s9, s21
	v_mov_b32_e32 v3, s21
	v_add_co_u32_e32 v2, vcc, s20, v2
	v_addc_co_u32_e32 v3, vcc, 0, v3, vcc
	s_lshl_b32 s23, s22, 2
	s_lshl_b32 s24, s22, 3
	s_mov_b64 s[20:21], 0
	v_mov_b32_e32 v5, s25
	v_mov_b32_e32 v6, v0
.LBB153_2:                              ; =>This Inner Loop Header: Depth=1
	global_load_dword v7, v[2:3], off
	v_add_co_u32_e32 v2, vcc, s23, v2
	v_add_u32_e32 v6, s22, v6
	v_addc_co_u32_e32 v3, vcc, v3, v5, vcc
	v_cmp_le_i32_e32 vcc, s7, v6
	s_or_b64 s[20:21], vcc, s[20:21]
	s_waitcnt vmcnt(0)
	v_cvt_f32_f16_sdwa v9, v7 dst_sel:DWORD dst_unused:UNUSED_PAD src0_sel:WORD_1
	v_cvt_f32_f16_e32 v8, v7
	ds_write_b64 v4, v[8:9]
	v_add_u32_e32 v4, s24, v4
	s_andn2_b64 exec, exec, s[20:21]
	s_cbranch_execnz .LBB153_2
.LBB153_3:
	s_or_b64 exec, exec, s[18:19]
	v_lshl_add_u32 v2, s7, 1, v0
	v_cmp_gt_i32_e32 vcc, s16, v2
	s_and_saveexec_b64 s[18:19], vcc
	s_cbranch_execz .LBB153_6
; %bb.4:
	s_load_dword s20, s[4:5], 0x44
	s_lshl_b64 s[2:3], s[2:3], 1
	s_add_u32 s8, s8, s2
	s_addc_u32 s21, s9, s3
	s_lshl_b32 s2, s7, 3
	s_waitcnt lgkmcnt(0)
	s_and_b32 s9, s20, 0xffff
	s_add_i32 s2, s2, 0
	v_lshl_add_u32 v4, v0, 2, s2
	s_lshl_b32 s20, s9, 2
	s_mov_b64 s[2:3], 0
	v_mov_b32_e32 v5, s21
.LBB153_5:                              ; =>This Inner Loop Header: Depth=1
	v_ashrrev_i32_e32 v3, 31, v2
	v_lshlrev_b64 v[6:7], 1, v[2:3]
	v_add_co_u32_e32 v6, vcc, s8, v6
	v_addc_co_u32_e32 v7, vcc, v5, v7, vcc
	global_load_ushort v3, v[6:7], off
	v_add_u32_e32 v2, s9, v2
	v_cmp_le_i32_e32 vcc, s16, v2
	s_or_b64 s[2:3], vcc, s[2:3]
	s_waitcnt vmcnt(0)
	v_cvt_f32_f16_e32 v3, v3
	ds_write_b32 v4, v3
	v_add_u32_e32 v4, s20, v4
	s_andn2_b64 exec, exec, s[2:3]
	s_cbranch_execnz .LBB153_5
.LBB153_6:
	s_or_b64 exec, exec, s[18:19]
	v_cmp_gt_i32_e32 vcc, s16, v0
	v_mov_b32_e32 v2, 0xff800000
	s_waitcnt lgkmcnt(0)
	s_barrier
	s_and_saveexec_b64 s[8:9], vcc
	s_cbranch_execz .LBB153_10
; %bb.7:
	s_load_dword s2, s[4:5], 0x44
	v_lshl_add_u32 v3, v0, 2, 0
	s_mov_b64 s[18:19], 0
	v_mov_b32_e32 v2, 0xff800000
	v_mov_b32_e32 v4, v0
	s_waitcnt lgkmcnt(0)
	s_and_b32 s20, s2, 0xffff
	s_lshl_b32 s21, s20, 2
.LBB153_8:                              ; =>This Inner Loop Header: Depth=1
	ds_read_b32 v5, v3
	v_add_u32_e32 v4, s20, v4
	v_max_f32_e32 v2, v2, v2
	v_cmp_le_i32_e64 s[2:3], s16, v4
	v_add_u32_e32 v3, s21, v3
	s_waitcnt lgkmcnt(0)
	v_max_f32_e32 v5, v5, v5
	s_or_b64 s[18:19], s[2:3], s[18:19]
	v_max_f32_e32 v2, v2, v5
	s_andn2_b64 exec, exec, s[18:19]
	s_cbranch_execnz .LBB153_8
; %bb.9:
	s_or_b64 exec, exec, s[18:19]
.LBB153_10:
	s_or_b64 exec, exec, s[8:9]
	;;#ASMSTART
	v_max_f32 v3, v2, v2 quad_perm:[1,0,3,2] row_mask:0xf bank_mask:0xf bound_ctrl:1
	;;#ASMEND
	;;#ASMSTART
	v_max_f32 v2, v3, v3 quad_perm:[2,3,0,1] row_mask:0xf bank_mask:0xf bound_ctrl:1
	;;#ASMEND
	;;#ASMSTART
	v_max_f32 v3, v2, v2 row_half_mirror row_mask:0xf bank_mask:0xf bound_ctrl:1
	;;#ASMEND
	;;#ASMSTART
	v_max_f32 v2, v3, v3 row_mirror row_mask:0xf bank_mask:0xf bound_ctrl:1
	;;#ASMEND
	;;#ASMSTART
	v_max_f32 v3, v2, v2 row_ror:4 row_mask:0xf bank_mask:0xf bound_ctrl:1
	;;#ASMEND
	;;#ASMSTART
	v_max_f32 v2, v3, v3 row_ror:8 row_mask:0xf bank_mask:0xf bound_ctrl:1
	;;#ASMEND
	;;#ASMSTART
	v_max_f32 v3, v2, v2 row_bcast:15 row_mask:0xf bank_mask:0xf bound_ctrl:1
	;;#ASMEND
	;;#ASMSTART
	v_max_f32 v2, v3, v3 row_bcast:31 row_mask:0xf bank_mask:0xf bound_ctrl:1
	;;#ASMEND
	v_mbcnt_lo_u32_b32 v3, -1, 0
	v_mbcnt_hi_u32_b32 v3, -1, v3
	v_bfrev_b32_e32 v4, 0.5
	v_lshl_or_b32 v4, v3, 2, v4
	ds_bpermute_b32 v3, v4, v2
	v_mov_b32_e32 v2, 0
	s_and_saveexec_b64 s[18:19], vcc
	s_cbranch_execz .LBB153_14
; %bb.11:
	s_load_dword s2, s[4:5], 0x44
	v_lshl_add_u32 v5, v0, 2, 0
	s_mov_b64 s[20:21], 0
	v_mov_b32_e32 v2, 0
	s_mov_b32 s22, 0xc2fc0000
	s_waitcnt lgkmcnt(0)
	s_and_b32 s23, s2, 0xffff
	s_lshl_b32 s24, s23, 2
	v_mov_b32_e32 v6, 0x42800000
	v_mov_b32_e32 v7, 0x1f800000
	;; [unrolled: 1-line block ×3, first 2 shown]
.LBB153_12:                             ; =>This Inner Loop Header: Depth=1
	ds_read_b32 v9, v5
	v_add_u32_e32 v8, s23, v8
	v_cmp_le_i32_e64 s[8:9], s16, v8
	s_or_b64 s[20:21], s[8:9], s[20:21]
	s_waitcnt lgkmcnt(0)
	v_sub_f32_e32 v9, v9, v3
	v_mul_f32_e32 v10, 0x3fb8aa3b, v9
	v_cmp_gt_f32_e64 s[2:3], s22, v10
	v_cndmask_b32_e64 v10, 0, v6, s[2:3]
	v_fmac_f32_e32 v10, 0x3fb8aa3b, v9
	v_exp_f32_e32 v9, v10
	v_cndmask_b32_e64 v10, 1.0, v7, s[2:3]
	v_mul_f32_e32 v11, v9, v10
	v_fmac_f32_e32 v2, v9, v10
	ds_write_b32 v5, v11
	v_add_u32_e32 v5, s24, v5
	s_andn2_b64 exec, exec, s[20:21]
	s_cbranch_execnz .LBB153_12
; %bb.13:
	s_or_b64 exec, exec, s[20:21]
.LBB153_14:
	s_or_b64 exec, exec, s[18:19]
	s_waitcnt lgkmcnt(0)
	v_mov_b32_dpp v3, v2 quad_perm:[1,0,3,2] row_mask:0xf bank_mask:0xf
	v_add_f32_e32 v2, v2, v3
	s_nop 1
	v_mov_b32_dpp v3, v2 quad_perm:[2,3,0,1] row_mask:0xf bank_mask:0xf
	v_add_f32_e32 v2, v2, v3
	s_nop 1
	v_mov_b32_dpp v3, v2 row_half_mirror row_mask:0xf bank_mask:0xf
	v_add_f32_e32 v2, v2, v3
	s_nop 1
	v_mov_b32_dpp v3, v2 row_mirror row_mask:0xf bank_mask:0xf
	v_add_f32_e32 v2, v2, v3
	s_nop 1
	v_mov_b32_dpp v3, v2 row_bcast:15 row_mask:0xf bank_mask:0xf
	v_add_f32_e32 v2, v2, v3
	s_nop 1
	v_mov_b32_dpp v3, v2 row_bcast:31 row_mask:0xf bank_mask:0xf
	v_add_f32_e32 v2, v2, v3
	ds_bpermute_b32 v2, v4, v2
	s_and_saveexec_b64 s[8:9], vcc
	s_cbranch_execz .LBB153_19
; %bb.15:
	s_load_dword s20, s[4:5], 0x44
	s_waitcnt lgkmcnt(0)
	v_rcp_f32_e32 v5, v2
	s_cmp_lg_u64 s[10:11], 0
	s_cselect_b64 s[2:3], -1, 0
	v_cndmask_b32_e64 v2, 0, 1, s[2:3]
	s_and_b32 s20, s20, 0xffff
	s_mov_b64 s[18:19], 0
	v_lshl_add_u32 v6, v0, 2, 0
	s_lshl_b32 s21, s20, 2
	v_cmp_ne_u32_e64 s[2:3], 1, v2
	v_mov_b32_e32 v2, v0
	s_branch .LBB153_17
.LBB153_16:                             ;   in Loop: Header=BB153_17 Depth=1
	v_add_u32_e32 v2, s20, v2
	v_cmp_le_i32_e32 vcc, s16, v2
	s_or_b64 s[18:19], vcc, s[18:19]
	v_add_u32_e32 v6, s21, v6
	s_andn2_b64 exec, exec, s[18:19]
	s_cbranch_execz .LBB153_19
.LBB153_17:                             ; =>This Inner Loop Header: Depth=1
	ds_read_b32 v3, v6
	s_and_b64 vcc, exec, s[2:3]
	s_waitcnt lgkmcnt(0)
	v_mul_f32_e32 v7, v5, v3
	ds_write_b32 v6, v7
	s_cbranch_vccnz .LBB153_16
; %bb.18:                               ;   in Loop: Header=BB153_17 Depth=1
	v_ashrrev_i32_e32 v3, 31, v2
	v_lshlrev_b64 v[8:9], 1, v[2:3]
	v_mov_b32_e32 v3, s11
	v_add_co_u32_e32 v8, vcc, s10, v8
	v_addc_co_u32_e32 v9, vcc, v3, v9, vcc
	global_load_ushort v3, v[8:9], off
	s_waitcnt vmcnt(0)
	v_cvt_f32_f16_e32 v3, v3
	v_add_f32_e32 v3, v7, v3
	ds_write_b32 v6, v3
	s_branch .LBB153_16
.LBB153_19:
	s_or_b64 exec, exec, s[8:9]
	s_cmp_lt_i32 s17, 1
	v_mov_b32_e32 v3, 0
	s_waitcnt lgkmcnt(0)
	s_barrier
	s_cbranch_scc1 .LBB153_28
; %bb.20:
	s_add_u32 s2, s4, 56
	s_addc_u32 s3, s5, 0
	s_cmp_lg_u64 s[10:11], 0
	s_cselect_b64 s[8:9], -1, 0
	v_lshlrev_b32_e32 v6, 1, v0
	s_mov_b32 s16, 0
	v_mov_b32_e32 v3, 0
	v_mov_b32_e32 v7, 0
	;; [unrolled: 1-line block ×5, first 2 shown]
	s_branch .LBB153_22
.LBB153_21:                             ;   in Loop: Header=BB153_22 Depth=1
	s_lshl_b32 s19, s18, 2
	s_add_i32 s19, s19, 0
	v_mov_b32_e32 v9, s19
	ds_write_b32 v9, v8
	v_mov_b32_e32 v9, s18
	v_cmp_eq_u32_e32 vcc, s16, v0
	s_add_i32 s16, s16, 1
	v_cndmask_b32_e32 v2, v2, v9, vcc
	v_cndmask_b32_e32 v3, v3, v11, vcc
	s_cmp_eq_u32 s16, s17
	v_add_f32_e32 v5, v5, v11
	s_cbranch_scc1 .LBB153_29
.LBB153_22:                             ; =>This Loop Header: Depth=1
                                        ;     Child Loop BB153_24 Depth 2
	v_mov_b32_e32 v9, s16
	v_mov_b32_e32 v10, 0xff800000
	s_and_saveexec_b64 s[18:19], s[0:1]
	s_cbranch_execz .LBB153_26
; %bb.23:                               ;   in Loop: Header=BB153_22 Depth=1
	s_load_dword s22, s[2:3], 0xc
	s_mov_b64 s[20:21], 0
	v_mov_b32_e32 v9, s16
	v_mov_b32_e32 v10, 0xff800000
	;; [unrolled: 1-line block ×3, first 2 shown]
	s_waitcnt lgkmcnt(0)
	s_and_b32 s22, s22, 0xffff
	s_lshl_b32 s23, s22, 1
	s_lshl_b32 s24, s22, 3
	v_mov_b32_e32 v12, v6
	v_mov_b32_e32 v13, v0
.LBB153_24:                             ;   Parent Loop BB153_22 Depth=1
                                        ; =>  This Inner Loop Header: Depth=2
	ds_read_b64 v[14:15], v11
	v_add_u32_e32 v13, s22, v13
	v_cmp_le_i32_e32 vcc, s7, v13
	s_or_b64 s[20:21], vcc, s[20:21]
	v_add_u32_e32 v16, 1, v12
	s_waitcnt lgkmcnt(0)
	v_cmp_gt_f32_e32 vcc, v14, v10
	v_cndmask_b32_e32 v10, v10, v14, vcc
	v_cndmask_b32_e32 v9, v9, v12, vcc
	v_cmp_gt_f32_e32 vcc, v15, v10
	v_add_u32_e32 v11, s24, v11
	v_cndmask_b32_e32 v10, v10, v15, vcc
	v_add_u32_e32 v12, s23, v12
	v_cndmask_b32_e32 v9, v9, v16, vcc
	s_andn2_b64 exec, exec, s[20:21]
	s_cbranch_execnz .LBB153_24
; %bb.25:                               ;   in Loop: Header=BB153_22 Depth=1
	s_or_b64 exec, exec, s[20:21]
.LBB153_26:                             ;   in Loop: Header=BB153_22 Depth=1
	s_or_b64 exec, exec, s[18:19]
	;;#ASMSTART
	v_max_f32 v11, v10, v10 quad_perm:[1,0,3,2] row_mask:0xf bank_mask:0xf bound_ctrl:1
	;;#ASMEND
	;;#ASMSTART
	v_max_f32 v12, v11, v11 quad_perm:[2,3,0,1] row_mask:0xf bank_mask:0xf bound_ctrl:1
	;;#ASMEND
	;;#ASMSTART
	v_max_f32 v11, v12, v12 row_half_mirror row_mask:0xf bank_mask:0xf bound_ctrl:1
	;;#ASMEND
	;;#ASMSTART
	v_max_f32 v12, v11, v11 row_mirror row_mask:0xf bank_mask:0xf bound_ctrl:1
	;;#ASMEND
	;;#ASMSTART
	v_max_f32 v11, v12, v12 row_ror:4 row_mask:0xf bank_mask:0xf bound_ctrl:1
	;;#ASMEND
	;;#ASMSTART
	v_max_f32 v12, v11, v11 row_ror:8 row_mask:0xf bank_mask:0xf bound_ctrl:1
	;;#ASMEND
	;;#ASMSTART
	v_max_f32 v11, v12, v12 row_bcast:15 row_mask:0xf bank_mask:0xf bound_ctrl:1
	;;#ASMEND
	;;#ASMSTART
	v_max_f32 v12, v11, v11 row_bcast:31 row_mask:0xf bank_mask:0xf bound_ctrl:1
	;;#ASMEND
	ds_bpermute_b32 v11, v4, v12
	s_waitcnt lgkmcnt(0)
	v_cmp_eq_f32_e32 vcc, v10, v11
	s_ff1_i32_b64 s18, vcc
	s_cmp_lg_u64 vcc, 0
	s_cselect_b32 s18, s18, 0
	s_and_b64 vcc, exec, s[8:9]
	v_readlane_b32 s18, v9, s18
	s_cbranch_vccz .LBB153_21
; %bb.27:                               ;   in Loop: Header=BB153_22 Depth=1
	s_ashr_i32 s19, s18, 31
	s_lshl_b64 s[20:21], s[18:19], 1
	s_add_u32 s20, s10, s20
	s_addc_u32 s21, s11, s21
	global_load_ushort v9, v7, s[20:21]
	s_waitcnt vmcnt(0)
	v_cvt_f32_f16_e32 v9, v9
	v_sub_f32_e32 v11, v11, v9
	s_branch .LBB153_21
.LBB153_28:
	v_mov_b32_e32 v2, 0
	v_mov_b32_e32 v5, 0
.LBB153_29:
	v_cmp_gt_i32_e32 vcc, s17, v0
	s_and_saveexec_b64 s[0:1], vcc
	s_cbranch_execz .LBB153_32
; %bb.30:
	s_load_dword s2, s[4:5], 0x34
	v_max_f32_e32 v1, v5, v5
	v_max_f32_e32 v1, 0x1e3ce508, v1
	s_load_dword s3, s[4:5], 0x44
	s_waitcnt lgkmcnt(0)
	v_div_scale_f32 v4, s[0:1], v1, v1, s2
	s_load_dwordx2 s[0:1], s[4:5], 0x20
	v_rcp_f32_e32 v5, v4
	v_div_scale_f32 v6, vcc, s2, v1, s2
	s_and_b32 s3, s3, 0xffff
	v_fma_f32 v7, -v4, v5, 1.0
	v_fmac_f32_e32 v5, v7, v5
	v_mul_f32_e32 v7, v6, v5
	v_fma_f32 v8, -v4, v7, v6
	v_fmac_f32_e32 v7, v8, v5
	v_fma_f32 v4, -v4, v7, v6
	v_div_fmas_f32 v4, v4, v5, v7
	v_div_fixup_f32 v1, v4, v1, s2
	s_ashr_i32 s2, s6, 31
	s_waitcnt lgkmcnt(0)
	s_mul_i32 s1, s6, s1
	s_mul_hi_u32 s4, s6, s0
	s_add_i32 s1, s4, s1
	s_mul_i32 s2, s2, s0
	s_add_i32 s4, s1, s2
	v_mul_f32_e32 v1, v3, v1
	s_mul_i32 s2, s6, s0
	s_mov_b64 s[0:1], 0
	v_mov_b32_e32 v3, s4
	v_mov_b32_e32 v4, s13
	;; [unrolled: 1-line block ×3, first 2 shown]
.LBB153_31:                             ; =>This Inner Loop Header: Depth=1
	v_ashrrev_i32_e32 v7, 31, v0
	v_add_co_u32_e32 v6, vcc, s2, v0
	v_addc_co_u32_e32 v7, vcc, v3, v7, vcc
	v_add_u32_e32 v0, s3, v0
	v_cmp_le_i32_e32 vcc, s17, v0
	v_lshlrev_b64 v[6:7], 2, v[6:7]
	s_or_b64 s[0:1], vcc, s[0:1]
	v_add_co_u32_e32 v8, vcc, s12, v6
	v_addc_co_u32_e32 v9, vcc, v4, v7, vcc
	v_add_co_u32_e32 v6, vcc, s14, v6
	v_addc_co_u32_e32 v7, vcc, v5, v7, vcc
	global_store_dword v[8:9], v1, off
	global_store_dword v[6:7], v2, off
	s_andn2_b64 exec, exec, s[0:1]
	s_cbranch_execnz .LBB153_31
.LBB153_32:
	s_endpgm
	.section	.rodata,"a",@progbits
	.p2align	6, 0x0
	.amdhsa_kernel _ZN5aiter20topk_softplus_kernelI6__halfS1_Dv2_fLb1ELi2EEEvPKT_PKT0_PfPimiiif
		.amdhsa_group_segment_fixed_size 0
		.amdhsa_private_segment_fixed_size 0
		.amdhsa_kernarg_size 312
		.amdhsa_user_sgpr_count 6
		.amdhsa_user_sgpr_private_segment_buffer 1
		.amdhsa_user_sgpr_dispatch_ptr 0
		.amdhsa_user_sgpr_queue_ptr 0
		.amdhsa_user_sgpr_kernarg_segment_ptr 1
		.amdhsa_user_sgpr_dispatch_id 0
		.amdhsa_user_sgpr_flat_scratch_init 0
		.amdhsa_user_sgpr_kernarg_preload_length 0
		.amdhsa_user_sgpr_kernarg_preload_offset 0
		.amdhsa_user_sgpr_private_segment_size 0
		.amdhsa_uses_dynamic_stack 0
		.amdhsa_system_sgpr_private_segment_wavefront_offset 0
		.amdhsa_system_sgpr_workgroup_id_x 1
		.amdhsa_system_sgpr_workgroup_id_y 0
		.amdhsa_system_sgpr_workgroup_id_z 0
		.amdhsa_system_sgpr_workgroup_info 0
		.amdhsa_system_vgpr_workitem_id 0
		.amdhsa_next_free_vgpr 17
		.amdhsa_next_free_sgpr 26
		.amdhsa_accum_offset 20
		.amdhsa_reserve_vcc 1
		.amdhsa_reserve_flat_scratch 0
		.amdhsa_float_round_mode_32 0
		.amdhsa_float_round_mode_16_64 0
		.amdhsa_float_denorm_mode_32 3
		.amdhsa_float_denorm_mode_16_64 3
		.amdhsa_dx10_clamp 1
		.amdhsa_ieee_mode 1
		.amdhsa_fp16_overflow 0
		.amdhsa_tg_split 0
		.amdhsa_exception_fp_ieee_invalid_op 0
		.amdhsa_exception_fp_denorm_src 0
		.amdhsa_exception_fp_ieee_div_zero 0
		.amdhsa_exception_fp_ieee_overflow 0
		.amdhsa_exception_fp_ieee_underflow 0
		.amdhsa_exception_fp_ieee_inexact 0
		.amdhsa_exception_int_div_zero 0
	.end_amdhsa_kernel
	.section	.text._ZN5aiter20topk_softplus_kernelI6__halfS1_Dv2_fLb1ELi2EEEvPKT_PKT0_PfPimiiif,"axG",@progbits,_ZN5aiter20topk_softplus_kernelI6__halfS1_Dv2_fLb1ELi2EEEvPKT_PKT0_PfPimiiif,comdat
.Lfunc_end153:
	.size	_ZN5aiter20topk_softplus_kernelI6__halfS1_Dv2_fLb1ELi2EEEvPKT_PKT0_PfPimiiif, .Lfunc_end153-_ZN5aiter20topk_softplus_kernelI6__halfS1_Dv2_fLb1ELi2EEEvPKT_PKT0_PfPimiiif
                                        ; -- End function
	.section	.AMDGPU.csdata,"",@progbits
; Kernel info:
; codeLenInByte = 1784
; NumSgprs: 30
; NumVgprs: 17
; NumAgprs: 0
; TotalNumVgprs: 17
; ScratchSize: 0
; MemoryBound: 0
; FloatMode: 240
; IeeeMode: 1
; LDSByteSize: 0 bytes/workgroup (compile time only)
; SGPRBlocks: 3
; VGPRBlocks: 2
; NumSGPRsForWavesPerEU: 30
; NumVGPRsForWavesPerEU: 17
; AccumOffset: 20
; Occupancy: 8
; WaveLimiterHint : 0
; COMPUTE_PGM_RSRC2:SCRATCH_EN: 0
; COMPUTE_PGM_RSRC2:USER_SGPR: 6
; COMPUTE_PGM_RSRC2:TRAP_HANDLER: 0
; COMPUTE_PGM_RSRC2:TGID_X_EN: 1
; COMPUTE_PGM_RSRC2:TGID_Y_EN: 0
; COMPUTE_PGM_RSRC2:TGID_Z_EN: 0
; COMPUTE_PGM_RSRC2:TIDIG_COMP_CNT: 0
; COMPUTE_PGM_RSRC3_GFX90A:ACCUM_OFFSET: 4
; COMPUTE_PGM_RSRC3_GFX90A:TG_SPLIT: 0
	.section	.text._ZN5aiter20topk_softplus_kernelI6__halfS1_Dv2_fLb0ELi2EEEvPKT_PKT0_PfPimiiif,"axG",@progbits,_ZN5aiter20topk_softplus_kernelI6__halfS1_Dv2_fLb0ELi2EEEvPKT_PKT0_PfPimiiif,comdat
	.protected	_ZN5aiter20topk_softplus_kernelI6__halfS1_Dv2_fLb0ELi2EEEvPKT_PKT0_PfPimiiif ; -- Begin function _ZN5aiter20topk_softplus_kernelI6__halfS1_Dv2_fLb0ELi2EEEvPKT_PKT0_PfPimiiif
	.globl	_ZN5aiter20topk_softplus_kernelI6__halfS1_Dv2_fLb0ELi2EEEvPKT_PKT0_PfPimiiif
	.p2align	8
	.type	_ZN5aiter20topk_softplus_kernelI6__halfS1_Dv2_fLb0ELi2EEEvPKT_PKT0_PfPimiiif,@function
_ZN5aiter20topk_softplus_kernelI6__halfS1_Dv2_fLb0ELi2EEEvPKT_PKT0_PfPimiiif: ; @_ZN5aiter20topk_softplus_kernelI6__halfS1_Dv2_fLb0ELi2EEEvPKT_PKT0_PfPimiiif
; %bb.0:
	s_load_dwordx2 s[16:17], s[4:5], 0x28
	s_load_dwordx8 s[8:15], s[4:5], 0x0
	v_lshl_add_u32 v1, v0, 3, 0
	s_waitcnt lgkmcnt(0)
	s_lshr_b32 s0, s16, 31
	s_add_i32 s0, s16, s0
	s_mul_i32 s2, s6, s16
	s_ashr_i32 s7, s0, 1
	s_ashr_i32 s3, s2, 31
	v_cmp_gt_i32_e64 s[0:1], s7, v0
	s_and_saveexec_b64 s[18:19], s[0:1]
	s_cbranch_execz .LBB154_3
; %bb.1:
	s_load_dword s22, s[4:5], 0x44
	s_lshl_b64 s[20:21], s[2:3], 1
	v_lshlrev_b32_e32 v2, 2, v0
	s_mov_b32 s25, 0
	v_lshl_add_u32 v4, v0, 3, 0
	s_waitcnt lgkmcnt(0)
	s_and_b32 s22, s22, 0xffff
	s_add_u32 s20, s8, s20
	s_addc_u32 s21, s9, s21
	v_mov_b32_e32 v3, s21
	v_add_co_u32_e32 v2, vcc, s20, v2
	v_addc_co_u32_e32 v3, vcc, 0, v3, vcc
	s_lshl_b32 s23, s22, 2
	s_lshl_b32 s24, s22, 3
	s_mov_b64 s[20:21], 0
	v_mov_b32_e32 v5, s25
	v_mov_b32_e32 v6, v0
.LBB154_2:                              ; =>This Inner Loop Header: Depth=1
	global_load_dword v7, v[2:3], off
	v_add_co_u32_e32 v2, vcc, s23, v2
	v_add_u32_e32 v6, s22, v6
	v_addc_co_u32_e32 v3, vcc, v3, v5, vcc
	v_cmp_le_i32_e32 vcc, s7, v6
	s_or_b64 s[20:21], vcc, s[20:21]
	s_waitcnt vmcnt(0)
	v_cvt_f32_f16_sdwa v9, v7 dst_sel:DWORD dst_unused:UNUSED_PAD src0_sel:WORD_1
	v_cvt_f32_f16_e32 v8, v7
	ds_write_b64 v4, v[8:9]
	v_add_u32_e32 v4, s24, v4
	s_andn2_b64 exec, exec, s[20:21]
	s_cbranch_execnz .LBB154_2
.LBB154_3:
	s_or_b64 exec, exec, s[18:19]
	v_lshl_add_u32 v2, s7, 1, v0
	v_cmp_gt_i32_e32 vcc, s16, v2
	s_and_saveexec_b64 s[18:19], vcc
	s_cbranch_execz .LBB154_6
; %bb.4:
	s_load_dword s20, s[4:5], 0x44
	s_lshl_b64 s[2:3], s[2:3], 1
	s_add_u32 s8, s8, s2
	s_addc_u32 s21, s9, s3
	s_lshl_b32 s2, s7, 3
	s_waitcnt lgkmcnt(0)
	s_and_b32 s9, s20, 0xffff
	s_add_i32 s2, s2, 0
	v_lshl_add_u32 v4, v0, 2, s2
	s_lshl_b32 s20, s9, 2
	s_mov_b64 s[2:3], 0
	v_mov_b32_e32 v5, s21
.LBB154_5:                              ; =>This Inner Loop Header: Depth=1
	v_ashrrev_i32_e32 v3, 31, v2
	v_lshlrev_b64 v[6:7], 1, v[2:3]
	v_add_co_u32_e32 v6, vcc, s8, v6
	v_addc_co_u32_e32 v7, vcc, v5, v7, vcc
	global_load_ushort v3, v[6:7], off
	v_add_u32_e32 v2, s9, v2
	v_cmp_le_i32_e32 vcc, s16, v2
	s_or_b64 s[2:3], vcc, s[2:3]
	s_waitcnt vmcnt(0)
	v_cvt_f32_f16_e32 v3, v3
	ds_write_b32 v4, v3
	v_add_u32_e32 v4, s20, v4
	s_andn2_b64 exec, exec, s[2:3]
	s_cbranch_execnz .LBB154_5
.LBB154_6:
	s_or_b64 exec, exec, s[18:19]
	v_cmp_gt_i32_e32 vcc, s16, v0
	v_mov_b32_e32 v2, 0xff800000
	s_waitcnt lgkmcnt(0)
	s_barrier
	s_and_saveexec_b64 s[8:9], vcc
	s_cbranch_execz .LBB154_10
; %bb.7:
	s_load_dword s2, s[4:5], 0x44
	v_lshl_add_u32 v3, v0, 2, 0
	s_mov_b64 s[18:19], 0
	v_mov_b32_e32 v2, 0xff800000
	v_mov_b32_e32 v4, v0
	s_waitcnt lgkmcnt(0)
	s_and_b32 s20, s2, 0xffff
	s_lshl_b32 s21, s20, 2
.LBB154_8:                              ; =>This Inner Loop Header: Depth=1
	ds_read_b32 v5, v3
	v_add_u32_e32 v4, s20, v4
	v_max_f32_e32 v2, v2, v2
	v_cmp_le_i32_e64 s[2:3], s16, v4
	v_add_u32_e32 v3, s21, v3
	s_waitcnt lgkmcnt(0)
	v_max_f32_e32 v5, v5, v5
	s_or_b64 s[18:19], s[2:3], s[18:19]
	v_max_f32_e32 v2, v2, v5
	s_andn2_b64 exec, exec, s[18:19]
	s_cbranch_execnz .LBB154_8
; %bb.9:
	s_or_b64 exec, exec, s[18:19]
.LBB154_10:
	s_or_b64 exec, exec, s[8:9]
	;;#ASMSTART
	v_max_f32 v3, v2, v2 quad_perm:[1,0,3,2] row_mask:0xf bank_mask:0xf bound_ctrl:1
	;;#ASMEND
	;;#ASMSTART
	v_max_f32 v2, v3, v3 quad_perm:[2,3,0,1] row_mask:0xf bank_mask:0xf bound_ctrl:1
	;;#ASMEND
	;;#ASMSTART
	v_max_f32 v3, v2, v2 row_half_mirror row_mask:0xf bank_mask:0xf bound_ctrl:1
	;;#ASMEND
	;;#ASMSTART
	v_max_f32 v2, v3, v3 row_mirror row_mask:0xf bank_mask:0xf bound_ctrl:1
	;;#ASMEND
	;;#ASMSTART
	v_max_f32 v3, v2, v2 row_ror:4 row_mask:0xf bank_mask:0xf bound_ctrl:1
	;;#ASMEND
	;;#ASMSTART
	v_max_f32 v2, v3, v3 row_ror:8 row_mask:0xf bank_mask:0xf bound_ctrl:1
	;;#ASMEND
	;;#ASMSTART
	v_max_f32 v3, v2, v2 row_bcast:15 row_mask:0xf bank_mask:0xf bound_ctrl:1
	;;#ASMEND
	;;#ASMSTART
	v_max_f32 v2, v3, v3 row_bcast:31 row_mask:0xf bank_mask:0xf bound_ctrl:1
	;;#ASMEND
	v_mbcnt_lo_u32_b32 v3, -1, 0
	v_mbcnt_hi_u32_b32 v3, -1, v3
	v_bfrev_b32_e32 v4, 0.5
	v_lshl_or_b32 v4, v3, 2, v4
	ds_bpermute_b32 v3, v4, v2
	v_mov_b32_e32 v2, 0
	s_and_saveexec_b64 s[18:19], vcc
	s_cbranch_execz .LBB154_14
; %bb.11:
	s_load_dword s2, s[4:5], 0x44
	v_lshl_add_u32 v5, v0, 2, 0
	s_mov_b64 s[20:21], 0
	v_mov_b32_e32 v2, 0
	s_mov_b32 s22, 0xc2fc0000
	s_waitcnt lgkmcnt(0)
	s_and_b32 s23, s2, 0xffff
	s_lshl_b32 s24, s23, 2
	v_mov_b32_e32 v6, 0x42800000
	v_mov_b32_e32 v7, 0x1f800000
	;; [unrolled: 1-line block ×3, first 2 shown]
.LBB154_12:                             ; =>This Inner Loop Header: Depth=1
	ds_read_b32 v9, v5
	v_add_u32_e32 v8, s23, v8
	v_cmp_le_i32_e64 s[8:9], s16, v8
	s_or_b64 s[20:21], s[8:9], s[20:21]
	s_waitcnt lgkmcnt(0)
	v_sub_f32_e32 v9, v9, v3
	v_mul_f32_e32 v10, 0x3fb8aa3b, v9
	v_cmp_gt_f32_e64 s[2:3], s22, v10
	v_cndmask_b32_e64 v10, 0, v6, s[2:3]
	v_fmac_f32_e32 v10, 0x3fb8aa3b, v9
	v_exp_f32_e32 v9, v10
	v_cndmask_b32_e64 v10, 1.0, v7, s[2:3]
	v_mul_f32_e32 v11, v9, v10
	v_fmac_f32_e32 v2, v9, v10
	ds_write_b32 v5, v11
	v_add_u32_e32 v5, s24, v5
	s_andn2_b64 exec, exec, s[20:21]
	s_cbranch_execnz .LBB154_12
; %bb.13:
	s_or_b64 exec, exec, s[20:21]
.LBB154_14:
	s_or_b64 exec, exec, s[18:19]
	s_waitcnt lgkmcnt(0)
	v_mov_b32_dpp v3, v2 quad_perm:[1,0,3,2] row_mask:0xf bank_mask:0xf
	v_add_f32_e32 v2, v2, v3
	s_nop 1
	v_mov_b32_dpp v3, v2 quad_perm:[2,3,0,1] row_mask:0xf bank_mask:0xf
	v_add_f32_e32 v2, v2, v3
	s_nop 1
	v_mov_b32_dpp v3, v2 row_half_mirror row_mask:0xf bank_mask:0xf
	v_add_f32_e32 v2, v2, v3
	s_nop 1
	v_mov_b32_dpp v3, v2 row_mirror row_mask:0xf bank_mask:0xf
	v_add_f32_e32 v2, v2, v3
	s_nop 1
	v_mov_b32_dpp v3, v2 row_bcast:15 row_mask:0xf bank_mask:0xf
	v_add_f32_e32 v2, v2, v3
	s_nop 1
	v_mov_b32_dpp v3, v2 row_bcast:31 row_mask:0xf bank_mask:0xf
	v_add_f32_e32 v2, v2, v3
	ds_bpermute_b32 v2, v4, v2
	s_and_saveexec_b64 s[8:9], vcc
	s_cbranch_execz .LBB154_19
; %bb.15:
	s_load_dword s20, s[4:5], 0x44
	s_waitcnt lgkmcnt(0)
	v_rcp_f32_e32 v5, v2
	s_cmp_lg_u64 s[10:11], 0
	s_cselect_b64 s[2:3], -1, 0
	v_cndmask_b32_e64 v2, 0, 1, s[2:3]
	s_and_b32 s20, s20, 0xffff
	s_mov_b64 s[18:19], 0
	v_lshl_add_u32 v6, v0, 2, 0
	s_lshl_b32 s21, s20, 2
	v_cmp_ne_u32_e64 s[2:3], 1, v2
	v_mov_b32_e32 v2, v0
	s_branch .LBB154_17
.LBB154_16:                             ;   in Loop: Header=BB154_17 Depth=1
	v_add_u32_e32 v2, s20, v2
	v_cmp_le_i32_e32 vcc, s16, v2
	s_or_b64 s[18:19], vcc, s[18:19]
	v_add_u32_e32 v6, s21, v6
	s_andn2_b64 exec, exec, s[18:19]
	s_cbranch_execz .LBB154_19
.LBB154_17:                             ; =>This Inner Loop Header: Depth=1
	ds_read_b32 v3, v6
	s_and_b64 vcc, exec, s[2:3]
	s_waitcnt lgkmcnt(0)
	v_mul_f32_e32 v7, v5, v3
	ds_write_b32 v6, v7
	s_cbranch_vccnz .LBB154_16
; %bb.18:                               ;   in Loop: Header=BB154_17 Depth=1
	v_ashrrev_i32_e32 v3, 31, v2
	v_lshlrev_b64 v[8:9], 1, v[2:3]
	v_mov_b32_e32 v3, s11
	v_add_co_u32_e32 v8, vcc, s10, v8
	v_addc_co_u32_e32 v9, vcc, v3, v9, vcc
	global_load_ushort v3, v[8:9], off
	s_waitcnt vmcnt(0)
	v_cvt_f32_f16_e32 v3, v3
	v_add_f32_e32 v3, v7, v3
	ds_write_b32 v6, v3
	s_branch .LBB154_16
.LBB154_19:
	s_or_b64 exec, exec, s[8:9]
	s_cmp_lt_i32 s17, 1
	s_waitcnt lgkmcnt(0)
	s_barrier
	s_cbranch_scc1 .LBB154_28
; %bb.20:
	s_add_u32 s2, s4, 56
	s_addc_u32 s3, s5, 0
	s_cmp_lg_u64 s[10:11], 0
	s_cselect_b64 s[8:9], -1, 0
	v_lshlrev_b32_e32 v5, 1, v0
	s_mov_b32 s16, 0
	v_mov_b32_e32 v2, 0
	v_mov_b32_e32 v6, 0
	;; [unrolled: 1-line block ×4, first 2 shown]
	s_branch .LBB154_22
.LBB154_21:                             ;   in Loop: Header=BB154_22 Depth=1
	s_lshl_b32 s19, s18, 2
	s_add_i32 s19, s19, 0
	v_mov_b32_e32 v8, s19
	ds_write_b32 v8, v7
	v_mov_b32_e32 v8, s18
	v_cmp_eq_u32_e32 vcc, s16, v0
	s_add_i32 s16, s16, 1
	v_cndmask_b32_e32 v2, v2, v8, vcc
	s_cmp_eq_u32 s16, s17
	v_cndmask_b32_e32 v3, v3, v10, vcc
	s_cbranch_scc1 .LBB154_29
.LBB154_22:                             ; =>This Loop Header: Depth=1
                                        ;     Child Loop BB154_24 Depth 2
	v_mov_b32_e32 v8, s16
	v_mov_b32_e32 v9, 0xff800000
	s_and_saveexec_b64 s[18:19], s[0:1]
	s_cbranch_execz .LBB154_26
; %bb.23:                               ;   in Loop: Header=BB154_22 Depth=1
	s_load_dword s22, s[2:3], 0xc
	s_mov_b64 s[20:21], 0
	v_mov_b32_e32 v8, s16
	v_mov_b32_e32 v9, 0xff800000
	;; [unrolled: 1-line block ×3, first 2 shown]
	s_waitcnt lgkmcnt(0)
	s_and_b32 s22, s22, 0xffff
	s_lshl_b32 s23, s22, 1
	s_lshl_b32 s24, s22, 3
	v_mov_b32_e32 v11, v5
	v_mov_b32_e32 v12, v0
.LBB154_24:                             ;   Parent Loop BB154_22 Depth=1
                                        ; =>  This Inner Loop Header: Depth=2
	ds_read_b64 v[14:15], v10
	v_add_u32_e32 v12, s22, v12
	v_cmp_le_i32_e32 vcc, s7, v12
	s_or_b64 s[20:21], vcc, s[20:21]
	v_add_u32_e32 v13, 1, v11
	s_waitcnt lgkmcnt(0)
	v_cmp_gt_f32_e32 vcc, v14, v9
	v_cndmask_b32_e32 v9, v9, v14, vcc
	v_cndmask_b32_e32 v8, v8, v11, vcc
	v_cmp_gt_f32_e32 vcc, v15, v9
	v_add_u32_e32 v10, s24, v10
	v_cndmask_b32_e32 v9, v9, v15, vcc
	v_add_u32_e32 v11, s23, v11
	v_cndmask_b32_e32 v8, v8, v13, vcc
	s_andn2_b64 exec, exec, s[20:21]
	s_cbranch_execnz .LBB154_24
; %bb.25:                               ;   in Loop: Header=BB154_22 Depth=1
	s_or_b64 exec, exec, s[20:21]
.LBB154_26:                             ;   in Loop: Header=BB154_22 Depth=1
	s_or_b64 exec, exec, s[18:19]
	;;#ASMSTART
	v_max_f32 v10, v9, v9 quad_perm:[1,0,3,2] row_mask:0xf bank_mask:0xf bound_ctrl:1
	;;#ASMEND
	;;#ASMSTART
	v_max_f32 v11, v10, v10 quad_perm:[2,3,0,1] row_mask:0xf bank_mask:0xf bound_ctrl:1
	;;#ASMEND
	;;#ASMSTART
	v_max_f32 v10, v11, v11 row_half_mirror row_mask:0xf bank_mask:0xf bound_ctrl:1
	;;#ASMEND
	;;#ASMSTART
	v_max_f32 v11, v10, v10 row_mirror row_mask:0xf bank_mask:0xf bound_ctrl:1
	;;#ASMEND
	;;#ASMSTART
	v_max_f32 v10, v11, v11 row_ror:4 row_mask:0xf bank_mask:0xf bound_ctrl:1
	;;#ASMEND
	;;#ASMSTART
	v_max_f32 v11, v10, v10 row_ror:8 row_mask:0xf bank_mask:0xf bound_ctrl:1
	;;#ASMEND
	;;#ASMSTART
	v_max_f32 v10, v11, v11 row_bcast:15 row_mask:0xf bank_mask:0xf bound_ctrl:1
	;;#ASMEND
	;;#ASMSTART
	v_max_f32 v11, v10, v10 row_bcast:31 row_mask:0xf bank_mask:0xf bound_ctrl:1
	;;#ASMEND
	ds_bpermute_b32 v10, v4, v11
	s_waitcnt lgkmcnt(0)
	v_cmp_eq_f32_e32 vcc, v9, v10
	s_ff1_i32_b64 s18, vcc
	s_cmp_lg_u64 vcc, 0
	s_cselect_b32 s18, s18, 0
	s_and_b64 vcc, exec, s[8:9]
	v_readlane_b32 s18, v8, s18
	s_cbranch_vccz .LBB154_21
; %bb.27:                               ;   in Loop: Header=BB154_22 Depth=1
	s_ashr_i32 s19, s18, 31
	s_lshl_b64 s[20:21], s[18:19], 1
	s_add_u32 s20, s10, s20
	s_addc_u32 s21, s11, s21
	global_load_ushort v8, v6, s[20:21]
	s_waitcnt vmcnt(0)
	v_cvt_f32_f16_e32 v8, v8
	v_sub_f32_e32 v10, v10, v8
	s_branch .LBB154_21
.LBB154_28:
	v_mov_b32_e32 v3, 0
	v_mov_b32_e32 v2, 0
.LBB154_29:
	v_cmp_gt_i32_e32 vcc, s17, v0
	s_and_saveexec_b64 s[0:1], vcc
	s_cbranch_execz .LBB154_32
; %bb.30:
	s_load_dword s2, s[4:5], 0x34
	s_load_dwordx2 s[0:1], s[4:5], 0x20
	s_ashr_i32 s3, s6, 31
	s_load_dword s4, s[4:5], 0x44
	v_mov_b32_e32 v4, s13
	s_waitcnt lgkmcnt(0)
	v_mul_f32_e32 v1, s2, v3
	s_mul_i32 s1, s6, s1
	s_mul_hi_u32 s2, s6, s0
	s_add_i32 s1, s2, s1
	s_mul_i32 s3, s3, s0
	s_add_i32 s5, s1, s3
	s_mul_i32 s2, s6, s0
	s_and_b32 s3, s4, 0xffff
	s_mov_b64 s[0:1], 0
	v_mov_b32_e32 v3, s5
	v_mov_b32_e32 v5, s15
.LBB154_31:                             ; =>This Inner Loop Header: Depth=1
	v_ashrrev_i32_e32 v7, 31, v0
	v_add_co_u32_e32 v6, vcc, s2, v0
	v_addc_co_u32_e32 v7, vcc, v3, v7, vcc
	v_add_u32_e32 v0, s3, v0
	v_cmp_le_i32_e32 vcc, s17, v0
	v_lshlrev_b64 v[6:7], 2, v[6:7]
	s_or_b64 s[0:1], vcc, s[0:1]
	v_add_co_u32_e32 v8, vcc, s12, v6
	v_addc_co_u32_e32 v9, vcc, v4, v7, vcc
	v_add_co_u32_e32 v6, vcc, s14, v6
	v_addc_co_u32_e32 v7, vcc, v5, v7, vcc
	global_store_dword v[8:9], v1, off
	global_store_dword v[6:7], v2, off
	s_andn2_b64 exec, exec, s[0:1]
	s_cbranch_execnz .LBB154_31
.LBB154_32:
	s_endpgm
	.section	.rodata,"a",@progbits
	.p2align	6, 0x0
	.amdhsa_kernel _ZN5aiter20topk_softplus_kernelI6__halfS1_Dv2_fLb0ELi2EEEvPKT_PKT0_PfPimiiif
		.amdhsa_group_segment_fixed_size 0
		.amdhsa_private_segment_fixed_size 0
		.amdhsa_kernarg_size 312
		.amdhsa_user_sgpr_count 6
		.amdhsa_user_sgpr_private_segment_buffer 1
		.amdhsa_user_sgpr_dispatch_ptr 0
		.amdhsa_user_sgpr_queue_ptr 0
		.amdhsa_user_sgpr_kernarg_segment_ptr 1
		.amdhsa_user_sgpr_dispatch_id 0
		.amdhsa_user_sgpr_flat_scratch_init 0
		.amdhsa_user_sgpr_kernarg_preload_length 0
		.amdhsa_user_sgpr_kernarg_preload_offset 0
		.amdhsa_user_sgpr_private_segment_size 0
		.amdhsa_uses_dynamic_stack 0
		.amdhsa_system_sgpr_private_segment_wavefront_offset 0
		.amdhsa_system_sgpr_workgroup_id_x 1
		.amdhsa_system_sgpr_workgroup_id_y 0
		.amdhsa_system_sgpr_workgroup_id_z 0
		.amdhsa_system_sgpr_workgroup_info 0
		.amdhsa_system_vgpr_workitem_id 0
		.amdhsa_next_free_vgpr 16
		.amdhsa_next_free_sgpr 26
		.amdhsa_accum_offset 16
		.amdhsa_reserve_vcc 1
		.amdhsa_reserve_flat_scratch 0
		.amdhsa_float_round_mode_32 0
		.amdhsa_float_round_mode_16_64 0
		.amdhsa_float_denorm_mode_32 3
		.amdhsa_float_denorm_mode_16_64 3
		.amdhsa_dx10_clamp 1
		.amdhsa_ieee_mode 1
		.amdhsa_fp16_overflow 0
		.amdhsa_tg_split 0
		.amdhsa_exception_fp_ieee_invalid_op 0
		.amdhsa_exception_fp_denorm_src 0
		.amdhsa_exception_fp_ieee_div_zero 0
		.amdhsa_exception_fp_ieee_overflow 0
		.amdhsa_exception_fp_ieee_underflow 0
		.amdhsa_exception_fp_ieee_inexact 0
		.amdhsa_exception_int_div_zero 0
	.end_amdhsa_kernel
	.section	.text._ZN5aiter20topk_softplus_kernelI6__halfS1_Dv2_fLb0ELi2EEEvPKT_PKT0_PfPimiiif,"axG",@progbits,_ZN5aiter20topk_softplus_kernelI6__halfS1_Dv2_fLb0ELi2EEEvPKT_PKT0_PfPimiiif,comdat
.Lfunc_end154:
	.size	_ZN5aiter20topk_softplus_kernelI6__halfS1_Dv2_fLb0ELi2EEEvPKT_PKT0_PfPimiiif, .Lfunc_end154-_ZN5aiter20topk_softplus_kernelI6__halfS1_Dv2_fLb0ELi2EEEvPKT_PKT0_PfPimiiif
                                        ; -- End function
	.section	.AMDGPU.csdata,"",@progbits
; Kernel info:
; codeLenInByte = 1684
; NumSgprs: 30
; NumVgprs: 16
; NumAgprs: 0
; TotalNumVgprs: 16
; ScratchSize: 0
; MemoryBound: 0
; FloatMode: 240
; IeeeMode: 1
; LDSByteSize: 0 bytes/workgroup (compile time only)
; SGPRBlocks: 3
; VGPRBlocks: 1
; NumSGPRsForWavesPerEU: 30
; NumVGPRsForWavesPerEU: 16
; AccumOffset: 16
; Occupancy: 8
; WaveLimiterHint : 0
; COMPUTE_PGM_RSRC2:SCRATCH_EN: 0
; COMPUTE_PGM_RSRC2:USER_SGPR: 6
; COMPUTE_PGM_RSRC2:TRAP_HANDLER: 0
; COMPUTE_PGM_RSRC2:TGID_X_EN: 1
; COMPUTE_PGM_RSRC2:TGID_Y_EN: 0
; COMPUTE_PGM_RSRC2:TGID_Z_EN: 0
; COMPUTE_PGM_RSRC2:TIDIG_COMP_CNT: 0
; COMPUTE_PGM_RSRC3_GFX90A:ACCUM_OFFSET: 3
; COMPUTE_PGM_RSRC3_GFX90A:TG_SPLIT: 0
	.section	.text._ZN5aiter20topk_softplus_kernelI6__halfS1_Dv1_fLb1ELi2EEEvPKT_PKT0_PfPimiiif,"axG",@progbits,_ZN5aiter20topk_softplus_kernelI6__halfS1_Dv1_fLb1ELi2EEEvPKT_PKT0_PfPimiiif,comdat
	.protected	_ZN5aiter20topk_softplus_kernelI6__halfS1_Dv1_fLb1ELi2EEEvPKT_PKT0_PfPimiiif ; -- Begin function _ZN5aiter20topk_softplus_kernelI6__halfS1_Dv1_fLb1ELi2EEEvPKT_PKT0_PfPimiiif
	.globl	_ZN5aiter20topk_softplus_kernelI6__halfS1_Dv1_fLb1ELi2EEEvPKT_PKT0_PfPimiiif
	.p2align	8
	.type	_ZN5aiter20topk_softplus_kernelI6__halfS1_Dv1_fLb1ELi2EEEvPKT_PKT0_PfPimiiif,@function
_ZN5aiter20topk_softplus_kernelI6__halfS1_Dv1_fLb1ELi2EEEvPKT_PKT0_PfPimiiif: ; @_ZN5aiter20topk_softplus_kernelI6__halfS1_Dv1_fLb1ELi2EEEvPKT_PKT0_PfPimiiif
; %bb.0:
	s_load_dwordx2 s[16:17], s[4:5], 0x28
	s_load_dwordx8 s[8:15], s[4:5], 0x0
	v_lshl_add_u32 v1, v0, 2, 0
	s_waitcnt lgkmcnt(0)
	s_mul_i32 s2, s6, s16
	s_ashr_i32 s3, s2, 31
	s_lshl_b64 s[2:3], s[2:3], 1
	s_add_u32 s7, s8, s2
	v_cmp_gt_i32_e64 s[0:1], s16, v0
	s_addc_u32 s18, s9, s3
	s_and_saveexec_b64 s[2:3], s[0:1]
	s_cbranch_execz .LBB155_3
; %bb.1:
	s_load_dword s19, s[4:5], 0x44
	v_lshl_add_u32 v4, v0, 2, 0
	s_mov_b64 s[8:9], 0
	v_mov_b32_e32 v5, s18
	v_mov_b32_e32 v2, v0
	s_waitcnt lgkmcnt(0)
	s_and_b32 s19, s19, 0xffff
	s_lshl_b32 s20, s19, 2
.LBB155_2:                              ; =>This Inner Loop Header: Depth=1
	v_ashrrev_i32_e32 v3, 31, v2
	v_lshlrev_b64 v[6:7], 1, v[2:3]
	v_add_co_u32_e32 v6, vcc, s7, v6
	v_addc_co_u32_e32 v7, vcc, v5, v7, vcc
	global_load_ushort v3, v[6:7], off
	v_add_u32_e32 v2, s19, v2
	v_cmp_le_i32_e32 vcc, s16, v2
	s_or_b64 s[8:9], vcc, s[8:9]
	s_waitcnt vmcnt(0)
	v_cvt_f32_f16_e32 v3, v3
	ds_write_b32 v4, v3
	v_add_u32_e32 v4, s20, v4
	s_andn2_b64 exec, exec, s[8:9]
	s_cbranch_execnz .LBB155_2
.LBB155_3:
	s_or_b64 exec, exec, s[2:3]
	v_add_u32_e32 v2, s16, v0
	v_cmp_gt_i32_e32 vcc, s16, v2
	s_and_saveexec_b64 s[2:3], vcc
	s_cbranch_execz .LBB155_6
; %bb.4:
	s_load_dword s19, s[4:5], 0x44
	v_lshl_add_u32 v4, v2, 2, 0
	s_mov_b64 s[8:9], 0
	v_mov_b32_e32 v5, s18
	s_waitcnt lgkmcnt(0)
	s_and_b32 s19, s19, 0xffff
	s_lshl_b32 s20, s19, 2
.LBB155_5:                              ; =>This Inner Loop Header: Depth=1
	v_ashrrev_i32_e32 v3, 31, v2
	v_lshlrev_b64 v[6:7], 1, v[2:3]
	v_add_co_u32_e32 v6, vcc, s7, v6
	v_addc_co_u32_e32 v7, vcc, v5, v7, vcc
	global_load_ushort v3, v[6:7], off
	v_add_u32_e32 v2, s19, v2
	v_cmp_le_i32_e32 vcc, s16, v2
	s_or_b64 s[8:9], vcc, s[8:9]
	s_waitcnt vmcnt(0)
	v_cvt_f32_f16_e32 v3, v3
	ds_write_b32 v4, v3
	v_add_u32_e32 v4, s20, v4
	s_andn2_b64 exec, exec, s[8:9]
	s_cbranch_execnz .LBB155_5
.LBB155_6:
	s_or_b64 exec, exec, s[2:3]
	v_mov_b32_e32 v2, 0xff800000
	s_waitcnt lgkmcnt(0)
	s_barrier
	s_and_saveexec_b64 s[2:3], s[0:1]
	s_cbranch_execz .LBB155_10
; %bb.7:
	s_load_dword s7, s[4:5], 0x44
	v_lshl_add_u32 v3, v0, 2, 0
	s_mov_b64 s[8:9], 0
	v_mov_b32_e32 v2, 0xff800000
	v_mov_b32_e32 v4, v0
	s_waitcnt lgkmcnt(0)
	s_and_b32 s7, s7, 0xffff
	s_lshl_b32 s18, s7, 2
.LBB155_8:                              ; =>This Inner Loop Header: Depth=1
	ds_read_b32 v5, v3
	v_add_u32_e32 v4, s7, v4
	v_max_f32_e32 v2, v2, v2
	v_cmp_le_i32_e32 vcc, s16, v4
	v_add_u32_e32 v3, s18, v3
	s_waitcnt lgkmcnt(0)
	v_max_f32_e32 v5, v5, v5
	s_or_b64 s[8:9], vcc, s[8:9]
	v_max_f32_e32 v2, v2, v5
	s_andn2_b64 exec, exec, s[8:9]
	s_cbranch_execnz .LBB155_8
; %bb.9:
	s_or_b64 exec, exec, s[8:9]
.LBB155_10:
	s_or_b64 exec, exec, s[2:3]
	;;#ASMSTART
	v_max_f32 v3, v2, v2 quad_perm:[1,0,3,2] row_mask:0xf bank_mask:0xf bound_ctrl:1
	;;#ASMEND
	;;#ASMSTART
	v_max_f32 v2, v3, v3 quad_perm:[2,3,0,1] row_mask:0xf bank_mask:0xf bound_ctrl:1
	;;#ASMEND
	;;#ASMSTART
	v_max_f32 v3, v2, v2 row_half_mirror row_mask:0xf bank_mask:0xf bound_ctrl:1
	;;#ASMEND
	;;#ASMSTART
	v_max_f32 v2, v3, v3 row_mirror row_mask:0xf bank_mask:0xf bound_ctrl:1
	;;#ASMEND
	;;#ASMSTART
	v_max_f32 v3, v2, v2 row_ror:4 row_mask:0xf bank_mask:0xf bound_ctrl:1
	;;#ASMEND
	;;#ASMSTART
	v_max_f32 v2, v3, v3 row_ror:8 row_mask:0xf bank_mask:0xf bound_ctrl:1
	;;#ASMEND
	;;#ASMSTART
	v_max_f32 v3, v2, v2 row_bcast:15 row_mask:0xf bank_mask:0xf bound_ctrl:1
	;;#ASMEND
	;;#ASMSTART
	v_max_f32 v2, v3, v3 row_bcast:31 row_mask:0xf bank_mask:0xf bound_ctrl:1
	;;#ASMEND
	v_mbcnt_lo_u32_b32 v3, -1, 0
	v_mbcnt_hi_u32_b32 v3, -1, v3
	v_bfrev_b32_e32 v4, 0.5
	v_lshl_or_b32 v4, v3, 2, v4
	ds_bpermute_b32 v3, v4, v2
	v_mov_b32_e32 v2, 0
	s_and_saveexec_b64 s[8:9], s[0:1]
	s_cbranch_execz .LBB155_14
; %bb.11:
	s_load_dword s2, s[4:5], 0x44
	v_lshl_add_u32 v5, v0, 2, 0
	s_mov_b64 s[18:19], 0
	v_mov_b32_e32 v2, 0
	s_mov_b32 s7, 0xc2fc0000
	s_waitcnt lgkmcnt(0)
	s_and_b32 s20, s2, 0xffff
	s_lshl_b32 s21, s20, 2
	v_mov_b32_e32 v6, 0x42800000
	v_mov_b32_e32 v7, 0x1f800000
	;; [unrolled: 1-line block ×3, first 2 shown]
.LBB155_12:                             ; =>This Inner Loop Header: Depth=1
	ds_read_b32 v9, v5
	v_add_u32_e32 v8, s20, v8
	v_cmp_le_i32_e64 s[2:3], s16, v8
	s_or_b64 s[18:19], s[2:3], s[18:19]
	s_waitcnt lgkmcnt(0)
	v_sub_f32_e32 v9, v9, v3
	v_mul_f32_e32 v10, 0x3fb8aa3b, v9
	v_cmp_gt_f32_e32 vcc, s7, v10
	v_cndmask_b32_e32 v10, 0, v6, vcc
	v_fmac_f32_e32 v10, 0x3fb8aa3b, v9
	v_exp_f32_e32 v9, v10
	v_cndmask_b32_e32 v10, 1.0, v7, vcc
	v_mul_f32_e32 v11, v9, v10
	v_fmac_f32_e32 v2, v9, v10
	ds_write_b32 v5, v11
	v_add_u32_e32 v5, s21, v5
	s_andn2_b64 exec, exec, s[18:19]
	s_cbranch_execnz .LBB155_12
; %bb.13:
	s_or_b64 exec, exec, s[18:19]
.LBB155_14:
	s_or_b64 exec, exec, s[8:9]
	s_waitcnt lgkmcnt(0)
	v_mov_b32_dpp v3, v2 quad_perm:[1,0,3,2] row_mask:0xf bank_mask:0xf
	v_add_f32_e32 v2, v2, v3
	s_nop 1
	v_mov_b32_dpp v3, v2 quad_perm:[2,3,0,1] row_mask:0xf bank_mask:0xf
	v_add_f32_e32 v2, v2, v3
	s_nop 1
	v_mov_b32_dpp v3, v2 row_half_mirror row_mask:0xf bank_mask:0xf
	v_add_f32_e32 v2, v2, v3
	s_nop 1
	v_mov_b32_dpp v3, v2 row_mirror row_mask:0xf bank_mask:0xf
	v_add_f32_e32 v2, v2, v3
	s_nop 1
	v_mov_b32_dpp v3, v2 row_bcast:15 row_mask:0xf bank_mask:0xf
	v_add_f32_e32 v2, v2, v3
	s_nop 1
	v_mov_b32_dpp v3, v2 row_bcast:31 row_mask:0xf bank_mask:0xf
	v_add_f32_e32 v2, v2, v3
	ds_bpermute_b32 v2, v4, v2
	s_and_saveexec_b64 s[8:9], s[0:1]
	s_cbranch_execz .LBB155_19
; %bb.15:
	s_load_dword s7, s[4:5], 0x44
	s_waitcnt lgkmcnt(0)
	v_rcp_f32_e32 v5, v2
	s_cmp_lg_u64 s[10:11], 0
	s_cselect_b64 s[2:3], -1, 0
	v_cndmask_b32_e64 v2, 0, 1, s[2:3]
	s_and_b32 s7, s7, 0xffff
	s_mov_b64 s[18:19], 0
	v_lshl_add_u32 v6, v0, 2, 0
	s_lshl_b32 s20, s7, 2
	v_cmp_ne_u32_e64 s[2:3], 1, v2
	v_mov_b32_e32 v2, v0
	s_branch .LBB155_17
.LBB155_16:                             ;   in Loop: Header=BB155_17 Depth=1
	v_add_u32_e32 v2, s7, v2
	v_cmp_le_i32_e32 vcc, s16, v2
	s_or_b64 s[18:19], vcc, s[18:19]
	v_add_u32_e32 v6, s20, v6
	s_andn2_b64 exec, exec, s[18:19]
	s_cbranch_execz .LBB155_19
.LBB155_17:                             ; =>This Inner Loop Header: Depth=1
	ds_read_b32 v3, v6
	s_and_b64 vcc, exec, s[2:3]
	s_waitcnt lgkmcnt(0)
	v_mul_f32_e32 v7, v5, v3
	ds_write_b32 v6, v7
	s_cbranch_vccnz .LBB155_16
; %bb.18:                               ;   in Loop: Header=BB155_17 Depth=1
	v_ashrrev_i32_e32 v3, 31, v2
	v_lshlrev_b64 v[8:9], 1, v[2:3]
	v_mov_b32_e32 v3, s11
	v_add_co_u32_e32 v8, vcc, s10, v8
	v_addc_co_u32_e32 v9, vcc, v3, v9, vcc
	global_load_ushort v3, v[8:9], off
	s_waitcnt vmcnt(0)
	v_cvt_f32_f16_e32 v3, v3
	v_add_f32_e32 v3, v7, v3
	ds_write_b32 v6, v3
	s_branch .LBB155_16
.LBB155_19:
	s_or_b64 exec, exec, s[8:9]
	s_cmp_lt_i32 s17, 1
	v_mov_b32_e32 v3, 0
	s_waitcnt lgkmcnt(0)
	s_barrier
	s_cbranch_scc1 .LBB155_28
; %bb.20:
	s_add_u32 s2, s4, 56
	s_addc_u32 s3, s5, 0
	s_cmp_lg_u64 s[10:11], 0
	s_cselect_b64 s[8:9], -1, 0
	s_mov_b32 s7, 0
	v_mov_b32_e32 v3, 0
	v_mov_b32_e32 v6, 0
	;; [unrolled: 1-line block ×5, first 2 shown]
	s_branch .LBB155_22
.LBB155_21:                             ;   in Loop: Header=BB155_22 Depth=1
	s_lshl_b32 s19, s18, 2
	s_add_i32 s19, s19, 0
	v_mov_b32_e32 v8, s19
	ds_write_b32 v8, v7
	v_mov_b32_e32 v8, s18
	v_cmp_eq_u32_e32 vcc, s7, v0
	s_add_i32 s7, s7, 1
	v_cndmask_b32_e32 v2, v2, v8, vcc
	v_cndmask_b32_e32 v3, v3, v10, vcc
	s_cmp_eq_u32 s7, s17
	v_add_f32_e32 v5, v5, v10
	s_cbranch_scc1 .LBB155_29
.LBB155_22:                             ; =>This Loop Header: Depth=1
                                        ;     Child Loop BB155_24 Depth 2
	v_mov_b32_e32 v8, s7
	v_mov_b32_e32 v9, 0xff800000
	s_and_saveexec_b64 s[18:19], s[0:1]
	s_cbranch_execz .LBB155_26
; %bb.23:                               ;   in Loop: Header=BB155_22 Depth=1
	s_load_dword s22, s[2:3], 0xc
	s_mov_b64 s[20:21], 0
	v_mov_b32_e32 v8, s7
	v_mov_b32_e32 v9, 0xff800000
	;; [unrolled: 1-line block ×3, first 2 shown]
	s_waitcnt lgkmcnt(0)
	s_and_b32 s22, s22, 0xffff
	s_lshl_b32 s23, s22, 2
	v_mov_b32_e32 v11, v0
.LBB155_24:                             ;   Parent Loop BB155_22 Depth=1
                                        ; =>  This Inner Loop Header: Depth=2
	ds_read_b32 v12, v10
	v_add_u32_e32 v10, s23, v10
	s_waitcnt lgkmcnt(0)
	v_cmp_gt_f32_e32 vcc, v12, v9
	v_cndmask_b32_e32 v8, v8, v11, vcc
	v_add_u32_e32 v11, s22, v11
	v_cndmask_b32_e32 v9, v9, v12, vcc
	v_cmp_le_i32_e32 vcc, s16, v11
	s_or_b64 s[20:21], vcc, s[20:21]
	s_andn2_b64 exec, exec, s[20:21]
	s_cbranch_execnz .LBB155_24
; %bb.25:                               ;   in Loop: Header=BB155_22 Depth=1
	s_or_b64 exec, exec, s[20:21]
.LBB155_26:                             ;   in Loop: Header=BB155_22 Depth=1
	s_or_b64 exec, exec, s[18:19]
	;;#ASMSTART
	v_max_f32 v10, v9, v9 quad_perm:[1,0,3,2] row_mask:0xf bank_mask:0xf bound_ctrl:1
	;;#ASMEND
	;;#ASMSTART
	v_max_f32 v11, v10, v10 quad_perm:[2,3,0,1] row_mask:0xf bank_mask:0xf bound_ctrl:1
	;;#ASMEND
	;;#ASMSTART
	v_max_f32 v10, v11, v11 row_half_mirror row_mask:0xf bank_mask:0xf bound_ctrl:1
	;;#ASMEND
	;;#ASMSTART
	v_max_f32 v11, v10, v10 row_mirror row_mask:0xf bank_mask:0xf bound_ctrl:1
	;;#ASMEND
	;;#ASMSTART
	v_max_f32 v10, v11, v11 row_ror:4 row_mask:0xf bank_mask:0xf bound_ctrl:1
	;;#ASMEND
	;;#ASMSTART
	v_max_f32 v11, v10, v10 row_ror:8 row_mask:0xf bank_mask:0xf bound_ctrl:1
	;;#ASMEND
	;;#ASMSTART
	v_max_f32 v10, v11, v11 row_bcast:15 row_mask:0xf bank_mask:0xf bound_ctrl:1
	;;#ASMEND
	;;#ASMSTART
	v_max_f32 v11, v10, v10 row_bcast:31 row_mask:0xf bank_mask:0xf bound_ctrl:1
	;;#ASMEND
	ds_bpermute_b32 v10, v4, v11
	s_waitcnt lgkmcnt(0)
	v_cmp_eq_f32_e32 vcc, v9, v10
	s_ff1_i32_b64 s18, vcc
	s_cmp_lg_u64 vcc, 0
	s_cselect_b32 s18, s18, 0
	s_and_b64 vcc, exec, s[8:9]
	v_readlane_b32 s18, v8, s18
	s_cbranch_vccz .LBB155_21
; %bb.27:                               ;   in Loop: Header=BB155_22 Depth=1
	s_ashr_i32 s19, s18, 31
	s_lshl_b64 s[20:21], s[18:19], 1
	s_add_u32 s20, s10, s20
	s_addc_u32 s21, s11, s21
	global_load_ushort v8, v6, s[20:21]
	s_waitcnt vmcnt(0)
	v_cvt_f32_f16_e32 v8, v8
	v_sub_f32_e32 v10, v10, v8
	s_branch .LBB155_21
.LBB155_28:
	v_mov_b32_e32 v2, 0
	v_mov_b32_e32 v5, 0
.LBB155_29:
	v_cmp_gt_i32_e32 vcc, s17, v0
	s_and_saveexec_b64 s[0:1], vcc
	s_cbranch_execz .LBB155_32
; %bb.30:
	s_load_dword s2, s[4:5], 0x34
	v_max_f32_e32 v1, v5, v5
	v_max_f32_e32 v1, 0x1e3ce508, v1
	s_load_dword s3, s[4:5], 0x44
	s_waitcnt lgkmcnt(0)
	v_div_scale_f32 v4, s[0:1], v1, v1, s2
	s_load_dwordx2 s[0:1], s[4:5], 0x20
	v_rcp_f32_e32 v5, v4
	v_div_scale_f32 v6, vcc, s2, v1, s2
	s_and_b32 s3, s3, 0xffff
	v_fma_f32 v7, -v4, v5, 1.0
	v_fmac_f32_e32 v5, v7, v5
	v_mul_f32_e32 v7, v6, v5
	v_fma_f32 v8, -v4, v7, v6
	v_fmac_f32_e32 v7, v8, v5
	v_fma_f32 v4, -v4, v7, v6
	v_div_fmas_f32 v4, v4, v5, v7
	v_div_fixup_f32 v1, v4, v1, s2
	s_ashr_i32 s2, s6, 31
	s_waitcnt lgkmcnt(0)
	s_mul_i32 s1, s6, s1
	s_mul_hi_u32 s4, s6, s0
	s_add_i32 s1, s4, s1
	s_mul_i32 s2, s2, s0
	s_add_i32 s4, s1, s2
	v_mul_f32_e32 v1, v3, v1
	s_mul_i32 s2, s6, s0
	s_mov_b64 s[0:1], 0
	v_mov_b32_e32 v3, s4
	v_mov_b32_e32 v4, s13
	;; [unrolled: 1-line block ×3, first 2 shown]
.LBB155_31:                             ; =>This Inner Loop Header: Depth=1
	v_ashrrev_i32_e32 v7, 31, v0
	v_add_co_u32_e32 v6, vcc, s2, v0
	v_addc_co_u32_e32 v7, vcc, v3, v7, vcc
	v_add_u32_e32 v0, s3, v0
	v_cmp_le_i32_e32 vcc, s17, v0
	v_lshlrev_b64 v[6:7], 2, v[6:7]
	s_or_b64 s[0:1], vcc, s[0:1]
	v_add_co_u32_e32 v8, vcc, s12, v6
	v_addc_co_u32_e32 v9, vcc, v4, v7, vcc
	v_add_co_u32_e32 v6, vcc, s14, v6
	v_addc_co_u32_e32 v7, vcc, v5, v7, vcc
	global_store_dword v[8:9], v1, off
	global_store_dword v[6:7], v2, off
	s_andn2_b64 exec, exec, s[0:1]
	s_cbranch_execnz .LBB155_31
.LBB155_32:
	s_endpgm
	.section	.rodata,"a",@progbits
	.p2align	6, 0x0
	.amdhsa_kernel _ZN5aiter20topk_softplus_kernelI6__halfS1_Dv1_fLb1ELi2EEEvPKT_PKT0_PfPimiiif
		.amdhsa_group_segment_fixed_size 0
		.amdhsa_private_segment_fixed_size 0
		.amdhsa_kernarg_size 312
		.amdhsa_user_sgpr_count 6
		.amdhsa_user_sgpr_private_segment_buffer 1
		.amdhsa_user_sgpr_dispatch_ptr 0
		.amdhsa_user_sgpr_queue_ptr 0
		.amdhsa_user_sgpr_kernarg_segment_ptr 1
		.amdhsa_user_sgpr_dispatch_id 0
		.amdhsa_user_sgpr_flat_scratch_init 0
		.amdhsa_user_sgpr_kernarg_preload_length 0
		.amdhsa_user_sgpr_kernarg_preload_offset 0
		.amdhsa_user_sgpr_private_segment_size 0
		.amdhsa_uses_dynamic_stack 0
		.amdhsa_system_sgpr_private_segment_wavefront_offset 0
		.amdhsa_system_sgpr_workgroup_id_x 1
		.amdhsa_system_sgpr_workgroup_id_y 0
		.amdhsa_system_sgpr_workgroup_id_z 0
		.amdhsa_system_sgpr_workgroup_info 0
		.amdhsa_system_vgpr_workitem_id 0
		.amdhsa_next_free_vgpr 13
		.amdhsa_next_free_sgpr 24
		.amdhsa_accum_offset 16
		.amdhsa_reserve_vcc 1
		.amdhsa_reserve_flat_scratch 0
		.amdhsa_float_round_mode_32 0
		.amdhsa_float_round_mode_16_64 0
		.amdhsa_float_denorm_mode_32 3
		.amdhsa_float_denorm_mode_16_64 3
		.amdhsa_dx10_clamp 1
		.amdhsa_ieee_mode 1
		.amdhsa_fp16_overflow 0
		.amdhsa_tg_split 0
		.amdhsa_exception_fp_ieee_invalid_op 0
		.amdhsa_exception_fp_denorm_src 0
		.amdhsa_exception_fp_ieee_div_zero 0
		.amdhsa_exception_fp_ieee_overflow 0
		.amdhsa_exception_fp_ieee_underflow 0
		.amdhsa_exception_fp_ieee_inexact 0
		.amdhsa_exception_int_div_zero 0
	.end_amdhsa_kernel
	.section	.text._ZN5aiter20topk_softplus_kernelI6__halfS1_Dv1_fLb1ELi2EEEvPKT_PKT0_PfPimiiif,"axG",@progbits,_ZN5aiter20topk_softplus_kernelI6__halfS1_Dv1_fLb1ELi2EEEvPKT_PKT0_PfPimiiif,comdat
.Lfunc_end155:
	.size	_ZN5aiter20topk_softplus_kernelI6__halfS1_Dv1_fLb1ELi2EEEvPKT_PKT0_PfPimiiif, .Lfunc_end155-_ZN5aiter20topk_softplus_kernelI6__halfS1_Dv1_fLb1ELi2EEEvPKT_PKT0_PfPimiiif
                                        ; -- End function
	.section	.AMDGPU.csdata,"",@progbits
; Kernel info:
; codeLenInByte = 1676
; NumSgprs: 28
; NumVgprs: 13
; NumAgprs: 0
; TotalNumVgprs: 13
; ScratchSize: 0
; MemoryBound: 0
; FloatMode: 240
; IeeeMode: 1
; LDSByteSize: 0 bytes/workgroup (compile time only)
; SGPRBlocks: 3
; VGPRBlocks: 1
; NumSGPRsForWavesPerEU: 28
; NumVGPRsForWavesPerEU: 13
; AccumOffset: 16
; Occupancy: 8
; WaveLimiterHint : 0
; COMPUTE_PGM_RSRC2:SCRATCH_EN: 0
; COMPUTE_PGM_RSRC2:USER_SGPR: 6
; COMPUTE_PGM_RSRC2:TRAP_HANDLER: 0
; COMPUTE_PGM_RSRC2:TGID_X_EN: 1
; COMPUTE_PGM_RSRC2:TGID_Y_EN: 0
; COMPUTE_PGM_RSRC2:TGID_Z_EN: 0
; COMPUTE_PGM_RSRC2:TIDIG_COMP_CNT: 0
; COMPUTE_PGM_RSRC3_GFX90A:ACCUM_OFFSET: 3
; COMPUTE_PGM_RSRC3_GFX90A:TG_SPLIT: 0
	.section	.text._ZN5aiter20topk_softplus_kernelI6__halfS1_Dv1_fLb0ELi2EEEvPKT_PKT0_PfPimiiif,"axG",@progbits,_ZN5aiter20topk_softplus_kernelI6__halfS1_Dv1_fLb0ELi2EEEvPKT_PKT0_PfPimiiif,comdat
	.protected	_ZN5aiter20topk_softplus_kernelI6__halfS1_Dv1_fLb0ELi2EEEvPKT_PKT0_PfPimiiif ; -- Begin function _ZN5aiter20topk_softplus_kernelI6__halfS1_Dv1_fLb0ELi2EEEvPKT_PKT0_PfPimiiif
	.globl	_ZN5aiter20topk_softplus_kernelI6__halfS1_Dv1_fLb0ELi2EEEvPKT_PKT0_PfPimiiif
	.p2align	8
	.type	_ZN5aiter20topk_softplus_kernelI6__halfS1_Dv1_fLb0ELi2EEEvPKT_PKT0_PfPimiiif,@function
_ZN5aiter20topk_softplus_kernelI6__halfS1_Dv1_fLb0ELi2EEEvPKT_PKT0_PfPimiiif: ; @_ZN5aiter20topk_softplus_kernelI6__halfS1_Dv1_fLb0ELi2EEEvPKT_PKT0_PfPimiiif
; %bb.0:
	s_load_dwordx2 s[16:17], s[4:5], 0x28
	s_load_dwordx8 s[8:15], s[4:5], 0x0
	v_lshl_add_u32 v1, v0, 2, 0
	s_waitcnt lgkmcnt(0)
	s_mul_i32 s2, s6, s16
	s_ashr_i32 s3, s2, 31
	s_lshl_b64 s[2:3], s[2:3], 1
	s_add_u32 s7, s8, s2
	v_cmp_gt_i32_e64 s[0:1], s16, v0
	s_addc_u32 s18, s9, s3
	s_and_saveexec_b64 s[2:3], s[0:1]
	s_cbranch_execz .LBB156_3
; %bb.1:
	s_load_dword s19, s[4:5], 0x44
	v_lshl_add_u32 v4, v0, 2, 0
	s_mov_b64 s[8:9], 0
	v_mov_b32_e32 v5, s18
	v_mov_b32_e32 v2, v0
	s_waitcnt lgkmcnt(0)
	s_and_b32 s19, s19, 0xffff
	s_lshl_b32 s20, s19, 2
.LBB156_2:                              ; =>This Inner Loop Header: Depth=1
	v_ashrrev_i32_e32 v3, 31, v2
	v_lshlrev_b64 v[6:7], 1, v[2:3]
	v_add_co_u32_e32 v6, vcc, s7, v6
	v_addc_co_u32_e32 v7, vcc, v5, v7, vcc
	global_load_ushort v3, v[6:7], off
	v_add_u32_e32 v2, s19, v2
	v_cmp_le_i32_e32 vcc, s16, v2
	s_or_b64 s[8:9], vcc, s[8:9]
	s_waitcnt vmcnt(0)
	v_cvt_f32_f16_e32 v3, v3
	ds_write_b32 v4, v3
	v_add_u32_e32 v4, s20, v4
	s_andn2_b64 exec, exec, s[8:9]
	s_cbranch_execnz .LBB156_2
.LBB156_3:
	s_or_b64 exec, exec, s[2:3]
	v_add_u32_e32 v2, s16, v0
	v_cmp_gt_i32_e32 vcc, s16, v2
	s_and_saveexec_b64 s[2:3], vcc
	s_cbranch_execz .LBB156_6
; %bb.4:
	s_load_dword s19, s[4:5], 0x44
	v_lshl_add_u32 v4, v2, 2, 0
	s_mov_b64 s[8:9], 0
	v_mov_b32_e32 v5, s18
	s_waitcnt lgkmcnt(0)
	s_and_b32 s19, s19, 0xffff
	s_lshl_b32 s20, s19, 2
.LBB156_5:                              ; =>This Inner Loop Header: Depth=1
	v_ashrrev_i32_e32 v3, 31, v2
	v_lshlrev_b64 v[6:7], 1, v[2:3]
	v_add_co_u32_e32 v6, vcc, s7, v6
	v_addc_co_u32_e32 v7, vcc, v5, v7, vcc
	global_load_ushort v3, v[6:7], off
	v_add_u32_e32 v2, s19, v2
	v_cmp_le_i32_e32 vcc, s16, v2
	s_or_b64 s[8:9], vcc, s[8:9]
	s_waitcnt vmcnt(0)
	v_cvt_f32_f16_e32 v3, v3
	ds_write_b32 v4, v3
	v_add_u32_e32 v4, s20, v4
	s_andn2_b64 exec, exec, s[8:9]
	s_cbranch_execnz .LBB156_5
.LBB156_6:
	s_or_b64 exec, exec, s[2:3]
	v_mov_b32_e32 v2, 0xff800000
	s_waitcnt lgkmcnt(0)
	s_barrier
	s_and_saveexec_b64 s[2:3], s[0:1]
	s_cbranch_execz .LBB156_10
; %bb.7:
	s_load_dword s7, s[4:5], 0x44
	v_lshl_add_u32 v3, v0, 2, 0
	s_mov_b64 s[8:9], 0
	v_mov_b32_e32 v2, 0xff800000
	v_mov_b32_e32 v4, v0
	s_waitcnt lgkmcnt(0)
	s_and_b32 s7, s7, 0xffff
	s_lshl_b32 s18, s7, 2
.LBB156_8:                              ; =>This Inner Loop Header: Depth=1
	ds_read_b32 v5, v3
	v_add_u32_e32 v4, s7, v4
	v_max_f32_e32 v2, v2, v2
	v_cmp_le_i32_e32 vcc, s16, v4
	v_add_u32_e32 v3, s18, v3
	s_waitcnt lgkmcnt(0)
	v_max_f32_e32 v5, v5, v5
	s_or_b64 s[8:9], vcc, s[8:9]
	v_max_f32_e32 v2, v2, v5
	s_andn2_b64 exec, exec, s[8:9]
	s_cbranch_execnz .LBB156_8
; %bb.9:
	s_or_b64 exec, exec, s[8:9]
.LBB156_10:
	s_or_b64 exec, exec, s[2:3]
	;;#ASMSTART
	v_max_f32 v3, v2, v2 quad_perm:[1,0,3,2] row_mask:0xf bank_mask:0xf bound_ctrl:1
	;;#ASMEND
	;;#ASMSTART
	v_max_f32 v2, v3, v3 quad_perm:[2,3,0,1] row_mask:0xf bank_mask:0xf bound_ctrl:1
	;;#ASMEND
	;;#ASMSTART
	v_max_f32 v3, v2, v2 row_half_mirror row_mask:0xf bank_mask:0xf bound_ctrl:1
	;;#ASMEND
	;;#ASMSTART
	v_max_f32 v2, v3, v3 row_mirror row_mask:0xf bank_mask:0xf bound_ctrl:1
	;;#ASMEND
	;;#ASMSTART
	v_max_f32 v3, v2, v2 row_ror:4 row_mask:0xf bank_mask:0xf bound_ctrl:1
	;;#ASMEND
	;;#ASMSTART
	v_max_f32 v2, v3, v3 row_ror:8 row_mask:0xf bank_mask:0xf bound_ctrl:1
	;;#ASMEND
	;;#ASMSTART
	v_max_f32 v3, v2, v2 row_bcast:15 row_mask:0xf bank_mask:0xf bound_ctrl:1
	;;#ASMEND
	;;#ASMSTART
	v_max_f32 v2, v3, v3 row_bcast:31 row_mask:0xf bank_mask:0xf bound_ctrl:1
	;;#ASMEND
	v_mbcnt_lo_u32_b32 v3, -1, 0
	v_mbcnt_hi_u32_b32 v3, -1, v3
	v_bfrev_b32_e32 v4, 0.5
	v_lshl_or_b32 v4, v3, 2, v4
	ds_bpermute_b32 v3, v4, v2
	v_mov_b32_e32 v2, 0
	s_and_saveexec_b64 s[8:9], s[0:1]
	s_cbranch_execz .LBB156_14
; %bb.11:
	s_load_dword s2, s[4:5], 0x44
	v_lshl_add_u32 v5, v0, 2, 0
	s_mov_b64 s[18:19], 0
	v_mov_b32_e32 v2, 0
	s_mov_b32 s7, 0xc2fc0000
	s_waitcnt lgkmcnt(0)
	s_and_b32 s20, s2, 0xffff
	s_lshl_b32 s21, s20, 2
	v_mov_b32_e32 v6, 0x42800000
	v_mov_b32_e32 v7, 0x1f800000
	v_mov_b32_e32 v8, v0
.LBB156_12:                             ; =>This Inner Loop Header: Depth=1
	ds_read_b32 v9, v5
	v_add_u32_e32 v8, s20, v8
	v_cmp_le_i32_e64 s[2:3], s16, v8
	s_or_b64 s[18:19], s[2:3], s[18:19]
	s_waitcnt lgkmcnt(0)
	v_sub_f32_e32 v9, v9, v3
	v_mul_f32_e32 v10, 0x3fb8aa3b, v9
	v_cmp_gt_f32_e32 vcc, s7, v10
	v_cndmask_b32_e32 v10, 0, v6, vcc
	v_fmac_f32_e32 v10, 0x3fb8aa3b, v9
	v_exp_f32_e32 v9, v10
	v_cndmask_b32_e32 v10, 1.0, v7, vcc
	v_mul_f32_e32 v11, v9, v10
	v_fmac_f32_e32 v2, v9, v10
	ds_write_b32 v5, v11
	v_add_u32_e32 v5, s21, v5
	s_andn2_b64 exec, exec, s[18:19]
	s_cbranch_execnz .LBB156_12
; %bb.13:
	s_or_b64 exec, exec, s[18:19]
.LBB156_14:
	s_or_b64 exec, exec, s[8:9]
	s_waitcnt lgkmcnt(0)
	v_mov_b32_dpp v3, v2 quad_perm:[1,0,3,2] row_mask:0xf bank_mask:0xf
	v_add_f32_e32 v2, v2, v3
	s_nop 1
	v_mov_b32_dpp v3, v2 quad_perm:[2,3,0,1] row_mask:0xf bank_mask:0xf
	v_add_f32_e32 v2, v2, v3
	s_nop 1
	v_mov_b32_dpp v3, v2 row_half_mirror row_mask:0xf bank_mask:0xf
	v_add_f32_e32 v2, v2, v3
	s_nop 1
	v_mov_b32_dpp v3, v2 row_mirror row_mask:0xf bank_mask:0xf
	v_add_f32_e32 v2, v2, v3
	s_nop 1
	v_mov_b32_dpp v3, v2 row_bcast:15 row_mask:0xf bank_mask:0xf
	v_add_f32_e32 v2, v2, v3
	s_nop 1
	v_mov_b32_dpp v3, v2 row_bcast:31 row_mask:0xf bank_mask:0xf
	v_add_f32_e32 v2, v2, v3
	ds_bpermute_b32 v2, v4, v2
	s_and_saveexec_b64 s[8:9], s[0:1]
	s_cbranch_execz .LBB156_19
; %bb.15:
	s_load_dword s7, s[4:5], 0x44
	s_waitcnt lgkmcnt(0)
	v_rcp_f32_e32 v5, v2
	s_cmp_lg_u64 s[10:11], 0
	s_cselect_b64 s[2:3], -1, 0
	v_cndmask_b32_e64 v2, 0, 1, s[2:3]
	s_and_b32 s7, s7, 0xffff
	s_mov_b64 s[18:19], 0
	v_lshl_add_u32 v6, v0, 2, 0
	s_lshl_b32 s20, s7, 2
	v_cmp_ne_u32_e64 s[2:3], 1, v2
	v_mov_b32_e32 v2, v0
	s_branch .LBB156_17
.LBB156_16:                             ;   in Loop: Header=BB156_17 Depth=1
	v_add_u32_e32 v2, s7, v2
	v_cmp_le_i32_e32 vcc, s16, v2
	s_or_b64 s[18:19], vcc, s[18:19]
	v_add_u32_e32 v6, s20, v6
	s_andn2_b64 exec, exec, s[18:19]
	s_cbranch_execz .LBB156_19
.LBB156_17:                             ; =>This Inner Loop Header: Depth=1
	ds_read_b32 v3, v6
	s_and_b64 vcc, exec, s[2:3]
	s_waitcnt lgkmcnt(0)
	v_mul_f32_e32 v7, v5, v3
	ds_write_b32 v6, v7
	s_cbranch_vccnz .LBB156_16
; %bb.18:                               ;   in Loop: Header=BB156_17 Depth=1
	v_ashrrev_i32_e32 v3, 31, v2
	v_lshlrev_b64 v[8:9], 1, v[2:3]
	v_mov_b32_e32 v3, s11
	v_add_co_u32_e32 v8, vcc, s10, v8
	v_addc_co_u32_e32 v9, vcc, v3, v9, vcc
	global_load_ushort v3, v[8:9], off
	s_waitcnt vmcnt(0)
	v_cvt_f32_f16_e32 v3, v3
	v_add_f32_e32 v3, v7, v3
	ds_write_b32 v6, v3
	s_branch .LBB156_16
.LBB156_19:
	s_or_b64 exec, exec, s[8:9]
	s_cmp_lt_i32 s17, 1
	s_waitcnt lgkmcnt(0)
	s_barrier
	s_cbranch_scc1 .LBB156_28
; %bb.20:
	s_add_u32 s2, s4, 56
	s_addc_u32 s3, s5, 0
	s_cmp_lg_u64 s[10:11], 0
	s_cselect_b64 s[8:9], -1, 0
	s_mov_b32 s7, 0
	v_mov_b32_e32 v2, 0
	v_mov_b32_e32 v5, 0
	;; [unrolled: 1-line block ×4, first 2 shown]
	s_branch .LBB156_22
.LBB156_21:                             ;   in Loop: Header=BB156_22 Depth=1
	s_lshl_b32 s19, s18, 2
	s_add_i32 s19, s19, 0
	v_mov_b32_e32 v7, s19
	ds_write_b32 v7, v6
	v_mov_b32_e32 v7, s18
	v_cmp_eq_u32_e32 vcc, s7, v0
	s_add_i32 s7, s7, 1
	v_cndmask_b32_e32 v2, v2, v7, vcc
	s_cmp_eq_u32 s7, s17
	v_cndmask_b32_e32 v3, v3, v9, vcc
	s_cbranch_scc1 .LBB156_29
.LBB156_22:                             ; =>This Loop Header: Depth=1
                                        ;     Child Loop BB156_24 Depth 2
	v_mov_b32_e32 v7, s7
	v_mov_b32_e32 v8, 0xff800000
	s_and_saveexec_b64 s[18:19], s[0:1]
	s_cbranch_execz .LBB156_26
; %bb.23:                               ;   in Loop: Header=BB156_22 Depth=1
	s_load_dword s22, s[2:3], 0xc
	s_mov_b64 s[20:21], 0
	v_mov_b32_e32 v7, s7
	v_mov_b32_e32 v8, 0xff800000
	;; [unrolled: 1-line block ×3, first 2 shown]
	s_waitcnt lgkmcnt(0)
	s_and_b32 s22, s22, 0xffff
	s_lshl_b32 s23, s22, 2
	v_mov_b32_e32 v10, v0
.LBB156_24:                             ;   Parent Loop BB156_22 Depth=1
                                        ; =>  This Inner Loop Header: Depth=2
	ds_read_b32 v11, v9
	v_add_u32_e32 v9, s23, v9
	s_waitcnt lgkmcnt(0)
	v_cmp_gt_f32_e32 vcc, v11, v8
	v_cndmask_b32_e32 v7, v7, v10, vcc
	v_add_u32_e32 v10, s22, v10
	v_cndmask_b32_e32 v8, v8, v11, vcc
	v_cmp_le_i32_e32 vcc, s16, v10
	s_or_b64 s[20:21], vcc, s[20:21]
	s_andn2_b64 exec, exec, s[20:21]
	s_cbranch_execnz .LBB156_24
; %bb.25:                               ;   in Loop: Header=BB156_22 Depth=1
	s_or_b64 exec, exec, s[20:21]
.LBB156_26:                             ;   in Loop: Header=BB156_22 Depth=1
	s_or_b64 exec, exec, s[18:19]
	;;#ASMSTART
	v_max_f32 v9, v8, v8 quad_perm:[1,0,3,2] row_mask:0xf bank_mask:0xf bound_ctrl:1
	;;#ASMEND
	;;#ASMSTART
	v_max_f32 v10, v9, v9 quad_perm:[2,3,0,1] row_mask:0xf bank_mask:0xf bound_ctrl:1
	;;#ASMEND
	;;#ASMSTART
	v_max_f32 v9, v10, v10 row_half_mirror row_mask:0xf bank_mask:0xf bound_ctrl:1
	;;#ASMEND
	;;#ASMSTART
	v_max_f32 v10, v9, v9 row_mirror row_mask:0xf bank_mask:0xf bound_ctrl:1
	;;#ASMEND
	;;#ASMSTART
	v_max_f32 v9, v10, v10 row_ror:4 row_mask:0xf bank_mask:0xf bound_ctrl:1
	;;#ASMEND
	;;#ASMSTART
	v_max_f32 v10, v9, v9 row_ror:8 row_mask:0xf bank_mask:0xf bound_ctrl:1
	;;#ASMEND
	;;#ASMSTART
	v_max_f32 v9, v10, v10 row_bcast:15 row_mask:0xf bank_mask:0xf bound_ctrl:1
	;;#ASMEND
	;;#ASMSTART
	v_max_f32 v10, v9, v9 row_bcast:31 row_mask:0xf bank_mask:0xf bound_ctrl:1
	;;#ASMEND
	ds_bpermute_b32 v9, v4, v10
	s_waitcnt lgkmcnt(0)
	v_cmp_eq_f32_e32 vcc, v8, v9
	s_ff1_i32_b64 s18, vcc
	s_cmp_lg_u64 vcc, 0
	s_cselect_b32 s18, s18, 0
	s_and_b64 vcc, exec, s[8:9]
	v_readlane_b32 s18, v7, s18
	s_cbranch_vccz .LBB156_21
; %bb.27:                               ;   in Loop: Header=BB156_22 Depth=1
	s_ashr_i32 s19, s18, 31
	s_lshl_b64 s[20:21], s[18:19], 1
	s_add_u32 s20, s10, s20
	s_addc_u32 s21, s11, s21
	global_load_ushort v7, v5, s[20:21]
	s_waitcnt vmcnt(0)
	v_cvt_f32_f16_e32 v7, v7
	v_sub_f32_e32 v9, v9, v7
	s_branch .LBB156_21
.LBB156_28:
	v_mov_b32_e32 v3, 0
	v_mov_b32_e32 v2, 0
.LBB156_29:
	v_cmp_gt_i32_e32 vcc, s17, v0
	s_and_saveexec_b64 s[0:1], vcc
	s_cbranch_execz .LBB156_32
; %bb.30:
	s_load_dword s2, s[4:5], 0x34
	s_load_dwordx2 s[0:1], s[4:5], 0x20
	s_ashr_i32 s3, s6, 31
	s_load_dword s4, s[4:5], 0x44
	v_mov_b32_e32 v4, s13
	s_waitcnt lgkmcnt(0)
	v_mul_f32_e32 v1, s2, v3
	s_mul_i32 s1, s6, s1
	s_mul_hi_u32 s2, s6, s0
	s_add_i32 s1, s2, s1
	s_mul_i32 s3, s3, s0
	s_add_i32 s5, s1, s3
	s_mul_i32 s2, s6, s0
	s_and_b32 s3, s4, 0xffff
	s_mov_b64 s[0:1], 0
	v_mov_b32_e32 v3, s5
	v_mov_b32_e32 v5, s15
.LBB156_31:                             ; =>This Inner Loop Header: Depth=1
	v_ashrrev_i32_e32 v7, 31, v0
	v_add_co_u32_e32 v6, vcc, s2, v0
	v_addc_co_u32_e32 v7, vcc, v3, v7, vcc
	v_add_u32_e32 v0, s3, v0
	v_cmp_le_i32_e32 vcc, s17, v0
	v_lshlrev_b64 v[6:7], 2, v[6:7]
	s_or_b64 s[0:1], vcc, s[0:1]
	v_add_co_u32_e32 v8, vcc, s12, v6
	v_addc_co_u32_e32 v9, vcc, v4, v7, vcc
	v_add_co_u32_e32 v6, vcc, s14, v6
	v_addc_co_u32_e32 v7, vcc, v5, v7, vcc
	global_store_dword v[8:9], v1, off
	global_store_dword v[6:7], v2, off
	s_andn2_b64 exec, exec, s[0:1]
	s_cbranch_execnz .LBB156_31
.LBB156_32:
	s_endpgm
	.section	.rodata,"a",@progbits
	.p2align	6, 0x0
	.amdhsa_kernel _ZN5aiter20topk_softplus_kernelI6__halfS1_Dv1_fLb0ELi2EEEvPKT_PKT0_PfPimiiif
		.amdhsa_group_segment_fixed_size 0
		.amdhsa_private_segment_fixed_size 0
		.amdhsa_kernarg_size 312
		.amdhsa_user_sgpr_count 6
		.amdhsa_user_sgpr_private_segment_buffer 1
		.amdhsa_user_sgpr_dispatch_ptr 0
		.amdhsa_user_sgpr_queue_ptr 0
		.amdhsa_user_sgpr_kernarg_segment_ptr 1
		.amdhsa_user_sgpr_dispatch_id 0
		.amdhsa_user_sgpr_flat_scratch_init 0
		.amdhsa_user_sgpr_kernarg_preload_length 0
		.amdhsa_user_sgpr_kernarg_preload_offset 0
		.amdhsa_user_sgpr_private_segment_size 0
		.amdhsa_uses_dynamic_stack 0
		.amdhsa_system_sgpr_private_segment_wavefront_offset 0
		.amdhsa_system_sgpr_workgroup_id_x 1
		.amdhsa_system_sgpr_workgroup_id_y 0
		.amdhsa_system_sgpr_workgroup_id_z 0
		.amdhsa_system_sgpr_workgroup_info 0
		.amdhsa_system_vgpr_workitem_id 0
		.amdhsa_next_free_vgpr 12
		.amdhsa_next_free_sgpr 24
		.amdhsa_accum_offset 12
		.amdhsa_reserve_vcc 1
		.amdhsa_reserve_flat_scratch 0
		.amdhsa_float_round_mode_32 0
		.amdhsa_float_round_mode_16_64 0
		.amdhsa_float_denorm_mode_32 3
		.amdhsa_float_denorm_mode_16_64 3
		.amdhsa_dx10_clamp 1
		.amdhsa_ieee_mode 1
		.amdhsa_fp16_overflow 0
		.amdhsa_tg_split 0
		.amdhsa_exception_fp_ieee_invalid_op 0
		.amdhsa_exception_fp_denorm_src 0
		.amdhsa_exception_fp_ieee_div_zero 0
		.amdhsa_exception_fp_ieee_overflow 0
		.amdhsa_exception_fp_ieee_underflow 0
		.amdhsa_exception_fp_ieee_inexact 0
		.amdhsa_exception_int_div_zero 0
	.end_amdhsa_kernel
	.section	.text._ZN5aiter20topk_softplus_kernelI6__halfS1_Dv1_fLb0ELi2EEEvPKT_PKT0_PfPimiiif,"axG",@progbits,_ZN5aiter20topk_softplus_kernelI6__halfS1_Dv1_fLb0ELi2EEEvPKT_PKT0_PfPimiiif,comdat
.Lfunc_end156:
	.size	_ZN5aiter20topk_softplus_kernelI6__halfS1_Dv1_fLb0ELi2EEEvPKT_PKT0_PfPimiiif, .Lfunc_end156-_ZN5aiter20topk_softplus_kernelI6__halfS1_Dv1_fLb0ELi2EEEvPKT_PKT0_PfPimiiif
                                        ; -- End function
	.section	.AMDGPU.csdata,"",@progbits
; Kernel info:
; codeLenInByte = 1576
; NumSgprs: 28
; NumVgprs: 12
; NumAgprs: 0
; TotalNumVgprs: 12
; ScratchSize: 0
; MemoryBound: 0
; FloatMode: 240
; IeeeMode: 1
; LDSByteSize: 0 bytes/workgroup (compile time only)
; SGPRBlocks: 3
; VGPRBlocks: 1
; NumSGPRsForWavesPerEU: 28
; NumVGPRsForWavesPerEU: 12
; AccumOffset: 12
; Occupancy: 8
; WaveLimiterHint : 0
; COMPUTE_PGM_RSRC2:SCRATCH_EN: 0
; COMPUTE_PGM_RSRC2:USER_SGPR: 6
; COMPUTE_PGM_RSRC2:TRAP_HANDLER: 0
; COMPUTE_PGM_RSRC2:TGID_X_EN: 1
; COMPUTE_PGM_RSRC2:TGID_Y_EN: 0
; COMPUTE_PGM_RSRC2:TGID_Z_EN: 0
; COMPUTE_PGM_RSRC2:TIDIG_COMP_CNT: 0
; COMPUTE_PGM_RSRC3_GFX90A:ACCUM_OFFSET: 2
; COMPUTE_PGM_RSRC3_GFX90A:TG_SPLIT: 0
	.section	.text._ZN5aiter24topk_softplus_kernel_optI6__halfS1_Li64ELb1ELi0EEEvPKT_PKT0_PfPimiif,"axG",@progbits,_ZN5aiter24topk_softplus_kernel_optI6__halfS1_Li64ELb1ELi0EEEvPKT_PKT0_PfPimiif,comdat
	.protected	_ZN5aiter24topk_softplus_kernel_optI6__halfS1_Li64ELb1ELi0EEEvPKT_PKT0_PfPimiif ; -- Begin function _ZN5aiter24topk_softplus_kernel_optI6__halfS1_Li64ELb1ELi0EEEvPKT_PKT0_PfPimiif
	.globl	_ZN5aiter24topk_softplus_kernel_optI6__halfS1_Li64ELb1ELi0EEEvPKT_PKT0_PfPimiif
	.p2align	8
	.type	_ZN5aiter24topk_softplus_kernel_optI6__halfS1_Li64ELb1ELi0EEEvPKT_PKT0_PfPimiif,@function
_ZN5aiter24topk_softplus_kernel_optI6__halfS1_Li64ELb1ELi0EEEvPKT_PKT0_PfPimiif: ; @_ZN5aiter24topk_softplus_kernel_optI6__halfS1_Li64ELb1ELi0EEEvPKT_PKT0_PfPimiif
; %bb.0:
	s_load_dwordx4 s[0:3], s[4:5], 0x0
	s_lshl_b32 s8, s6, 6
	s_ashr_i32 s9, s8, 31
	s_lshl_b64 s[8:9], s[8:9], 1
	v_lshlrev_b32_e32 v2, 1, v0
	s_waitcnt lgkmcnt(0)
	s_add_u32 s0, s0, s8
	s_addc_u32 s1, s1, s9
	global_load_ushort v1, v2, s[0:1]
	s_mov_b32 s7, 0xc2fc0000
	v_mov_b32_e32 v4, 0x42800000
	s_mov_b32 s1, 0x3fb8aa3b
	v_mov_b32_e32 v5, 0x1f800000
	s_movk_i32 s0, 0x4d00
	s_cmp_eq_u64 s[2:3], 0
	s_waitcnt vmcnt(0)
	v_cvt_f32_f16_e32 v3, v1
	v_mul_f32_e32 v6, 0x3fb8aa3b, v3
	v_cmp_gt_f32_e32 vcc, s7, v6
	v_cndmask_b32_e32 v4, 0, v4, vcc
	v_fma_mix_f32 v4, v1, s1, v4 op_sel_hi:[1,0,0]
	v_exp_f32_e32 v4, v4
	v_cndmask_b32_e32 v5, 1.0, v5, vcc
	s_mov_b32 s1, 0x800000
	v_mov_b32_e32 v6, 0x4f800000
	v_fma_f32 v4, v4, v5, 1.0
	v_cmp_gt_f32_e32 vcc, s1, v4
	v_cndmask_b32_e32 v5, 1.0, v6, vcc
	v_mul_f32_e32 v4, v4, v5
	v_log_f32_e32 v4, v4
	v_mov_b32_e32 v5, 0x42000000
	v_cndmask_b32_e32 v5, 0, v5, vcc
	v_cmp_lt_f16_e32 vcc, s0, v1
	v_sub_f32_e32 v4, v4, v5
	v_mul_f32_e32 v4, 0x3f317218, v4
	s_mov_b32 s1, 0xf800000
	v_cndmask_b32_e32 v1, v4, v3, vcc
	v_mul_f32_e32 v3, 0x4f800000, v1
	v_cmp_gt_f32_e32 vcc, s1, v1
	v_cndmask_b32_e32 v3, v1, v3, vcc
	v_sqrt_f32_e32 v4, v3
	v_mov_b32_e32 v5, 0x260
	v_mov_b32_e32 v1, 0
	v_add_u32_e32 v6, -1, v4
	v_add_u32_e32 v7, 1, v4
	v_fma_f32 v8, -v6, v4, v3
	v_fma_f32 v9, -v7, v4, v3
	v_cmp_ge_f32_e64 s[0:1], 0, v8
	v_cndmask_b32_e64 v4, v4, v6, s[0:1]
	v_cmp_lt_f32_e64 s[0:1], 0, v9
	v_cndmask_b32_e64 v4, v4, v7, s[0:1]
	v_mul_f32_e32 v6, 0x37800000, v4
	v_cndmask_b32_e32 v4, v4, v6, vcc
	v_cmp_class_f32_e32 vcc, v3, v5
	v_cndmask_b32_e32 v3, v4, v3, vcc
	v_mov_b32_e32 v4, v3
	s_cbranch_scc1 .LBB157_2
; %bb.1:
	global_load_ushort v2, v2, s[2:3]
	s_waitcnt vmcnt(0)
	v_cvt_f32_f16_e32 v2, v2
	v_add_f32_e32 v4, v3, v2
.LBB157_2:
	s_load_dword s2, s[4:5], 0x28
	s_load_dwordx4 s[8:11], s[4:5], 0x10
	s_mov_b32 s3, 0
	v_mov_b32_e32 v5, 0
	v_mov_b32_e32 v2, 0
	s_waitcnt lgkmcnt(0)
	s_cmp_lt_i32 s2, 1
	s_cbranch_scc1 .LBB157_5
; %bb.3:
	v_mbcnt_lo_u32_b32 v1, -1, 0
	v_mbcnt_hi_u32_b32 v1, -1, v1
	v_bfrev_b32_e32 v2, 0.5
	v_mov_b32_e32 v6, 0
	v_mov_b32_e32 v7, 0xff800000
	v_lshl_or_b32 v8, v1, 2, v2
	v_mov_b32_e32 v5, 0
	v_mov_b32_e32 v1, 0
	;; [unrolled: 1-line block ×3, first 2 shown]
.LBB157_4:                              ; =>This Inner Loop Header: Depth=1
	v_cmp_eq_u32_e32 vcc, 0, v6
	v_cndmask_b32_e32 v9, v7, v4, vcc
	;;#ASMSTART
	v_max_f32 v11, v9, v9 quad_perm:[1,0,3,2] row_mask:0xf bank_mask:0xf bound_ctrl:1
	;;#ASMEND
	;;#ASMSTART
	v_max_f32 v12, v11, v11 quad_perm:[2,3,0,1] row_mask:0xf bank_mask:0xf bound_ctrl:1
	;;#ASMEND
	;;#ASMSTART
	v_max_f32 v11, v12, v12 row_half_mirror row_mask:0xf bank_mask:0xf bound_ctrl:1
	;;#ASMEND
	;;#ASMSTART
	v_max_f32 v12, v11, v11 row_mirror row_mask:0xf bank_mask:0xf bound_ctrl:1
	;;#ASMEND
	;;#ASMSTART
	v_max_f32 v11, v12, v12 row_ror:4 row_mask:0xf bank_mask:0xf bound_ctrl:1
	;;#ASMEND
	;;#ASMSTART
	v_max_f32 v12, v11, v11 row_ror:8 row_mask:0xf bank_mask:0xf bound_ctrl:1
	;;#ASMEND
	;;#ASMSTART
	v_max_f32 v11, v12, v12 row_bcast:15 row_mask:0xf bank_mask:0xf bound_ctrl:1
	;;#ASMEND
	;;#ASMSTART
	v_max_f32 v12, v11, v11 row_bcast:31 row_mask:0xf bank_mask:0xf bound_ctrl:1
	;;#ASMEND
	ds_bpermute_b32 v11, v8, v12
	v_cndmask_b32_e32 v10, 0, v0, vcc
	s_waitcnt lgkmcnt(0)
	v_cmp_eq_f32_e64 s[0:1], v9, v11
	s_ff1_i32_b64 s7, s[0:1]
	s_cmp_lg_u64 s[0:1], 0
	s_cselect_b32 s0, s7, 0
	s_nop 0
	v_readlane_b32 s7, v10, s0
	v_cmp_eq_u32_e64 s[0:1], s7, v0
	s_and_b64 vcc, vcc, s[0:1]
	s_and_b32 s12, s7, 63
	v_cndmask_b32_e32 v10, 0, v3, vcc
	v_addc_co_u32_e32 v6, vcc, 0, v6, vcc
	v_readlane_b32 s0, v10, s12
	v_mov_b32_e32 v9, s7
	v_mov_b32_e32 v10, s0
	v_cmp_eq_u32_e32 vcc, s3, v0
	s_add_i32 s3, s3, 1
	v_add_f32_e32 v5, s0, v5
	v_cndmask_b32_e32 v2, v2, v10, vcc
	s_cmp_eq_u32 s2, s3
	v_cndmask_b32_e32 v1, v1, v9, vcc
	s_cbranch_scc0 .LBB157_4
.LBB157_5:
	v_cmp_gt_i32_e32 vcc, s2, v0
	s_and_saveexec_b64 s[0:1], vcc
	s_cbranch_execz .LBB157_7
; %bb.6:
	s_load_dword s2, s[4:5], 0x30
	v_max_f32_e32 v3, v5, v5
	v_max_f32_e32 v3, 0x1e3ce508, v3
	v_lshlrev_b32_e32 v0, 2, v0
	s_waitcnt lgkmcnt(0)
	v_div_scale_f32 v4, s[0:1], v3, v3, s2
	v_rcp_f32_e32 v5, v4
	v_div_scale_f32 v6, vcc, s2, v3, s2
	s_load_dwordx2 s[0:1], s[4:5], 0x20
	v_fma_f32 v7, -v4, v5, 1.0
	v_fmac_f32_e32 v5, v7, v5
	v_mul_f32_e32 v7, v6, v5
	v_fma_f32 v8, -v4, v7, v6
	v_fmac_f32_e32 v7, v8, v5
	v_fma_f32 v4, -v4, v7, v6
	v_div_fmas_f32 v4, v4, v5, v7
	v_div_fixup_f32 v3, v4, v3, s2
	s_ashr_i32 s2, s6, 31
	s_waitcnt lgkmcnt(0)
	s_mul_i32 s1, s6, s1
	s_mul_hi_u32 s3, s6, s0
	s_add_i32 s1, s3, s1
	s_mul_i32 s2, s2, s0
	s_add_i32 s1, s1, s2
	s_mul_i32 s0, s6, s0
	s_lshl_b64 s[0:1], s[0:1], 2
	s_add_u32 s2, s8, s0
	s_addc_u32 s3, s9, s1
	s_add_u32 s0, s10, s0
	v_mul_f32_e32 v2, v2, v3
	s_addc_u32 s1, s11, s1
	global_store_dword v0, v2, s[2:3]
	global_store_dword v0, v1, s[0:1]
.LBB157_7:
	s_endpgm
	.section	.rodata,"a",@progbits
	.p2align	6, 0x0
	.amdhsa_kernel _ZN5aiter24topk_softplus_kernel_optI6__halfS1_Li64ELb1ELi0EEEvPKT_PKT0_PfPimiif
		.amdhsa_group_segment_fixed_size 0
		.amdhsa_private_segment_fixed_size 0
		.amdhsa_kernarg_size 52
		.amdhsa_user_sgpr_count 6
		.amdhsa_user_sgpr_private_segment_buffer 1
		.amdhsa_user_sgpr_dispatch_ptr 0
		.amdhsa_user_sgpr_queue_ptr 0
		.amdhsa_user_sgpr_kernarg_segment_ptr 1
		.amdhsa_user_sgpr_dispatch_id 0
		.amdhsa_user_sgpr_flat_scratch_init 0
		.amdhsa_user_sgpr_kernarg_preload_length 0
		.amdhsa_user_sgpr_kernarg_preload_offset 0
		.amdhsa_user_sgpr_private_segment_size 0
		.amdhsa_uses_dynamic_stack 0
		.amdhsa_system_sgpr_private_segment_wavefront_offset 0
		.amdhsa_system_sgpr_workgroup_id_x 1
		.amdhsa_system_sgpr_workgroup_id_y 0
		.amdhsa_system_sgpr_workgroup_id_z 0
		.amdhsa_system_sgpr_workgroup_info 0
		.amdhsa_system_vgpr_workitem_id 0
		.amdhsa_next_free_vgpr 13
		.amdhsa_next_free_sgpr 13
		.amdhsa_accum_offset 16
		.amdhsa_reserve_vcc 1
		.amdhsa_reserve_flat_scratch 0
		.amdhsa_float_round_mode_32 0
		.amdhsa_float_round_mode_16_64 0
		.amdhsa_float_denorm_mode_32 3
		.amdhsa_float_denorm_mode_16_64 3
		.amdhsa_dx10_clamp 1
		.amdhsa_ieee_mode 1
		.amdhsa_fp16_overflow 0
		.amdhsa_tg_split 0
		.amdhsa_exception_fp_ieee_invalid_op 0
		.amdhsa_exception_fp_denorm_src 0
		.amdhsa_exception_fp_ieee_div_zero 0
		.amdhsa_exception_fp_ieee_overflow 0
		.amdhsa_exception_fp_ieee_underflow 0
		.amdhsa_exception_fp_ieee_inexact 0
		.amdhsa_exception_int_div_zero 0
	.end_amdhsa_kernel
	.section	.text._ZN5aiter24topk_softplus_kernel_optI6__halfS1_Li64ELb1ELi0EEEvPKT_PKT0_PfPimiif,"axG",@progbits,_ZN5aiter24topk_softplus_kernel_optI6__halfS1_Li64ELb1ELi0EEEvPKT_PKT0_PfPimiif,comdat
.Lfunc_end157:
	.size	_ZN5aiter24topk_softplus_kernel_optI6__halfS1_Li64ELb1ELi0EEEvPKT_PKT0_PfPimiif, .Lfunc_end157-_ZN5aiter24topk_softplus_kernel_optI6__halfS1_Li64ELb1ELi0EEEvPKT_PKT0_PfPimiif
                                        ; -- End function
	.section	.AMDGPU.csdata,"",@progbits
; Kernel info:
; codeLenInByte = 816
; NumSgprs: 17
; NumVgprs: 13
; NumAgprs: 0
; TotalNumVgprs: 13
; ScratchSize: 0
; MemoryBound: 0
; FloatMode: 240
; IeeeMode: 1
; LDSByteSize: 0 bytes/workgroup (compile time only)
; SGPRBlocks: 2
; VGPRBlocks: 1
; NumSGPRsForWavesPerEU: 17
; NumVGPRsForWavesPerEU: 13
; AccumOffset: 16
; Occupancy: 8
; WaveLimiterHint : 0
; COMPUTE_PGM_RSRC2:SCRATCH_EN: 0
; COMPUTE_PGM_RSRC2:USER_SGPR: 6
; COMPUTE_PGM_RSRC2:TRAP_HANDLER: 0
; COMPUTE_PGM_RSRC2:TGID_X_EN: 1
; COMPUTE_PGM_RSRC2:TGID_Y_EN: 0
; COMPUTE_PGM_RSRC2:TGID_Z_EN: 0
; COMPUTE_PGM_RSRC2:TIDIG_COMP_CNT: 0
; COMPUTE_PGM_RSRC3_GFX90A:ACCUM_OFFSET: 3
; COMPUTE_PGM_RSRC3_GFX90A:TG_SPLIT: 0
	.section	.text._ZN5aiter24topk_softplus_kernel_optI6__halfS1_Li64ELb0ELi0EEEvPKT_PKT0_PfPimiif,"axG",@progbits,_ZN5aiter24topk_softplus_kernel_optI6__halfS1_Li64ELb0ELi0EEEvPKT_PKT0_PfPimiif,comdat
	.protected	_ZN5aiter24topk_softplus_kernel_optI6__halfS1_Li64ELb0ELi0EEEvPKT_PKT0_PfPimiif ; -- Begin function _ZN5aiter24topk_softplus_kernel_optI6__halfS1_Li64ELb0ELi0EEEvPKT_PKT0_PfPimiif
	.globl	_ZN5aiter24topk_softplus_kernel_optI6__halfS1_Li64ELb0ELi0EEEvPKT_PKT0_PfPimiif
	.p2align	8
	.type	_ZN5aiter24topk_softplus_kernel_optI6__halfS1_Li64ELb0ELi0EEEvPKT_PKT0_PfPimiif,@function
_ZN5aiter24topk_softplus_kernel_optI6__halfS1_Li64ELb0ELi0EEEvPKT_PKT0_PfPimiif: ; @_ZN5aiter24topk_softplus_kernel_optI6__halfS1_Li64ELb0ELi0EEEvPKT_PKT0_PfPimiif
; %bb.0:
	s_load_dwordx4 s[0:3], s[4:5], 0x0
	s_lshl_b32 s8, s6, 6
	s_ashr_i32 s9, s8, 31
	s_lshl_b64 s[8:9], s[8:9], 1
	v_lshlrev_b32_e32 v2, 1, v0
	s_waitcnt lgkmcnt(0)
	s_add_u32 s0, s0, s8
	s_addc_u32 s1, s1, s9
	global_load_ushort v1, v2, s[0:1]
	s_mov_b32 s7, 0xc2fc0000
	v_mov_b32_e32 v4, 0x42800000
	s_mov_b32 s1, 0x3fb8aa3b
	v_mov_b32_e32 v5, 0x1f800000
	s_movk_i32 s0, 0x4d00
	s_cmp_eq_u64 s[2:3], 0
	s_waitcnt vmcnt(0)
	v_cvt_f32_f16_e32 v3, v1
	v_mul_f32_e32 v6, 0x3fb8aa3b, v3
	v_cmp_gt_f32_e32 vcc, s7, v6
	v_cndmask_b32_e32 v4, 0, v4, vcc
	v_fma_mix_f32 v4, v1, s1, v4 op_sel_hi:[1,0,0]
	v_exp_f32_e32 v4, v4
	v_cndmask_b32_e32 v5, 1.0, v5, vcc
	s_mov_b32 s1, 0x800000
	v_mov_b32_e32 v6, 0x4f800000
	v_fma_f32 v4, v4, v5, 1.0
	v_cmp_gt_f32_e32 vcc, s1, v4
	v_cndmask_b32_e32 v5, 1.0, v6, vcc
	v_mul_f32_e32 v4, v4, v5
	v_log_f32_e32 v4, v4
	v_mov_b32_e32 v5, 0x42000000
	v_cndmask_b32_e32 v5, 0, v5, vcc
	v_cmp_lt_f16_e32 vcc, s0, v1
	v_sub_f32_e32 v4, v4, v5
	v_mul_f32_e32 v4, 0x3f317218, v4
	s_mov_b32 s1, 0xf800000
	v_cndmask_b32_e32 v1, v4, v3, vcc
	v_mul_f32_e32 v3, 0x4f800000, v1
	v_cmp_gt_f32_e32 vcc, s1, v1
	v_cndmask_b32_e32 v3, v1, v3, vcc
	v_sqrt_f32_e32 v4, v3
	v_mov_b32_e32 v5, 0x260
	v_mov_b32_e32 v1, 0
	v_add_u32_e32 v6, -1, v4
	v_add_u32_e32 v7, 1, v4
	v_fma_f32 v8, -v6, v4, v3
	v_fma_f32 v9, -v7, v4, v3
	v_cmp_ge_f32_e64 s[0:1], 0, v8
	v_cndmask_b32_e64 v4, v4, v6, s[0:1]
	v_cmp_lt_f32_e64 s[0:1], 0, v9
	v_cndmask_b32_e64 v4, v4, v7, s[0:1]
	v_mul_f32_e32 v6, 0x37800000, v4
	v_cndmask_b32_e32 v4, v4, v6, vcc
	v_cmp_class_f32_e32 vcc, v3, v5
	v_cndmask_b32_e32 v3, v4, v3, vcc
	v_mov_b32_e32 v4, v3
	s_cbranch_scc1 .LBB158_2
; %bb.1:
	global_load_ushort v2, v2, s[2:3]
	s_waitcnt vmcnt(0)
	v_cvt_f32_f16_e32 v2, v2
	v_add_f32_e32 v4, v3, v2
.LBB158_2:
	s_load_dword s2, s[4:5], 0x28
	s_load_dwordx4 s[8:11], s[4:5], 0x10
	s_waitcnt lgkmcnt(0)
	s_cmp_lt_i32 s2, 1
	s_cbranch_scc1 .LBB158_8
; %bb.3:
	v_mbcnt_lo_u32_b32 v1, -1, 0
	v_mbcnt_hi_u32_b32 v1, -1, v1
	v_bfrev_b32_e32 v7, 0.5
	s_mov_b32 s3, 0
	v_mov_b32_e32 v5, 0
	v_mov_b32_e32 v2, 0
	;; [unrolled: 1-line block ×3, first 2 shown]
	v_lshl_or_b32 v7, v1, 2, v7
	v_mov_b32_e32 v1, 0
.LBB158_4:                              ; =>This Inner Loop Header: Depth=1
	v_cmp_eq_u32_e32 vcc, 0, v5
	v_cndmask_b32_e32 v8, v6, v4, vcc
	;;#ASMSTART
	v_max_f32 v10, v8, v8 quad_perm:[1,0,3,2] row_mask:0xf bank_mask:0xf bound_ctrl:1
	;;#ASMEND
	;;#ASMSTART
	v_max_f32 v11, v10, v10 quad_perm:[2,3,0,1] row_mask:0xf bank_mask:0xf bound_ctrl:1
	;;#ASMEND
	;;#ASMSTART
	v_max_f32 v10, v11, v11 row_half_mirror row_mask:0xf bank_mask:0xf bound_ctrl:1
	;;#ASMEND
	;;#ASMSTART
	v_max_f32 v11, v10, v10 row_mirror row_mask:0xf bank_mask:0xf bound_ctrl:1
	;;#ASMEND
	;;#ASMSTART
	v_max_f32 v10, v11, v11 row_ror:4 row_mask:0xf bank_mask:0xf bound_ctrl:1
	;;#ASMEND
	;;#ASMSTART
	v_max_f32 v11, v10, v10 row_ror:8 row_mask:0xf bank_mask:0xf bound_ctrl:1
	;;#ASMEND
	;;#ASMSTART
	v_max_f32 v10, v11, v11 row_bcast:15 row_mask:0xf bank_mask:0xf bound_ctrl:1
	;;#ASMEND
	;;#ASMSTART
	v_max_f32 v11, v10, v10 row_bcast:31 row_mask:0xf bank_mask:0xf bound_ctrl:1
	;;#ASMEND
	ds_bpermute_b32 v10, v7, v11
	v_cndmask_b32_e32 v9, 0, v0, vcc
	s_waitcnt lgkmcnt(0)
	v_cmp_eq_f32_e64 s[0:1], v8, v10
	s_ff1_i32_b64 s7, s[0:1]
	s_cmp_lg_u64 s[0:1], 0
	s_cselect_b32 s0, s7, 0
	s_nop 0
	v_readlane_b32 s7, v9, s0
	v_cmp_eq_u32_e64 s[0:1], s7, v0
	s_and_b64 vcc, vcc, s[0:1]
	s_and_b32 s12, s7, 63
	v_cndmask_b32_e32 v9, 0, v3, vcc
	v_addc_co_u32_e32 v5, vcc, 0, v5, vcc
	v_readlane_b32 s0, v9, s12
	v_mov_b32_e32 v8, s7
	v_mov_b32_e32 v9, s0
	v_cmp_eq_u32_e32 vcc, s3, v0
	s_add_i32 s3, s3, 1
	v_cndmask_b32_e32 v2, v2, v9, vcc
	s_cmp_eq_u32 s2, s3
	v_cndmask_b32_e32 v1, v1, v8, vcc
	s_cbranch_scc0 .LBB158_4
; %bb.5:
	v_cmp_gt_i32_e32 vcc, s2, v0
	s_and_saveexec_b64 s[0:1], vcc
	s_cbranch_execz .LBB158_7
.LBB158_6:
	s_load_dword s2, s[4:5], 0x30
	s_load_dwordx2 s[0:1], s[4:5], 0x20
	s_ashr_i32 s3, s6, 31
	v_lshlrev_b32_e32 v0, 2, v0
	s_waitcnt lgkmcnt(0)
	v_mul_f32_e32 v2, s2, v2
	s_mul_i32 s1, s6, s1
	s_mul_hi_u32 s2, s6, s0
	s_add_i32 s1, s2, s1
	s_mul_i32 s3, s3, s0
	s_add_i32 s1, s1, s3
	s_mul_i32 s0, s6, s0
	s_lshl_b64 s[0:1], s[0:1], 2
	s_add_u32 s2, s8, s0
	s_addc_u32 s3, s9, s1
	s_add_u32 s0, s10, s0
	s_addc_u32 s1, s11, s1
	global_store_dword v0, v2, s[2:3]
	global_store_dword v0, v1, s[0:1]
.LBB158_7:
	s_endpgm
.LBB158_8:
	v_mov_b32_e32 v2, 0
	v_cmp_gt_i32_e32 vcc, s2, v0
	s_and_saveexec_b64 s[0:1], vcc
	s_cbranch_execnz .LBB158_6
	s_branch .LBB158_7
	.section	.rodata,"a",@progbits
	.p2align	6, 0x0
	.amdhsa_kernel _ZN5aiter24topk_softplus_kernel_optI6__halfS1_Li64ELb0ELi0EEEvPKT_PKT0_PfPimiif
		.amdhsa_group_segment_fixed_size 0
		.amdhsa_private_segment_fixed_size 0
		.amdhsa_kernarg_size 52
		.amdhsa_user_sgpr_count 6
		.amdhsa_user_sgpr_private_segment_buffer 1
		.amdhsa_user_sgpr_dispatch_ptr 0
		.amdhsa_user_sgpr_queue_ptr 0
		.amdhsa_user_sgpr_kernarg_segment_ptr 1
		.amdhsa_user_sgpr_dispatch_id 0
		.amdhsa_user_sgpr_flat_scratch_init 0
		.amdhsa_user_sgpr_kernarg_preload_length 0
		.amdhsa_user_sgpr_kernarg_preload_offset 0
		.amdhsa_user_sgpr_private_segment_size 0
		.amdhsa_uses_dynamic_stack 0
		.amdhsa_system_sgpr_private_segment_wavefront_offset 0
		.amdhsa_system_sgpr_workgroup_id_x 1
		.amdhsa_system_sgpr_workgroup_id_y 0
		.amdhsa_system_sgpr_workgroup_id_z 0
		.amdhsa_system_sgpr_workgroup_info 0
		.amdhsa_system_vgpr_workitem_id 0
		.amdhsa_next_free_vgpr 12
		.amdhsa_next_free_sgpr 13
		.amdhsa_accum_offset 12
		.amdhsa_reserve_vcc 1
		.amdhsa_reserve_flat_scratch 0
		.amdhsa_float_round_mode_32 0
		.amdhsa_float_round_mode_16_64 0
		.amdhsa_float_denorm_mode_32 3
		.amdhsa_float_denorm_mode_16_64 3
		.amdhsa_dx10_clamp 1
		.amdhsa_ieee_mode 1
		.amdhsa_fp16_overflow 0
		.amdhsa_tg_split 0
		.amdhsa_exception_fp_ieee_invalid_op 0
		.amdhsa_exception_fp_denorm_src 0
		.amdhsa_exception_fp_ieee_div_zero 0
		.amdhsa_exception_fp_ieee_overflow 0
		.amdhsa_exception_fp_ieee_underflow 0
		.amdhsa_exception_fp_ieee_inexact 0
		.amdhsa_exception_int_div_zero 0
	.end_amdhsa_kernel
	.section	.text._ZN5aiter24topk_softplus_kernel_optI6__halfS1_Li64ELb0ELi0EEEvPKT_PKT0_PfPimiif,"axG",@progbits,_ZN5aiter24topk_softplus_kernel_optI6__halfS1_Li64ELb0ELi0EEEvPKT_PKT0_PfPimiif,comdat
.Lfunc_end158:
	.size	_ZN5aiter24topk_softplus_kernel_optI6__halfS1_Li64ELb0ELi0EEEvPKT_PKT0_PfPimiif, .Lfunc_end158-_ZN5aiter24topk_softplus_kernel_optI6__halfS1_Li64ELb0ELi0EEEvPKT_PKT0_PfPimiif
                                        ; -- End function
	.section	.AMDGPU.csdata,"",@progbits
; Kernel info:
; codeLenInByte = 732
; NumSgprs: 17
; NumVgprs: 12
; NumAgprs: 0
; TotalNumVgprs: 12
; ScratchSize: 0
; MemoryBound: 0
; FloatMode: 240
; IeeeMode: 1
; LDSByteSize: 0 bytes/workgroup (compile time only)
; SGPRBlocks: 2
; VGPRBlocks: 1
; NumSGPRsForWavesPerEU: 17
; NumVGPRsForWavesPerEU: 12
; AccumOffset: 12
; Occupancy: 8
; WaveLimiterHint : 0
; COMPUTE_PGM_RSRC2:SCRATCH_EN: 0
; COMPUTE_PGM_RSRC2:USER_SGPR: 6
; COMPUTE_PGM_RSRC2:TRAP_HANDLER: 0
; COMPUTE_PGM_RSRC2:TGID_X_EN: 1
; COMPUTE_PGM_RSRC2:TGID_Y_EN: 0
; COMPUTE_PGM_RSRC2:TGID_Z_EN: 0
; COMPUTE_PGM_RSRC2:TIDIG_COMP_CNT: 0
; COMPUTE_PGM_RSRC3_GFX90A:ACCUM_OFFSET: 2
; COMPUTE_PGM_RSRC3_GFX90A:TG_SPLIT: 0
	.section	.text._ZN5aiter24topk_softplus_kernel_optI6__halfS1_Li128ELb1ELi0EEEvPKT_PKT0_PfPimiif,"axG",@progbits,_ZN5aiter24topk_softplus_kernel_optI6__halfS1_Li128ELb1ELi0EEEvPKT_PKT0_PfPimiif,comdat
	.protected	_ZN5aiter24topk_softplus_kernel_optI6__halfS1_Li128ELb1ELi0EEEvPKT_PKT0_PfPimiif ; -- Begin function _ZN5aiter24topk_softplus_kernel_optI6__halfS1_Li128ELb1ELi0EEEvPKT_PKT0_PfPimiif
	.globl	_ZN5aiter24topk_softplus_kernel_optI6__halfS1_Li128ELb1ELi0EEEvPKT_PKT0_PfPimiif
	.p2align	8
	.type	_ZN5aiter24topk_softplus_kernel_optI6__halfS1_Li128ELb1ELi0EEEvPKT_PKT0_PfPimiif,@function
_ZN5aiter24topk_softplus_kernel_optI6__halfS1_Li128ELb1ELi0EEEvPKT_PKT0_PfPimiif: ; @_ZN5aiter24topk_softplus_kernel_optI6__halfS1_Li128ELb1ELi0EEEvPKT_PKT0_PfPimiif
; %bb.0:
	s_load_dwordx4 s[8:11], s[4:5], 0x0
	s_lshl_b32 s0, s6, 7
	s_ashr_i32 s1, s0, 31
	s_lshl_b64 s[0:1], s[0:1], 1
	v_lshlrev_b32_e32 v1, 1, v0
	s_waitcnt lgkmcnt(0)
	s_add_u32 s0, s8, s0
	s_addc_u32 s1, s9, s1
	global_load_ushort v2, v1, s[0:1]
	s_mov_b32 s13, 0xc2fc0000
	v_mov_b32_e32 v5, 0x42800000
	s_mov_b32 s12, 0x3fb8aa3b
	v_mov_b32_e32 v7, 0x1f800000
	;; [unrolled: 2-line block ×3, first 2 shown]
	v_mov_b32_e32 v9, 0x42000000
	s_movk_i32 s7, 0x4d00
	s_mov_b32 s15, 0xf800000
	s_cmp_lg_u64 s[10:11], 0
	s_cselect_b64 s[8:9], -1, 0
	s_waitcnt vmcnt(0)
	v_cvt_f32_f16_e32 v3, v2
	v_mul_f32_e32 v4, 0x3fb8aa3b, v3
	v_cmp_gt_f32_e32 vcc, s13, v4
	v_cndmask_b32_e32 v4, 0, v5, vcc
	v_fma_mix_f32 v4, v2, s12, v4 op_sel_hi:[1,0,0]
	v_exp_f32_e32 v6, v4
	v_cndmask_b32_e32 v10, 1.0, v7, vcc
	v_mov_b32_e32 v4, 0x260
	v_fma_f32 v6, v6, v10, 1.0
	v_cmp_gt_f32_e32 vcc, s14, v6
	v_cndmask_b32_e32 v10, 1.0, v8, vcc
	v_mul_f32_e32 v6, v6, v10
	v_log_f32_e32 v6, v6
	v_cndmask_b32_e32 v11, 0, v9, vcc
	v_cmp_lt_f16_e32 vcc, s7, v2
	v_mov_b32_e32 v10, s1
	v_sub_f32_e32 v6, v6, v11
	v_mul_f32_e32 v6, 0x3f317218, v6
	v_cndmask_b32_e32 v2, v6, v3, vcc
	v_mul_f32_e32 v3, 0x4f800000, v2
	v_cmp_gt_f32_e32 vcc, s15, v2
	v_cndmask_b32_e32 v6, v2, v3, vcc
	v_sqrt_f32_e32 v11, v6
	v_add_co_u32_e64 v2, s[0:1], s0, v1
	v_addc_co_u32_e64 v3, s[0:1], 0, v10, s[0:1]
	v_add_u32_e32 v10, -1, v11
	v_add_u32_e32 v12, 1, v11
	v_fma_f32 v13, -v10, v11, v6
	v_fma_f32 v14, -v12, v11, v6
	v_cmp_ge_f32_e64 s[2:3], 0, v13
	v_cndmask_b32_e64 v10, v11, v10, s[2:3]
	v_cmp_lt_f32_e64 s[2:3], 0, v14
	v_cndmask_b32_e64 v10, v10, v12, s[2:3]
	v_mul_f32_e32 v11, 0x37800000, v10
	v_cndmask_b32_e32 v10, v10, v11, vcc
	v_cmp_class_f32_e32 vcc, v6, v4
	s_and_b64 s[0:1], exec, s[8:9]
	v_cndmask_b32_e32 v6, v10, v6, vcc
	v_mov_b32_e32 v10, v6
	s_mov_b64 vcc, s[0:1]
	s_cbranch_vccz .LBB159_2
; %bb.1:
	global_load_ushort v10, v1, s[10:11]
	s_waitcnt vmcnt(0)
	v_cvt_f32_f16_e32 v10, v10
	v_add_f32_e32 v10, v6, v10
.LBB159_2:
	global_load_ushort v2, v[2:3], off offset:128
	s_waitcnt vmcnt(0)
	v_cvt_f32_f16_e32 v3, v2
	v_mul_f32_e32 v11, 0x3fb8aa3b, v3
	v_cmp_gt_f32_e32 vcc, s13, v11
	v_cndmask_b32_e32 v5, 0, v5, vcc
	v_fma_mix_f32 v5, v2, s12, v5 op_sel_hi:[1,0,0]
	v_exp_f32_e32 v5, v5
	v_cndmask_b32_e32 v7, 1.0, v7, vcc
	v_fma_f32 v5, v5, v7, 1.0
	v_cmp_gt_f32_e32 vcc, s14, v5
	v_cndmask_b32_e32 v7, 1.0, v8, vcc
	v_mul_f32_e32 v5, v5, v7
	v_log_f32_e32 v5, v5
	v_cndmask_b32_e32 v7, 0, v9, vcc
	v_cmp_lt_f16_e32 vcc, s7, v2
	v_sub_f32_e32 v5, v5, v7
	v_mul_f32_e32 v5, 0x3f317218, v5
	v_cndmask_b32_e32 v2, v5, v3, vcc
	v_mul_f32_e32 v3, 0x4f800000, v2
	v_cmp_gt_f32_e32 vcc, s15, v2
	v_cndmask_b32_e32 v2, v2, v3, vcc
	v_sqrt_f32_e32 v3, v2
	v_add_u32_e32 v5, -1, v3
	v_add_u32_e32 v7, 1, v3
	v_fma_f32 v8, -v5, v3, v2
	v_fma_f32 v9, -v7, v3, v2
	v_cmp_ge_f32_e64 s[0:1], 0, v8
	v_cndmask_b32_e64 v3, v3, v5, s[0:1]
	v_cmp_lt_f32_e64 s[0:1], 0, v9
	v_cndmask_b32_e64 v3, v3, v7, s[0:1]
	v_mul_f32_e32 v5, 0x37800000, v3
	v_cndmask_b32_e32 v3, v3, v5, vcc
	v_cmp_class_f32_e32 vcc, v2, v4
	v_cndmask_b32_e32 v11, v3, v2, vcc
	s_andn2_b64 vcc, exec, s[8:9]
	v_mov_b32_e32 v4, v11
	s_cbranch_vccnz .LBB159_4
; %bb.3:
	global_load_ushort v1, v1, s[10:11] offset:128
	s_waitcnt vmcnt(0)
	v_cvt_f32_f16_e32 v1, v1
	v_add_f32_e32 v4, v11, v1
.LBB159_4:
	s_load_dword s2, s[4:5], 0x28
	s_load_dwordx4 s[8:11], s[4:5], 0x10
	v_mov_b32_e32 v9, 0
	v_mov_b32_e32 v7, 0
	;; [unrolled: 1-line block ×3, first 2 shown]
	s_waitcnt lgkmcnt(0)
	s_cmp_gt_i32 s2, 0
	s_cbranch_scc0 .LBB159_7
; %bb.5:
	v_mbcnt_lo_u32_b32 v7, -1, 0
	v_add_u32_e32 v2, 64, v0
	v_cmp_lt_f32_e32 vcc, v10, v4
	v_mbcnt_hi_u32_b32 v7, -1, v7
	v_bfrev_b32_e32 v8, 0.5
	v_cndmask_b32_e32 v1, v2, v0, vcc
	v_cndmask_b32_e32 v2, v0, v2, vcc
	;; [unrolled: 1-line block ×6, first 2 shown]
	v_mov_b32_e32 v9, 0
	v_mov_b32_e32 v10, 0
	;; [unrolled: 1-line block ×3, first 2 shown]
	v_lshl_or_b32 v12, v7, 2, v8
	v_mov_b32_e32 v13, v0
	s_mov_b32 s3, s2
	v_mov_b32_e32 v7, 0
	v_mov_b32_e32 v8, 0
.LBB159_6:                              ; =>This Inner Loop Header: Depth=1
	v_cmp_eq_u32_e32 vcc, 1, v10
	v_cndmask_b32_e32 v14, v4, v3, vcc
	v_cmp_gt_u32_e64 s[0:1], 2, v10
	v_cndmask_b32_e64 v14, v11, v14, s[0:1]
	;;#ASMSTART
	v_max_f32 v18, v14, v14 quad_perm:[1,0,3,2] row_mask:0xf bank_mask:0xf bound_ctrl:1
	;;#ASMEND
	;;#ASMSTART
	v_max_f32 v19, v18, v18 quad_perm:[2,3,0,1] row_mask:0xf bank_mask:0xf bound_ctrl:1
	;;#ASMEND
	;;#ASMSTART
	v_max_f32 v18, v19, v19 row_half_mirror row_mask:0xf bank_mask:0xf bound_ctrl:1
	;;#ASMEND
	;;#ASMSTART
	v_max_f32 v19, v18, v18 row_mirror row_mask:0xf bank_mask:0xf bound_ctrl:1
	;;#ASMEND
	;;#ASMSTART
	v_max_f32 v18, v19, v19 row_ror:4 row_mask:0xf bank_mask:0xf bound_ctrl:1
	;;#ASMEND
	;;#ASMSTART
	v_max_f32 v19, v18, v18 row_ror:8 row_mask:0xf bank_mask:0xf bound_ctrl:1
	;;#ASMEND
	;;#ASMSTART
	v_max_f32 v18, v19, v19 row_bcast:15 row_mask:0xf bank_mask:0xf bound_ctrl:1
	;;#ASMEND
	;;#ASMSTART
	v_max_f32 v19, v18, v18 row_bcast:31 row_mask:0xf bank_mask:0xf bound_ctrl:1
	;;#ASMEND
	ds_bpermute_b32 v18, v12, v19
	v_cndmask_b32_e32 v15, v2, v1, vcc
	v_cndmask_b32_e32 v16, v6, v5, vcc
	v_cndmask_b32_e64 v17, 0, v15, s[0:1]
	s_waitcnt lgkmcnt(0)
	v_cmp_eq_f32_e32 vcc, v14, v18
	s_ff1_i32_b64 s7, vcc
	s_cmp_lg_u64 vcc, 0
	s_cselect_b32 s7, s7, 0
	v_readlane_b32 s7, v17, s7
	v_cmp_eq_u32_e32 vcc, s7, v15
	s_and_b64 vcc, s[0:1], vcc
	s_and_b32 s12, s7, 63
	v_cndmask_b32_e32 v15, 0, v16, vcc
	v_addc_co_u32_e32 v10, vcc, 0, v10, vcc
	v_readlane_b32 s0, v15, s12
	s_add_i32 s3, s3, -1
	v_mov_b32_e32 v14, s7
	v_mov_b32_e32 v15, s0
	v_cmp_eq_u32_e32 vcc, 0, v13
	s_cmp_eq_u32 s3, 0
	v_add_f32_e32 v9, s0, v9
	v_add_u32_e32 v13, -1, v13
	v_cndmask_b32_e32 v8, v8, v15, vcc
	v_cndmask_b32_e32 v7, v7, v14, vcc
	s_cbranch_scc0 .LBB159_6
.LBB159_7:
	v_cmp_gt_i32_e32 vcc, s2, v0
	s_and_saveexec_b64 s[0:1], vcc
	s_cbranch_execz .LBB159_9
; %bb.8:
	s_load_dword s2, s[4:5], 0x30
	v_max_f32_e32 v1, v9, v9
	v_max_f32_e32 v1, 0x1e3ce508, v1
	v_lshlrev_b32_e32 v0, 2, v0
	s_waitcnt lgkmcnt(0)
	v_div_scale_f32 v2, s[0:1], v1, v1, s2
	v_rcp_f32_e32 v3, v2
	v_div_scale_f32 v4, vcc, s2, v1, s2
	s_load_dwordx2 s[0:1], s[4:5], 0x20
	v_fma_f32 v5, -v2, v3, 1.0
	v_fmac_f32_e32 v3, v5, v3
	v_mul_f32_e32 v5, v4, v3
	v_fma_f32 v6, -v2, v5, v4
	v_fmac_f32_e32 v5, v6, v3
	v_fma_f32 v2, -v2, v5, v4
	v_div_fmas_f32 v2, v2, v3, v5
	v_div_fixup_f32 v1, v2, v1, s2
	s_ashr_i32 s2, s6, 31
	s_waitcnt lgkmcnt(0)
	s_mul_i32 s1, s6, s1
	s_mul_hi_u32 s3, s6, s0
	s_add_i32 s1, s3, s1
	s_mul_i32 s2, s2, s0
	s_add_i32 s1, s1, s2
	s_mul_i32 s0, s6, s0
	s_lshl_b64 s[0:1], s[0:1], 2
	s_add_u32 s2, s8, s0
	s_addc_u32 s3, s9, s1
	s_add_u32 s0, s10, s0
	v_mul_f32_e32 v1, v8, v1
	s_addc_u32 s1, s11, s1
	global_store_dword v0, v1, s[2:3]
	global_store_dword v0, v7, s[0:1]
.LBB159_9:
	s_endpgm
	.section	.rodata,"a",@progbits
	.p2align	6, 0x0
	.amdhsa_kernel _ZN5aiter24topk_softplus_kernel_optI6__halfS1_Li128ELb1ELi0EEEvPKT_PKT0_PfPimiif
		.amdhsa_group_segment_fixed_size 0
		.amdhsa_private_segment_fixed_size 0
		.amdhsa_kernarg_size 52
		.amdhsa_user_sgpr_count 6
		.amdhsa_user_sgpr_private_segment_buffer 1
		.amdhsa_user_sgpr_dispatch_ptr 0
		.amdhsa_user_sgpr_queue_ptr 0
		.amdhsa_user_sgpr_kernarg_segment_ptr 1
		.amdhsa_user_sgpr_dispatch_id 0
		.amdhsa_user_sgpr_flat_scratch_init 0
		.amdhsa_user_sgpr_kernarg_preload_length 0
		.amdhsa_user_sgpr_kernarg_preload_offset 0
		.amdhsa_user_sgpr_private_segment_size 0
		.amdhsa_uses_dynamic_stack 0
		.amdhsa_system_sgpr_private_segment_wavefront_offset 0
		.amdhsa_system_sgpr_workgroup_id_x 1
		.amdhsa_system_sgpr_workgroup_id_y 0
		.amdhsa_system_sgpr_workgroup_id_z 0
		.amdhsa_system_sgpr_workgroup_info 0
		.amdhsa_system_vgpr_workitem_id 0
		.amdhsa_next_free_vgpr 20
		.amdhsa_next_free_sgpr 16
		.amdhsa_accum_offset 20
		.amdhsa_reserve_vcc 1
		.amdhsa_reserve_flat_scratch 0
		.amdhsa_float_round_mode_32 0
		.amdhsa_float_round_mode_16_64 0
		.amdhsa_float_denorm_mode_32 3
		.amdhsa_float_denorm_mode_16_64 3
		.amdhsa_dx10_clamp 1
		.amdhsa_ieee_mode 1
		.amdhsa_fp16_overflow 0
		.amdhsa_tg_split 0
		.amdhsa_exception_fp_ieee_invalid_op 0
		.amdhsa_exception_fp_denorm_src 0
		.amdhsa_exception_fp_ieee_div_zero 0
		.amdhsa_exception_fp_ieee_overflow 0
		.amdhsa_exception_fp_ieee_underflow 0
		.amdhsa_exception_fp_ieee_inexact 0
		.amdhsa_exception_int_div_zero 0
	.end_amdhsa_kernel
	.section	.text._ZN5aiter24topk_softplus_kernel_optI6__halfS1_Li128ELb1ELi0EEEvPKT_PKT0_PfPimiif,"axG",@progbits,_ZN5aiter24topk_softplus_kernel_optI6__halfS1_Li128ELb1ELi0EEEvPKT_PKT0_PfPimiif,comdat
.Lfunc_end159:
	.size	_ZN5aiter24topk_softplus_kernel_optI6__halfS1_Li128ELb1ELi0EEEvPKT_PKT0_PfPimiif, .Lfunc_end159-_ZN5aiter24topk_softplus_kernel_optI6__halfS1_Li128ELb1ELi0EEEvPKT_PKT0_PfPimiif
                                        ; -- End function
	.section	.AMDGPU.csdata,"",@progbits
; Kernel info:
; codeLenInByte = 1128
; NumSgprs: 20
; NumVgprs: 20
; NumAgprs: 0
; TotalNumVgprs: 20
; ScratchSize: 0
; MemoryBound: 0
; FloatMode: 240
; IeeeMode: 1
; LDSByteSize: 0 bytes/workgroup (compile time only)
; SGPRBlocks: 2
; VGPRBlocks: 2
; NumSGPRsForWavesPerEU: 20
; NumVGPRsForWavesPerEU: 20
; AccumOffset: 20
; Occupancy: 8
; WaveLimiterHint : 0
; COMPUTE_PGM_RSRC2:SCRATCH_EN: 0
; COMPUTE_PGM_RSRC2:USER_SGPR: 6
; COMPUTE_PGM_RSRC2:TRAP_HANDLER: 0
; COMPUTE_PGM_RSRC2:TGID_X_EN: 1
; COMPUTE_PGM_RSRC2:TGID_Y_EN: 0
; COMPUTE_PGM_RSRC2:TGID_Z_EN: 0
; COMPUTE_PGM_RSRC2:TIDIG_COMP_CNT: 0
; COMPUTE_PGM_RSRC3_GFX90A:ACCUM_OFFSET: 4
; COMPUTE_PGM_RSRC3_GFX90A:TG_SPLIT: 0
	.section	.text._ZN5aiter24topk_softplus_kernel_optI6__halfS1_Li128ELb0ELi0EEEvPKT_PKT0_PfPimiif,"axG",@progbits,_ZN5aiter24topk_softplus_kernel_optI6__halfS1_Li128ELb0ELi0EEEvPKT_PKT0_PfPimiif,comdat
	.protected	_ZN5aiter24topk_softplus_kernel_optI6__halfS1_Li128ELb0ELi0EEEvPKT_PKT0_PfPimiif ; -- Begin function _ZN5aiter24topk_softplus_kernel_optI6__halfS1_Li128ELb0ELi0EEEvPKT_PKT0_PfPimiif
	.globl	_ZN5aiter24topk_softplus_kernel_optI6__halfS1_Li128ELb0ELi0EEEvPKT_PKT0_PfPimiif
	.p2align	8
	.type	_ZN5aiter24topk_softplus_kernel_optI6__halfS1_Li128ELb0ELi0EEEvPKT_PKT0_PfPimiif,@function
_ZN5aiter24topk_softplus_kernel_optI6__halfS1_Li128ELb0ELi0EEEvPKT_PKT0_PfPimiif: ; @_ZN5aiter24topk_softplus_kernel_optI6__halfS1_Li128ELb0ELi0EEEvPKT_PKT0_PfPimiif
; %bb.0:
	s_load_dwordx4 s[8:11], s[4:5], 0x0
	s_lshl_b32 s0, s6, 7
	s_ashr_i32 s1, s0, 31
	s_lshl_b64 s[0:1], s[0:1], 1
	v_lshlrev_b32_e32 v1, 1, v0
	s_waitcnt lgkmcnt(0)
	s_add_u32 s0, s8, s0
	s_addc_u32 s1, s9, s1
	global_load_ushort v2, v1, s[0:1]
	s_mov_b32 s13, 0xc2fc0000
	v_mov_b32_e32 v5, 0x42800000
	s_mov_b32 s12, 0x3fb8aa3b
	v_mov_b32_e32 v7, 0x1f800000
	;; [unrolled: 2-line block ×3, first 2 shown]
	v_mov_b32_e32 v9, 0x42000000
	s_movk_i32 s7, 0x4d00
	s_mov_b32 s15, 0xf800000
	s_cmp_lg_u64 s[10:11], 0
	s_cselect_b64 s[8:9], -1, 0
	s_waitcnt vmcnt(0)
	v_cvt_f32_f16_e32 v3, v2
	v_mul_f32_e32 v4, 0x3fb8aa3b, v3
	v_cmp_gt_f32_e32 vcc, s13, v4
	v_cndmask_b32_e32 v4, 0, v5, vcc
	v_fma_mix_f32 v4, v2, s12, v4 op_sel_hi:[1,0,0]
	v_exp_f32_e32 v6, v4
	v_cndmask_b32_e32 v10, 1.0, v7, vcc
	v_mov_b32_e32 v4, 0x260
	v_fma_f32 v6, v6, v10, 1.0
	v_cmp_gt_f32_e32 vcc, s14, v6
	v_cndmask_b32_e32 v10, 1.0, v8, vcc
	v_mul_f32_e32 v6, v6, v10
	v_log_f32_e32 v6, v6
	v_cndmask_b32_e32 v11, 0, v9, vcc
	v_cmp_lt_f16_e32 vcc, s7, v2
	v_mov_b32_e32 v10, s1
	v_sub_f32_e32 v6, v6, v11
	v_mul_f32_e32 v6, 0x3f317218, v6
	v_cndmask_b32_e32 v2, v6, v3, vcc
	v_mul_f32_e32 v3, 0x4f800000, v2
	v_cmp_gt_f32_e32 vcc, s15, v2
	v_cndmask_b32_e32 v6, v2, v3, vcc
	v_sqrt_f32_e32 v11, v6
	v_add_co_u32_e64 v2, s[0:1], s0, v1
	v_addc_co_u32_e64 v3, s[0:1], 0, v10, s[0:1]
	v_add_u32_e32 v10, -1, v11
	v_add_u32_e32 v12, 1, v11
	v_fma_f32 v13, -v10, v11, v6
	v_fma_f32 v14, -v12, v11, v6
	v_cmp_ge_f32_e64 s[2:3], 0, v13
	v_cndmask_b32_e64 v10, v11, v10, s[2:3]
	v_cmp_lt_f32_e64 s[2:3], 0, v14
	v_cndmask_b32_e64 v10, v10, v12, s[2:3]
	v_mul_f32_e32 v11, 0x37800000, v10
	v_cndmask_b32_e32 v10, v10, v11, vcc
	v_cmp_class_f32_e32 vcc, v6, v4
	s_and_b64 s[0:1], exec, s[8:9]
	v_cndmask_b32_e32 v6, v10, v6, vcc
	v_mov_b32_e32 v10, v6
	s_mov_b64 vcc, s[0:1]
	s_cbranch_vccz .LBB160_2
; %bb.1:
	global_load_ushort v10, v1, s[10:11]
	s_waitcnt vmcnt(0)
	v_cvt_f32_f16_e32 v10, v10
	v_add_f32_e32 v10, v6, v10
.LBB160_2:
	global_load_ushort v2, v[2:3], off offset:128
	s_waitcnt vmcnt(0)
	v_cvt_f32_f16_e32 v3, v2
	v_mul_f32_e32 v11, 0x3fb8aa3b, v3
	v_cmp_gt_f32_e32 vcc, s13, v11
	v_cndmask_b32_e32 v5, 0, v5, vcc
	v_fma_mix_f32 v5, v2, s12, v5 op_sel_hi:[1,0,0]
	v_exp_f32_e32 v5, v5
	v_cndmask_b32_e32 v7, 1.0, v7, vcc
	v_fma_f32 v5, v5, v7, 1.0
	v_cmp_gt_f32_e32 vcc, s14, v5
	v_cndmask_b32_e32 v7, 1.0, v8, vcc
	v_mul_f32_e32 v5, v5, v7
	v_log_f32_e32 v5, v5
	v_cndmask_b32_e32 v7, 0, v9, vcc
	v_cmp_lt_f16_e32 vcc, s7, v2
	v_sub_f32_e32 v5, v5, v7
	v_mul_f32_e32 v5, 0x3f317218, v5
	v_cndmask_b32_e32 v2, v5, v3, vcc
	v_mul_f32_e32 v3, 0x4f800000, v2
	v_cmp_gt_f32_e32 vcc, s15, v2
	v_cndmask_b32_e32 v2, v2, v3, vcc
	v_sqrt_f32_e32 v3, v2
	v_add_u32_e32 v5, -1, v3
	v_add_u32_e32 v7, 1, v3
	v_fma_f32 v8, -v5, v3, v2
	v_fma_f32 v9, -v7, v3, v2
	v_cmp_ge_f32_e64 s[0:1], 0, v8
	v_cndmask_b32_e64 v3, v3, v5, s[0:1]
	v_cmp_lt_f32_e64 s[0:1], 0, v9
	v_cndmask_b32_e64 v3, v3, v7, s[0:1]
	v_mul_f32_e32 v5, 0x37800000, v3
	v_cndmask_b32_e32 v3, v3, v5, vcc
	v_cmp_class_f32_e32 vcc, v2, v4
	v_cndmask_b32_e32 v8, v3, v2, vcc
	s_andn2_b64 vcc, exec, s[8:9]
	v_mov_b32_e32 v4, v8
	s_cbranch_vccnz .LBB160_4
; %bb.3:
	global_load_ushort v1, v1, s[10:11] offset:128
	s_waitcnt vmcnt(0)
	v_cvt_f32_f16_e32 v1, v1
	v_add_f32_e32 v4, v8, v1
.LBB160_4:
	s_load_dword s2, s[4:5], 0x28
	s_load_dwordx4 s[8:11], s[4:5], 0x10
	v_mov_b32_e32 v7, 0
	s_waitcnt lgkmcnt(0)
	s_cmp_gt_i32 s2, 0
	s_cbranch_scc0 .LBB160_10
; %bb.5:
	v_mbcnt_lo_u32_b32 v7, -1, 0
	v_add_u32_e32 v2, 64, v0
	v_cmp_lt_f32_e32 vcc, v10, v4
	v_mbcnt_hi_u32_b32 v7, -1, v7
	v_bfrev_b32_e32 v11, 0.5
	v_cndmask_b32_e32 v1, v2, v0, vcc
	v_cndmask_b32_e32 v2, v0, v2, vcc
	;; [unrolled: 1-line block ×6, first 2 shown]
	v_mov_b32_e32 v9, 0
	v_mov_b32_e32 v8, 0
	;; [unrolled: 1-line block ×3, first 2 shown]
	v_lshl_or_b32 v11, v7, 2, v11
	v_mov_b32_e32 v12, v0
	s_mov_b32 s3, s2
	v_mov_b32_e32 v7, 0
.LBB160_6:                              ; =>This Inner Loop Header: Depth=1
	v_cmp_eq_u32_e32 vcc, 1, v9
	v_cndmask_b32_e32 v13, v4, v3, vcc
	v_cmp_gt_u32_e64 s[0:1], 2, v9
	v_cndmask_b32_e64 v13, v10, v13, s[0:1]
	;;#ASMSTART
	v_max_f32 v17, v13, v13 quad_perm:[1,0,3,2] row_mask:0xf bank_mask:0xf bound_ctrl:1
	;;#ASMEND
	;;#ASMSTART
	v_max_f32 v18, v17, v17 quad_perm:[2,3,0,1] row_mask:0xf bank_mask:0xf bound_ctrl:1
	;;#ASMEND
	;;#ASMSTART
	v_max_f32 v17, v18, v18 row_half_mirror row_mask:0xf bank_mask:0xf bound_ctrl:1
	;;#ASMEND
	;;#ASMSTART
	v_max_f32 v18, v17, v17 row_mirror row_mask:0xf bank_mask:0xf bound_ctrl:1
	;;#ASMEND
	;;#ASMSTART
	v_max_f32 v17, v18, v18 row_ror:4 row_mask:0xf bank_mask:0xf bound_ctrl:1
	;;#ASMEND
	;;#ASMSTART
	v_max_f32 v18, v17, v17 row_ror:8 row_mask:0xf bank_mask:0xf bound_ctrl:1
	;;#ASMEND
	;;#ASMSTART
	v_max_f32 v17, v18, v18 row_bcast:15 row_mask:0xf bank_mask:0xf bound_ctrl:1
	;;#ASMEND
	;;#ASMSTART
	v_max_f32 v18, v17, v17 row_bcast:31 row_mask:0xf bank_mask:0xf bound_ctrl:1
	;;#ASMEND
	ds_bpermute_b32 v17, v11, v18
	v_cndmask_b32_e32 v14, v2, v1, vcc
	v_cndmask_b32_e32 v15, v6, v5, vcc
	v_cndmask_b32_e64 v16, 0, v14, s[0:1]
	s_waitcnt lgkmcnt(0)
	v_cmp_eq_f32_e32 vcc, v13, v17
	s_ff1_i32_b64 s7, vcc
	s_cmp_lg_u64 vcc, 0
	s_cselect_b32 s7, s7, 0
	v_readlane_b32 s7, v16, s7
	v_cmp_eq_u32_e32 vcc, s7, v14
	s_and_b64 vcc, s[0:1], vcc
	s_and_b32 s12, s7, 63
	v_cndmask_b32_e32 v14, 0, v15, vcc
	v_addc_co_u32_e32 v9, vcc, 0, v9, vcc
	v_readlane_b32 s0, v14, s12
	s_add_i32 s3, s3, -1
	v_mov_b32_e32 v13, s7
	v_mov_b32_e32 v14, s0
	v_cmp_eq_u32_e32 vcc, 0, v12
	s_cmp_eq_u32 s3, 0
	v_add_u32_e32 v12, -1, v12
	v_cndmask_b32_e32 v8, v8, v14, vcc
	v_cndmask_b32_e32 v7, v7, v13, vcc
	s_cbranch_scc0 .LBB160_6
; %bb.7:
	v_cmp_gt_i32_e32 vcc, s2, v0
	s_and_saveexec_b64 s[0:1], vcc
	s_cbranch_execz .LBB160_9
.LBB160_8:
	s_load_dword s2, s[4:5], 0x30
	s_load_dwordx2 s[0:1], s[4:5], 0x20
	s_ashr_i32 s3, s6, 31
	v_lshlrev_b32_e32 v0, 2, v0
	s_waitcnt lgkmcnt(0)
	v_mul_f32_e32 v1, s2, v8
	s_mul_i32 s1, s6, s1
	s_mul_hi_u32 s2, s6, s0
	s_add_i32 s1, s2, s1
	s_mul_i32 s3, s3, s0
	s_add_i32 s1, s1, s3
	s_mul_i32 s0, s6, s0
	s_lshl_b64 s[0:1], s[0:1], 2
	s_add_u32 s2, s8, s0
	s_addc_u32 s3, s9, s1
	s_add_u32 s0, s10, s0
	s_addc_u32 s1, s11, s1
	global_store_dword v0, v1, s[2:3]
	global_store_dword v0, v7, s[0:1]
.LBB160_9:
	s_endpgm
.LBB160_10:
	v_mov_b32_e32 v8, 0
	v_cmp_gt_i32_e32 vcc, s2, v0
	s_and_saveexec_b64 s[0:1], vcc
	s_cbranch_execnz .LBB160_8
	s_branch .LBB160_9
	.section	.rodata,"a",@progbits
	.p2align	6, 0x0
	.amdhsa_kernel _ZN5aiter24topk_softplus_kernel_optI6__halfS1_Li128ELb0ELi0EEEvPKT_PKT0_PfPimiif
		.amdhsa_group_segment_fixed_size 0
		.amdhsa_private_segment_fixed_size 0
		.amdhsa_kernarg_size 52
		.amdhsa_user_sgpr_count 6
		.amdhsa_user_sgpr_private_segment_buffer 1
		.amdhsa_user_sgpr_dispatch_ptr 0
		.amdhsa_user_sgpr_queue_ptr 0
		.amdhsa_user_sgpr_kernarg_segment_ptr 1
		.amdhsa_user_sgpr_dispatch_id 0
		.amdhsa_user_sgpr_flat_scratch_init 0
		.amdhsa_user_sgpr_kernarg_preload_length 0
		.amdhsa_user_sgpr_kernarg_preload_offset 0
		.amdhsa_user_sgpr_private_segment_size 0
		.amdhsa_uses_dynamic_stack 0
		.amdhsa_system_sgpr_private_segment_wavefront_offset 0
		.amdhsa_system_sgpr_workgroup_id_x 1
		.amdhsa_system_sgpr_workgroup_id_y 0
		.amdhsa_system_sgpr_workgroup_id_z 0
		.amdhsa_system_sgpr_workgroup_info 0
		.amdhsa_system_vgpr_workitem_id 0
		.amdhsa_next_free_vgpr 19
		.amdhsa_next_free_sgpr 16
		.amdhsa_accum_offset 20
		.amdhsa_reserve_vcc 1
		.amdhsa_reserve_flat_scratch 0
		.amdhsa_float_round_mode_32 0
		.amdhsa_float_round_mode_16_64 0
		.amdhsa_float_denorm_mode_32 3
		.amdhsa_float_denorm_mode_16_64 3
		.amdhsa_dx10_clamp 1
		.amdhsa_ieee_mode 1
		.amdhsa_fp16_overflow 0
		.amdhsa_tg_split 0
		.amdhsa_exception_fp_ieee_invalid_op 0
		.amdhsa_exception_fp_denorm_src 0
		.amdhsa_exception_fp_ieee_div_zero 0
		.amdhsa_exception_fp_ieee_overflow 0
		.amdhsa_exception_fp_ieee_underflow 0
		.amdhsa_exception_fp_ieee_inexact 0
		.amdhsa_exception_int_div_zero 0
	.end_amdhsa_kernel
	.section	.text._ZN5aiter24topk_softplus_kernel_optI6__halfS1_Li128ELb0ELi0EEEvPKT_PKT0_PfPimiif,"axG",@progbits,_ZN5aiter24topk_softplus_kernel_optI6__halfS1_Li128ELb0ELi0EEEvPKT_PKT0_PfPimiif,comdat
.Lfunc_end160:
	.size	_ZN5aiter24topk_softplus_kernel_optI6__halfS1_Li128ELb0ELi0EEEvPKT_PKT0_PfPimiif, .Lfunc_end160-_ZN5aiter24topk_softplus_kernel_optI6__halfS1_Li128ELb0ELi0EEEvPKT_PKT0_PfPimiif
                                        ; -- End function
	.section	.AMDGPU.csdata,"",@progbits
; Kernel info:
; codeLenInByte = 1044
; NumSgprs: 20
; NumVgprs: 19
; NumAgprs: 0
; TotalNumVgprs: 19
; ScratchSize: 0
; MemoryBound: 0
; FloatMode: 240
; IeeeMode: 1
; LDSByteSize: 0 bytes/workgroup (compile time only)
; SGPRBlocks: 2
; VGPRBlocks: 2
; NumSGPRsForWavesPerEU: 20
; NumVGPRsForWavesPerEU: 19
; AccumOffset: 20
; Occupancy: 8
; WaveLimiterHint : 0
; COMPUTE_PGM_RSRC2:SCRATCH_EN: 0
; COMPUTE_PGM_RSRC2:USER_SGPR: 6
; COMPUTE_PGM_RSRC2:TRAP_HANDLER: 0
; COMPUTE_PGM_RSRC2:TGID_X_EN: 1
; COMPUTE_PGM_RSRC2:TGID_Y_EN: 0
; COMPUTE_PGM_RSRC2:TGID_Z_EN: 0
; COMPUTE_PGM_RSRC2:TIDIG_COMP_CNT: 0
; COMPUTE_PGM_RSRC3_GFX90A:ACCUM_OFFSET: 4
; COMPUTE_PGM_RSRC3_GFX90A:TG_SPLIT: 0
	.section	.text._ZN5aiter24topk_softplus_kernel_optI6__halfS1_Li256ELb1ELi0EEEvPKT_PKT0_PfPimiif,"axG",@progbits,_ZN5aiter24topk_softplus_kernel_optI6__halfS1_Li256ELb1ELi0EEEvPKT_PKT0_PfPimiif,comdat
	.protected	_ZN5aiter24topk_softplus_kernel_optI6__halfS1_Li256ELb1ELi0EEEvPKT_PKT0_PfPimiif ; -- Begin function _ZN5aiter24topk_softplus_kernel_optI6__halfS1_Li256ELb1ELi0EEEvPKT_PKT0_PfPimiif
	.globl	_ZN5aiter24topk_softplus_kernel_optI6__halfS1_Li256ELb1ELi0EEEvPKT_PKT0_PfPimiif
	.p2align	8
	.type	_ZN5aiter24topk_softplus_kernel_optI6__halfS1_Li256ELb1ELi0EEEvPKT_PKT0_PfPimiif,@function
_ZN5aiter24topk_softplus_kernel_optI6__halfS1_Li256ELb1ELi0EEEvPKT_PKT0_PfPimiif: ; @_ZN5aiter24topk_softplus_kernel_optI6__halfS1_Li256ELb1ELi0EEEvPKT_PKT0_PfPimiif
; %bb.0:
	s_load_dwordx4 s[8:11], s[4:5], 0x0
	s_lshl_b32 s0, s6, 8
	s_ashr_i32 s1, s0, 31
	s_lshl_b64 s[0:1], s[0:1], 1
	v_lshlrev_b32_e32 v1, 1, v0
	s_waitcnt lgkmcnt(0)
	s_add_u32 s0, s8, s0
	s_addc_u32 s1, s9, s1
	global_load_ushort v2, v1, s[0:1]
	s_mov_b32 s13, 0xc2fc0000
	v_mov_b32_e32 v7, 0x42800000
	s_mov_b32 s12, 0x3fb8aa3b
	v_mov_b32_e32 v8, 0x1f800000
	;; [unrolled: 2-line block ×3, first 2 shown]
	v_mov_b32_e32 v10, 0x42000000
	s_movk_i32 s7, 0x4d00
	s_mov_b32 s15, 0xf800000
	s_cmp_lg_u64 s[10:11], 0
	s_cselect_b64 s[8:9], -1, 0
	s_waitcnt vmcnt(0)
	v_cvt_f32_f16_e32 v4, v2
	v_mul_f32_e32 v3, 0x3fb8aa3b, v4
	v_cmp_gt_f32_e32 vcc, s13, v3
	v_cndmask_b32_e32 v3, 0, v7, vcc
	v_fma_mix_f32 v3, v2, s12, v3 op_sel_hi:[1,0,0]
	v_exp_f32_e32 v5, v3
	v_cndmask_b32_e32 v6, 1.0, v8, vcc
	v_mov_b32_e32 v3, 0x260
	v_fma_f32 v5, v5, v6, 1.0
	v_cmp_gt_f32_e32 vcc, s14, v5
	v_cndmask_b32_e32 v6, 1.0, v9, vcc
	v_mul_f32_e32 v5, v5, v6
	v_log_f32_e32 v5, v5
	v_cndmask_b32_e32 v11, 0, v10, vcc
	v_cmp_lt_f16_e32 vcc, s7, v2
	v_mov_b32_e32 v6, s1
	v_sub_f32_e32 v5, v5, v11
	v_mul_f32_e32 v5, 0x3f317218, v5
	v_cndmask_b32_e32 v2, v5, v4, vcc
	v_mul_f32_e32 v4, 0x4f800000, v2
	v_cmp_gt_f32_e32 vcc, s15, v2
	v_cndmask_b32_e32 v2, v2, v4, vcc
	v_sqrt_f32_e32 v11, v2
	v_add_co_u32_e64 v4, s[0:1], s0, v1
	v_addc_co_u32_e64 v5, s[0:1], 0, v6, s[0:1]
	v_add_u32_e32 v6, -1, v11
	v_add_u32_e32 v12, 1, v11
	v_fma_f32 v13, -v6, v11, v2
	v_fma_f32 v14, -v12, v11, v2
	v_cmp_ge_f32_e64 s[2:3], 0, v13
	v_cndmask_b32_e64 v6, v11, v6, s[2:3]
	v_cmp_lt_f32_e64 s[2:3], 0, v14
	v_cndmask_b32_e64 v6, v6, v12, s[2:3]
	v_mul_f32_e32 v11, 0x37800000, v6
	v_cndmask_b32_e32 v6, v6, v11, vcc
	v_cmp_class_f32_e32 vcc, v2, v3
	s_and_b64 s[0:1], exec, s[8:9]
	v_cndmask_b32_e32 v2, v6, v2, vcc
	v_mov_b32_e32 v6, v2
	s_mov_b64 vcc, s[0:1]
	s_cbranch_vccz .LBB161_2
; %bb.1:
	global_load_ushort v6, v1, s[10:11]
	s_waitcnt vmcnt(0)
	v_cvt_f32_f16_e32 v6, v6
	v_add_f32_e32 v6, v2, v6
.LBB161_2:
	global_load_ushort v11, v[4:5], off offset:128
	s_waitcnt vmcnt(0)
	v_cvt_f32_f16_e32 v12, v11
	v_mul_f32_e32 v13, 0x3fb8aa3b, v12
	v_cmp_gt_f32_e32 vcc, s13, v13
	v_cndmask_b32_e32 v7, 0, v7, vcc
	v_fma_mix_f32 v7, v11, s12, v7 op_sel_hi:[1,0,0]
	v_exp_f32_e32 v7, v7
	v_cndmask_b32_e32 v8, 1.0, v8, vcc
	v_fma_f32 v7, v7, v8, 1.0
	v_cmp_gt_f32_e32 vcc, s14, v7
	v_cndmask_b32_e32 v8, 1.0, v9, vcc
	v_mul_f32_e32 v7, v7, v8
	v_log_f32_e32 v7, v7
	v_cndmask_b32_e32 v8, 0, v10, vcc
	v_cmp_lt_f16_e32 vcc, s7, v11
	v_cndmask_b32_e64 v9, 0, 1, s[8:9]
	v_sub_f32_e32 v7, v7, v8
	v_mul_f32_e32 v7, 0x3f317218, v7
	v_cndmask_b32_e32 v7, v7, v12, vcc
	v_mul_f32_e32 v8, 0x4f800000, v7
	v_cmp_gt_f32_e32 vcc, s15, v7
	v_cndmask_b32_e32 v7, v7, v8, vcc
	v_sqrt_f32_e32 v8, v7
	v_cmp_ne_u32_e64 s[0:1], 1, v9
	v_add_u32_e32 v9, -1, v8
	v_add_u32_e32 v10, 1, v8
	v_fma_f32 v11, -v9, v8, v7
	v_fma_f32 v12, -v10, v8, v7
	v_cmp_ge_f32_e64 s[2:3], 0, v11
	v_cndmask_b32_e64 v8, v8, v9, s[2:3]
	v_cmp_lt_f32_e64 s[2:3], 0, v12
	v_cndmask_b32_e64 v8, v8, v10, s[2:3]
	v_mul_f32_e32 v9, 0x37800000, v8
	v_cndmask_b32_e32 v8, v8, v9, vcc
	v_cmp_class_f32_e32 vcc, v7, v3
	v_cndmask_b32_e32 v9, v8, v7, vcc
	s_andn2_b64 vcc, exec, s[8:9]
	v_mov_b32_e32 v8, v9
	s_cbranch_vccnz .LBB161_4
; %bb.3:
	global_load_ushort v3, v1, s[10:11] offset:128
	s_waitcnt vmcnt(0)
	v_cvt_f32_f16_e32 v3, v3
	v_add_f32_e32 v8, v9, v3
.LBB161_4:
	global_load_ushort v10, v[4:5], off offset:256
	s_mov_b32 s12, 0xc2fc0000
	v_mov_b32_e32 v11, 0x42800000
	s_mov_b32 s8, 0x3fb8aa3b
	v_mov_b32_e32 v3, 0x1f800000
	;; [unrolled: 2-line block ×3, first 2 shown]
	s_mov_b32 s9, 0xf800000
	s_waitcnt vmcnt(0)
	v_cvt_f32_f16_e32 v12, v10
	v_mul_f32_e32 v7, 0x3fb8aa3b, v12
	v_cmp_gt_f32_e32 vcc, s12, v7
	v_cndmask_b32_e32 v13, 0, v11, vcc
	v_fma_mix_f32 v13, v10, s8, v13 op_sel_hi:[1,0,0]
	v_exp_f32_e32 v13, v13
	v_cndmask_b32_e32 v7, 1.0, v3, vcc
	v_fma_f32 v7, v13, v7, 1.0
	v_cmp_gt_f32_e32 vcc, s13, v7
	v_cndmask_b32_e32 v13, 1.0, v14, vcc
	v_mul_f32_e32 v7, v7, v13
	v_log_f32_e32 v13, v7
	v_mov_b32_e32 v7, 0x42000000
	v_cndmask_b32_e32 v15, 0, v7, vcc
	v_cmp_lt_f16_e32 vcc, s7, v10
	v_sub_f32_e32 v13, v13, v15
	v_mul_f32_e32 v13, 0x3f317218, v13
	v_cndmask_b32_e32 v10, v13, v12, vcc
	v_mul_f32_e32 v12, 0x4f800000, v10
	v_cmp_gt_f32_e32 vcc, s9, v10
	v_cndmask_b32_e32 v10, v10, v12, vcc
	v_sqrt_f32_e32 v12, v10
	v_mov_b32_e32 v13, 0x260
	v_add_u32_e32 v15, -1, v12
	v_add_u32_e32 v16, 1, v12
	v_fma_f32 v17, -v15, v12, v10
	v_fma_f32 v18, -v16, v12, v10
	v_cmp_ge_f32_e64 s[2:3], 0, v17
	v_cndmask_b32_e64 v12, v12, v15, s[2:3]
	v_cmp_lt_f32_e64 s[2:3], 0, v18
	v_cndmask_b32_e64 v12, v12, v16, s[2:3]
	v_mul_f32_e32 v15, 0x37800000, v12
	v_cndmask_b32_e32 v12, v12, v15, vcc
	v_cmp_class_f32_e32 vcc, v10, v13
	v_cndmask_b32_e32 v12, v12, v10, vcc
	s_and_b64 vcc, exec, s[0:1]
	v_mov_b32_e32 v10, v12
	s_cbranch_vccnz .LBB161_6
; %bb.5:
	global_load_ushort v10, v1, s[10:11] offset:256
	s_waitcnt vmcnt(0)
	v_cvt_f32_f16_e32 v10, v10
	v_add_f32_e32 v10, v12, v10
.LBB161_6:
	global_load_ushort v4, v[4:5], off offset:384
	s_waitcnt vmcnt(0)
	v_cvt_f32_f16_e32 v5, v4
	v_mul_f32_e32 v15, 0x3fb8aa3b, v5
	v_cmp_gt_f32_e32 vcc, s12, v15
	v_cndmask_b32_e32 v11, 0, v11, vcc
	v_fma_mix_f32 v11, v4, s8, v11 op_sel_hi:[1,0,0]
	v_exp_f32_e32 v11, v11
	v_cndmask_b32_e32 v3, 1.0, v3, vcc
	v_fma_f32 v3, v11, v3, 1.0
	v_cmp_gt_f32_e32 vcc, s13, v3
	v_cndmask_b32_e32 v11, 1.0, v14, vcc
	v_mul_f32_e32 v3, v3, v11
	v_log_f32_e32 v3, v3
	v_cndmask_b32_e32 v7, 0, v7, vcc
	v_cmp_lt_f16_e32 vcc, s7, v4
	v_sub_f32_e32 v3, v3, v7
	v_mul_f32_e32 v3, 0x3f317218, v3
	v_cndmask_b32_e32 v3, v3, v5, vcc
	v_mul_f32_e32 v4, 0x4f800000, v3
	v_cmp_gt_f32_e32 vcc, s9, v3
	v_cndmask_b32_e32 v3, v3, v4, vcc
	v_sqrt_f32_e32 v4, v3
	v_add_u32_e32 v5, -1, v4
	v_add_u32_e32 v7, 1, v4
	v_fma_f32 v11, -v5, v4, v3
	v_fma_f32 v14, -v7, v4, v3
	v_cmp_ge_f32_e64 s[2:3], 0, v11
	v_cndmask_b32_e64 v4, v4, v5, s[2:3]
	v_cmp_lt_f32_e64 s[2:3], 0, v14
	v_cndmask_b32_e64 v4, v4, v7, s[2:3]
	v_mul_f32_e32 v5, 0x37800000, v4
	v_cndmask_b32_e32 v4, v4, v5, vcc
	v_cmp_class_f32_e32 vcc, v3, v13
	v_cndmask_b32_e32 v3, v4, v3, vcc
	s_and_b64 vcc, exec, s[0:1]
	v_mov_b32_e32 v5, v3
	s_cbranch_vccnz .LBB161_8
; %bb.7:
	global_load_ushort v1, v1, s[10:11] offset:384
	s_waitcnt vmcnt(0)
	v_cvt_f32_f16_e32 v1, v1
	v_add_f32_e32 v5, v3, v1
.LBB161_8:
	v_add_u32_e32 v4, 64, v0
	v_cmp_lt_f32_e32 vcc, v6, v8
	v_add_u32_e32 v15, 0x80, v0
	v_add_u32_e32 v7, 0xc0, v0
	v_cndmask_b32_e32 v11, v9, v2, vcc
	v_cndmask_b32_e32 v2, v2, v9, vcc
	;; [unrolled: 1-line block ×6, first 2 shown]
	v_cmp_lt_f32_e32 vcc, v10, v5
	v_mov_b32_e32 v8, v10
	s_and_saveexec_b64 s[0:1], vcc
	s_xor_b64 s[0:1], exec, s[0:1]
; %bb.9:
	v_mov_b32_e32 v8, v12
	v_mov_b32_e32 v14, v10
	;; [unrolled: 1-line block ×4, first 2 shown]
	v_swap_b32 v12, v3
	v_swap_b32 v15, v7
	v_mov_b32_e32 v8, v5
	v_mov_b32_e32 v5, v14
; %bb.10:
	s_or_b64 exec, exec, s[0:1]
	v_cmp_lt_f32_e32 vcc, v6, v10
	v_cndmask_b32_e32 v13, v12, v2, vcc
	v_cndmask_b32_e32 v2, v2, v12, vcc
	v_cndmask_b32_e32 v14, v15, v4, vcc
	v_cndmask_b32_e32 v4, v4, v15, vcc
	v_cndmask_b32_e32 v12, v8, v6, vcc
	v_cndmask_b32_e32 v6, v6, v10, vcc
	v_cmp_lt_f32_e32 vcc, v9, v5
	v_mov_b32_e32 v16, v9
	s_and_saveexec_b64 s[0:1], vcc
; %bb.11:
	v_mov_b32_e32 v15, v9
	v_mov_b32_e32 v8, v11
	;; [unrolled: 1-line block ×4, first 2 shown]
	v_swap_b32 v11, v3
	v_swap_b32 v1, v7
	v_mov_b32_e32 v16, v5
	v_mov_b32_e32 v5, v15
; %bb.12:
	s_or_b64 exec, exec, s[0:1]
	s_load_dword s2, s[4:5], 0x28
	s_load_dwordx4 s[8:11], s[4:5], 0x10
	v_mov_b32_e32 v15, 0
	s_waitcnt lgkmcnt(0)
	s_cmp_lt_i32 s2, 1
	s_cbranch_scc1 .LBB161_18
; %bb.13:
	v_cmp_lt_f32_e32 vcc, v9, v12
	v_cndmask_b32_e32 v10, v12, v9, vcc
	v_cndmask_b32_e32 v9, v16, v12, vcc
	;; [unrolled: 1-line block ×4, first 2 shown]
	v_mbcnt_lo_u32_b32 v13, -1, 0
	v_cndmask_b32_e32 v8, v14, v1, vcc
	v_cndmask_b32_e32 v1, v1, v14, vcc
	v_mbcnt_hi_u32_b32 v13, -1, v13
	v_bfrev_b32_e32 v14, 0.5
	v_mov_b32_e32 v15, 0
	v_mov_b32_e32 v16, 0
	;; [unrolled: 1-line block ×3, first 2 shown]
	v_lshl_or_b32 v18, v13, 2, v14
	v_mov_b32_e32 v19, v0
	s_mov_b32 s3, s2
	v_mov_b32_e32 v13, 0
	v_mov_b32_e32 v14, 0
.LBB161_14:                             ; =>This Inner Loop Header: Depth=1
	v_cmp_eq_u32_e32 vcc, 1, v16
	v_cndmask_b32_e32 v20, v6, v9, vcc
	v_cmp_eq_u32_e64 s[0:1], 2, v16
	v_cndmask_b32_e64 v20, v20, v10, s[0:1]
	v_cndmask_b32_e32 v21, v4, v1, vcc
	v_cndmask_b32_e32 v22, v2, v11, vcc
	v_cmp_eq_u32_e32 vcc, 3, v16
	v_cndmask_b32_e32 v20, v20, v5, vcc
	v_cndmask_b32_e64 v21, v21, v8, s[0:1]
	v_cndmask_b32_e64 v22, v22, v12, s[0:1]
	v_cmp_gt_u32_e64 s[0:1], 4, v16
	v_cndmask_b32_e64 v20, v17, v20, s[0:1]
	;;#ASMSTART
	v_max_f32 v24, v20, v20 quad_perm:[1,0,3,2] row_mask:0xf bank_mask:0xf bound_ctrl:1
	;;#ASMEND
	;;#ASMSTART
	v_max_f32 v25, v24, v24 quad_perm:[2,3,0,1] row_mask:0xf bank_mask:0xf bound_ctrl:1
	;;#ASMEND
	;;#ASMSTART
	v_max_f32 v24, v25, v25 row_half_mirror row_mask:0xf bank_mask:0xf bound_ctrl:1
	;;#ASMEND
	;;#ASMSTART
	v_max_f32 v25, v24, v24 row_mirror row_mask:0xf bank_mask:0xf bound_ctrl:1
	;;#ASMEND
	;;#ASMSTART
	v_max_f32 v24, v25, v25 row_ror:4 row_mask:0xf bank_mask:0xf bound_ctrl:1
	;;#ASMEND
	;;#ASMSTART
	v_max_f32 v25, v24, v24 row_ror:8 row_mask:0xf bank_mask:0xf bound_ctrl:1
	;;#ASMEND
	;;#ASMSTART
	v_max_f32 v24, v25, v25 row_bcast:15 row_mask:0xf bank_mask:0xf bound_ctrl:1
	;;#ASMEND
	;;#ASMSTART
	v_max_f32 v25, v24, v24 row_bcast:31 row_mask:0xf bank_mask:0xf bound_ctrl:1
	;;#ASMEND
	ds_bpermute_b32 v24, v18, v25
	v_cndmask_b32_e32 v21, v21, v7, vcc
	v_cndmask_b32_e32 v22, v22, v3, vcc
	v_cndmask_b32_e64 v23, 0, v21, s[0:1]
	s_waitcnt lgkmcnt(0)
	v_cmp_eq_f32_e32 vcc, v20, v24
	s_ff1_i32_b64 s7, vcc
	s_cmp_lg_u64 vcc, 0
	s_cselect_b32 s7, s7, 0
	v_readlane_b32 s7, v23, s7
	v_cmp_eq_u32_e32 vcc, s7, v21
	s_and_b64 vcc, s[0:1], vcc
	s_and_b32 s12, s7, 63
	v_cndmask_b32_e32 v21, 0, v22, vcc
	v_addc_co_u32_e32 v16, vcc, 0, v16, vcc
	v_readlane_b32 s0, v21, s12
	s_add_i32 s3, s3, -1
	v_mov_b32_e32 v20, s7
	v_mov_b32_e32 v21, s0
	v_cmp_eq_u32_e32 vcc, 0, v19
	s_cmp_eq_u32 s3, 0
	v_add_f32_e32 v15, s0, v15
	v_add_u32_e32 v19, -1, v19
	v_cndmask_b32_e32 v14, v14, v21, vcc
	v_cndmask_b32_e32 v13, v13, v20, vcc
	s_cbranch_scc0 .LBB161_14
; %bb.15:
	v_cmp_gt_i32_e32 vcc, s2, v0
	s_and_saveexec_b64 s[0:1], vcc
	s_cbranch_execz .LBB161_17
.LBB161_16:
	s_load_dword s2, s[4:5], 0x30
	v_max_f32_e32 v1, v15, v15
	v_max_f32_e32 v1, 0x1e3ce508, v1
	v_lshlrev_b32_e32 v0, 2, v0
	s_waitcnt lgkmcnt(0)
	v_div_scale_f32 v2, s[0:1], v1, v1, s2
	v_rcp_f32_e32 v3, v2
	v_div_scale_f32 v4, vcc, s2, v1, s2
	s_load_dwordx2 s[0:1], s[4:5], 0x20
	v_fma_f32 v5, -v2, v3, 1.0
	v_fmac_f32_e32 v3, v5, v3
	v_mul_f32_e32 v5, v4, v3
	v_fma_f32 v6, -v2, v5, v4
	v_fmac_f32_e32 v5, v6, v3
	v_fma_f32 v2, -v2, v5, v4
	v_div_fmas_f32 v2, v2, v3, v5
	v_div_fixup_f32 v1, v2, v1, s2
	s_ashr_i32 s2, s6, 31
	s_waitcnt lgkmcnt(0)
	s_mul_i32 s1, s6, s1
	s_mul_hi_u32 s3, s6, s0
	s_add_i32 s1, s3, s1
	s_mul_i32 s2, s2, s0
	s_add_i32 s1, s1, s2
	s_mul_i32 s0, s6, s0
	s_lshl_b64 s[0:1], s[0:1], 2
	s_add_u32 s2, s8, s0
	s_addc_u32 s3, s9, s1
	s_add_u32 s0, s10, s0
	v_mul_f32_e32 v1, v14, v1
	s_addc_u32 s1, s11, s1
	global_store_dword v0, v1, s[2:3]
	global_store_dword v0, v13, s[0:1]
.LBB161_17:
	s_endpgm
.LBB161_18:
	v_mov_b32_e32 v13, 0
	v_mov_b32_e32 v14, 0
	v_cmp_gt_i32_e32 vcc, s2, v0
	s_and_saveexec_b64 s[0:1], vcc
	s_cbranch_execnz .LBB161_16
	s_branch .LBB161_17
	.section	.rodata,"a",@progbits
	.p2align	6, 0x0
	.amdhsa_kernel _ZN5aiter24topk_softplus_kernel_optI6__halfS1_Li256ELb1ELi0EEEvPKT_PKT0_PfPimiif
		.amdhsa_group_segment_fixed_size 0
		.amdhsa_private_segment_fixed_size 0
		.amdhsa_kernarg_size 52
		.amdhsa_user_sgpr_count 6
		.amdhsa_user_sgpr_private_segment_buffer 1
		.amdhsa_user_sgpr_dispatch_ptr 0
		.amdhsa_user_sgpr_queue_ptr 0
		.amdhsa_user_sgpr_kernarg_segment_ptr 1
		.amdhsa_user_sgpr_dispatch_id 0
		.amdhsa_user_sgpr_flat_scratch_init 0
		.amdhsa_user_sgpr_kernarg_preload_length 0
		.amdhsa_user_sgpr_kernarg_preload_offset 0
		.amdhsa_user_sgpr_private_segment_size 0
		.amdhsa_uses_dynamic_stack 0
		.amdhsa_system_sgpr_private_segment_wavefront_offset 0
		.amdhsa_system_sgpr_workgroup_id_x 1
		.amdhsa_system_sgpr_workgroup_id_y 0
		.amdhsa_system_sgpr_workgroup_id_z 0
		.amdhsa_system_sgpr_workgroup_info 0
		.amdhsa_system_vgpr_workitem_id 0
		.amdhsa_next_free_vgpr 26
		.amdhsa_next_free_sgpr 16
		.amdhsa_accum_offset 28
		.amdhsa_reserve_vcc 1
		.amdhsa_reserve_flat_scratch 0
		.amdhsa_float_round_mode_32 0
		.amdhsa_float_round_mode_16_64 0
		.amdhsa_float_denorm_mode_32 3
		.amdhsa_float_denorm_mode_16_64 3
		.amdhsa_dx10_clamp 1
		.amdhsa_ieee_mode 1
		.amdhsa_fp16_overflow 0
		.amdhsa_tg_split 0
		.amdhsa_exception_fp_ieee_invalid_op 0
		.amdhsa_exception_fp_denorm_src 0
		.amdhsa_exception_fp_ieee_div_zero 0
		.amdhsa_exception_fp_ieee_overflow 0
		.amdhsa_exception_fp_ieee_underflow 0
		.amdhsa_exception_fp_ieee_inexact 0
		.amdhsa_exception_int_div_zero 0
	.end_amdhsa_kernel
	.section	.text._ZN5aiter24topk_softplus_kernel_optI6__halfS1_Li256ELb1ELi0EEEvPKT_PKT0_PfPimiif,"axG",@progbits,_ZN5aiter24topk_softplus_kernel_optI6__halfS1_Li256ELb1ELi0EEEvPKT_PKT0_PfPimiif,comdat
.Lfunc_end161:
	.size	_ZN5aiter24topk_softplus_kernel_optI6__halfS1_Li256ELb1ELi0EEEvPKT_PKT0_PfPimiif, .Lfunc_end161-_ZN5aiter24topk_softplus_kernel_optI6__halfS1_Li256ELb1ELi0EEEvPKT_PKT0_PfPimiif
                                        ; -- End function
	.section	.AMDGPU.csdata,"",@progbits
; Kernel info:
; codeLenInByte = 1900
; NumSgprs: 20
; NumVgprs: 26
; NumAgprs: 0
; TotalNumVgprs: 26
; ScratchSize: 0
; MemoryBound: 0
; FloatMode: 240
; IeeeMode: 1
; LDSByteSize: 0 bytes/workgroup (compile time only)
; SGPRBlocks: 2
; VGPRBlocks: 3
; NumSGPRsForWavesPerEU: 20
; NumVGPRsForWavesPerEU: 26
; AccumOffset: 28
; Occupancy: 8
; WaveLimiterHint : 0
; COMPUTE_PGM_RSRC2:SCRATCH_EN: 0
; COMPUTE_PGM_RSRC2:USER_SGPR: 6
; COMPUTE_PGM_RSRC2:TRAP_HANDLER: 0
; COMPUTE_PGM_RSRC2:TGID_X_EN: 1
; COMPUTE_PGM_RSRC2:TGID_Y_EN: 0
; COMPUTE_PGM_RSRC2:TGID_Z_EN: 0
; COMPUTE_PGM_RSRC2:TIDIG_COMP_CNT: 0
; COMPUTE_PGM_RSRC3_GFX90A:ACCUM_OFFSET: 6
; COMPUTE_PGM_RSRC3_GFX90A:TG_SPLIT: 0
	.section	.text._ZN5aiter24topk_softplus_kernel_optI6__halfS1_Li256ELb0ELi0EEEvPKT_PKT0_PfPimiif,"axG",@progbits,_ZN5aiter24topk_softplus_kernel_optI6__halfS1_Li256ELb0ELi0EEEvPKT_PKT0_PfPimiif,comdat
	.protected	_ZN5aiter24topk_softplus_kernel_optI6__halfS1_Li256ELb0ELi0EEEvPKT_PKT0_PfPimiif ; -- Begin function _ZN5aiter24topk_softplus_kernel_optI6__halfS1_Li256ELb0ELi0EEEvPKT_PKT0_PfPimiif
	.globl	_ZN5aiter24topk_softplus_kernel_optI6__halfS1_Li256ELb0ELi0EEEvPKT_PKT0_PfPimiif
	.p2align	8
	.type	_ZN5aiter24topk_softplus_kernel_optI6__halfS1_Li256ELb0ELi0EEEvPKT_PKT0_PfPimiif,@function
_ZN5aiter24topk_softplus_kernel_optI6__halfS1_Li256ELb0ELi0EEEvPKT_PKT0_PfPimiif: ; @_ZN5aiter24topk_softplus_kernel_optI6__halfS1_Li256ELb0ELi0EEEvPKT_PKT0_PfPimiif
; %bb.0:
	s_load_dwordx4 s[8:11], s[4:5], 0x0
	s_lshl_b32 s0, s6, 8
	s_ashr_i32 s1, s0, 31
	s_lshl_b64 s[0:1], s[0:1], 1
	v_lshlrev_b32_e32 v1, 1, v0
	s_waitcnt lgkmcnt(0)
	s_add_u32 s0, s8, s0
	s_addc_u32 s1, s9, s1
	global_load_ushort v2, v1, s[0:1]
	s_mov_b32 s13, 0xc2fc0000
	v_mov_b32_e32 v7, 0x42800000
	s_mov_b32 s12, 0x3fb8aa3b
	v_mov_b32_e32 v8, 0x1f800000
	;; [unrolled: 2-line block ×3, first 2 shown]
	v_mov_b32_e32 v10, 0x42000000
	s_movk_i32 s7, 0x4d00
	s_mov_b32 s15, 0xf800000
	s_cmp_lg_u64 s[10:11], 0
	s_cselect_b64 s[8:9], -1, 0
	s_waitcnt vmcnt(0)
	v_cvt_f32_f16_e32 v4, v2
	v_mul_f32_e32 v3, 0x3fb8aa3b, v4
	v_cmp_gt_f32_e32 vcc, s13, v3
	v_cndmask_b32_e32 v3, 0, v7, vcc
	v_fma_mix_f32 v3, v2, s12, v3 op_sel_hi:[1,0,0]
	v_exp_f32_e32 v5, v3
	v_cndmask_b32_e32 v6, 1.0, v8, vcc
	v_mov_b32_e32 v3, 0x260
	v_fma_f32 v5, v5, v6, 1.0
	v_cmp_gt_f32_e32 vcc, s14, v5
	v_cndmask_b32_e32 v6, 1.0, v9, vcc
	v_mul_f32_e32 v5, v5, v6
	v_log_f32_e32 v5, v5
	v_cndmask_b32_e32 v11, 0, v10, vcc
	v_cmp_lt_f16_e32 vcc, s7, v2
	v_mov_b32_e32 v6, s1
	v_sub_f32_e32 v5, v5, v11
	v_mul_f32_e32 v5, 0x3f317218, v5
	v_cndmask_b32_e32 v2, v5, v4, vcc
	v_mul_f32_e32 v4, 0x4f800000, v2
	v_cmp_gt_f32_e32 vcc, s15, v2
	v_cndmask_b32_e32 v2, v2, v4, vcc
	v_sqrt_f32_e32 v11, v2
	v_add_co_u32_e64 v4, s[0:1], s0, v1
	v_addc_co_u32_e64 v5, s[0:1], 0, v6, s[0:1]
	v_add_u32_e32 v6, -1, v11
	v_add_u32_e32 v12, 1, v11
	v_fma_f32 v13, -v6, v11, v2
	v_fma_f32 v14, -v12, v11, v2
	v_cmp_ge_f32_e64 s[2:3], 0, v13
	v_cndmask_b32_e64 v6, v11, v6, s[2:3]
	v_cmp_lt_f32_e64 s[2:3], 0, v14
	v_cndmask_b32_e64 v6, v6, v12, s[2:3]
	v_mul_f32_e32 v11, 0x37800000, v6
	v_cndmask_b32_e32 v6, v6, v11, vcc
	v_cmp_class_f32_e32 vcc, v2, v3
	s_and_b64 s[0:1], exec, s[8:9]
	v_cndmask_b32_e32 v2, v6, v2, vcc
	v_mov_b32_e32 v6, v2
	s_mov_b64 vcc, s[0:1]
	s_cbranch_vccz .LBB162_2
; %bb.1:
	global_load_ushort v6, v1, s[10:11]
	s_waitcnt vmcnt(0)
	v_cvt_f32_f16_e32 v6, v6
	v_add_f32_e32 v6, v2, v6
.LBB162_2:
	global_load_ushort v11, v[4:5], off offset:128
	s_waitcnt vmcnt(0)
	v_cvt_f32_f16_e32 v12, v11
	v_mul_f32_e32 v13, 0x3fb8aa3b, v12
	v_cmp_gt_f32_e32 vcc, s13, v13
	v_cndmask_b32_e32 v7, 0, v7, vcc
	v_fma_mix_f32 v7, v11, s12, v7 op_sel_hi:[1,0,0]
	v_exp_f32_e32 v7, v7
	v_cndmask_b32_e32 v8, 1.0, v8, vcc
	v_fma_f32 v7, v7, v8, 1.0
	v_cmp_gt_f32_e32 vcc, s14, v7
	v_cndmask_b32_e32 v8, 1.0, v9, vcc
	v_mul_f32_e32 v7, v7, v8
	v_log_f32_e32 v7, v7
	v_cndmask_b32_e32 v8, 0, v10, vcc
	v_cmp_lt_f16_e32 vcc, s7, v11
	v_cndmask_b32_e64 v9, 0, 1, s[8:9]
	v_sub_f32_e32 v7, v7, v8
	v_mul_f32_e32 v7, 0x3f317218, v7
	v_cndmask_b32_e32 v7, v7, v12, vcc
	v_mul_f32_e32 v8, 0x4f800000, v7
	v_cmp_gt_f32_e32 vcc, s15, v7
	v_cndmask_b32_e32 v7, v7, v8, vcc
	v_sqrt_f32_e32 v8, v7
	v_cmp_ne_u32_e64 s[0:1], 1, v9
	v_add_u32_e32 v9, -1, v8
	v_add_u32_e32 v10, 1, v8
	v_fma_f32 v11, -v9, v8, v7
	v_fma_f32 v12, -v10, v8, v7
	v_cmp_ge_f32_e64 s[2:3], 0, v11
	v_cndmask_b32_e64 v8, v8, v9, s[2:3]
	v_cmp_lt_f32_e64 s[2:3], 0, v12
	v_cndmask_b32_e64 v8, v8, v10, s[2:3]
	v_mul_f32_e32 v9, 0x37800000, v8
	v_cndmask_b32_e32 v8, v8, v9, vcc
	v_cmp_class_f32_e32 vcc, v7, v3
	v_cndmask_b32_e32 v9, v8, v7, vcc
	s_andn2_b64 vcc, exec, s[8:9]
	v_mov_b32_e32 v8, v9
	s_cbranch_vccnz .LBB162_4
; %bb.3:
	global_load_ushort v3, v1, s[10:11] offset:128
	s_waitcnt vmcnt(0)
	v_cvt_f32_f16_e32 v3, v3
	v_add_f32_e32 v8, v9, v3
.LBB162_4:
	global_load_ushort v10, v[4:5], off offset:256
	s_mov_b32 s12, 0xc2fc0000
	v_mov_b32_e32 v11, 0x42800000
	s_mov_b32 s8, 0x3fb8aa3b
	v_mov_b32_e32 v3, 0x1f800000
	;; [unrolled: 2-line block ×3, first 2 shown]
	s_mov_b32 s9, 0xf800000
	s_waitcnt vmcnt(0)
	v_cvt_f32_f16_e32 v12, v10
	v_mul_f32_e32 v7, 0x3fb8aa3b, v12
	v_cmp_gt_f32_e32 vcc, s12, v7
	v_cndmask_b32_e32 v13, 0, v11, vcc
	v_fma_mix_f32 v13, v10, s8, v13 op_sel_hi:[1,0,0]
	v_exp_f32_e32 v13, v13
	v_cndmask_b32_e32 v7, 1.0, v3, vcc
	v_fma_f32 v7, v13, v7, 1.0
	v_cmp_gt_f32_e32 vcc, s13, v7
	v_cndmask_b32_e32 v13, 1.0, v14, vcc
	v_mul_f32_e32 v7, v7, v13
	v_log_f32_e32 v13, v7
	v_mov_b32_e32 v7, 0x42000000
	v_cndmask_b32_e32 v15, 0, v7, vcc
	v_cmp_lt_f16_e32 vcc, s7, v10
	v_sub_f32_e32 v13, v13, v15
	v_mul_f32_e32 v13, 0x3f317218, v13
	v_cndmask_b32_e32 v10, v13, v12, vcc
	v_mul_f32_e32 v12, 0x4f800000, v10
	v_cmp_gt_f32_e32 vcc, s9, v10
	v_cndmask_b32_e32 v10, v10, v12, vcc
	v_sqrt_f32_e32 v12, v10
	v_mov_b32_e32 v13, 0x260
	v_add_u32_e32 v15, -1, v12
	v_add_u32_e32 v16, 1, v12
	v_fma_f32 v17, -v15, v12, v10
	v_fma_f32 v18, -v16, v12, v10
	v_cmp_ge_f32_e64 s[2:3], 0, v17
	v_cndmask_b32_e64 v12, v12, v15, s[2:3]
	v_cmp_lt_f32_e64 s[2:3], 0, v18
	v_cndmask_b32_e64 v12, v12, v16, s[2:3]
	v_mul_f32_e32 v15, 0x37800000, v12
	v_cndmask_b32_e32 v12, v12, v15, vcc
	v_cmp_class_f32_e32 vcc, v10, v13
	v_cndmask_b32_e32 v12, v12, v10, vcc
	s_and_b64 vcc, exec, s[0:1]
	v_mov_b32_e32 v10, v12
	s_cbranch_vccnz .LBB162_6
; %bb.5:
	global_load_ushort v10, v1, s[10:11] offset:256
	s_waitcnt vmcnt(0)
	v_cvt_f32_f16_e32 v10, v10
	v_add_f32_e32 v10, v12, v10
.LBB162_6:
	global_load_ushort v4, v[4:5], off offset:384
	s_waitcnt vmcnt(0)
	v_cvt_f32_f16_e32 v5, v4
	v_mul_f32_e32 v15, 0x3fb8aa3b, v5
	v_cmp_gt_f32_e32 vcc, s12, v15
	v_cndmask_b32_e32 v11, 0, v11, vcc
	v_fma_mix_f32 v11, v4, s8, v11 op_sel_hi:[1,0,0]
	v_exp_f32_e32 v11, v11
	v_cndmask_b32_e32 v3, 1.0, v3, vcc
	v_fma_f32 v3, v11, v3, 1.0
	v_cmp_gt_f32_e32 vcc, s13, v3
	v_cndmask_b32_e32 v11, 1.0, v14, vcc
	v_mul_f32_e32 v3, v3, v11
	v_log_f32_e32 v3, v3
	v_cndmask_b32_e32 v7, 0, v7, vcc
	v_cmp_lt_f16_e32 vcc, s7, v4
	v_sub_f32_e32 v3, v3, v7
	v_mul_f32_e32 v3, 0x3f317218, v3
	v_cndmask_b32_e32 v3, v3, v5, vcc
	v_mul_f32_e32 v4, 0x4f800000, v3
	v_cmp_gt_f32_e32 vcc, s9, v3
	v_cndmask_b32_e32 v3, v3, v4, vcc
	v_sqrt_f32_e32 v4, v3
	v_add_u32_e32 v5, -1, v4
	v_add_u32_e32 v7, 1, v4
	v_fma_f32 v11, -v5, v4, v3
	v_fma_f32 v14, -v7, v4, v3
	v_cmp_ge_f32_e64 s[2:3], 0, v11
	v_cndmask_b32_e64 v4, v4, v5, s[2:3]
	v_cmp_lt_f32_e64 s[2:3], 0, v14
	v_cndmask_b32_e64 v4, v4, v7, s[2:3]
	v_mul_f32_e32 v5, 0x37800000, v4
	v_cndmask_b32_e32 v4, v4, v5, vcc
	v_cmp_class_f32_e32 vcc, v3, v13
	v_cndmask_b32_e32 v3, v4, v3, vcc
	s_and_b64 vcc, exec, s[0:1]
	v_mov_b32_e32 v5, v3
	s_cbranch_vccnz .LBB162_8
; %bb.7:
	global_load_ushort v1, v1, s[10:11] offset:384
	s_waitcnt vmcnt(0)
	v_cvt_f32_f16_e32 v1, v1
	v_add_f32_e32 v5, v3, v1
.LBB162_8:
	v_add_u32_e32 v4, 64, v0
	v_cmp_lt_f32_e32 vcc, v6, v8
	v_add_u32_e32 v15, 0x80, v0
	v_add_u32_e32 v7, 0xc0, v0
	v_cndmask_b32_e32 v11, v9, v2, vcc
	v_cndmask_b32_e32 v2, v2, v9, vcc
	;; [unrolled: 1-line block ×6, first 2 shown]
	v_cmp_lt_f32_e32 vcc, v10, v5
	v_mov_b32_e32 v8, v10
	s_and_saveexec_b64 s[0:1], vcc
	s_xor_b64 s[0:1], exec, s[0:1]
; %bb.9:
	v_mov_b32_e32 v8, v12
	v_mov_b32_e32 v14, v10
	;; [unrolled: 1-line block ×4, first 2 shown]
	v_swap_b32 v12, v3
	v_swap_b32 v15, v7
	v_mov_b32_e32 v8, v5
	v_mov_b32_e32 v5, v14
; %bb.10:
	s_or_b64 exec, exec, s[0:1]
	v_cmp_lt_f32_e32 vcc, v6, v10
	v_cndmask_b32_e32 v13, v12, v2, vcc
	v_cndmask_b32_e32 v2, v2, v12, vcc
	v_cndmask_b32_e32 v14, v15, v4, vcc
	v_cndmask_b32_e32 v4, v4, v15, vcc
	v_cndmask_b32_e32 v12, v8, v6, vcc
	v_cndmask_b32_e32 v6, v6, v10, vcc
	v_cmp_lt_f32_e32 vcc, v9, v5
	v_mov_b32_e32 v15, v9
	s_and_saveexec_b64 s[0:1], vcc
; %bb.11:
	v_mov_b32_e32 v16, v9
	v_mov_b32_e32 v8, v11
	v_mov_b32_e32 v10, v1
	v_mov_b32_e32 v9, v5
	v_swap_b32 v11, v3
	v_swap_b32 v1, v7
	v_mov_b32_e32 v15, v5
	v_mov_b32_e32 v5, v16
; %bb.12:
	s_or_b64 exec, exec, s[0:1]
	s_load_dword s2, s[4:5], 0x28
	s_load_dwordx4 s[8:11], s[4:5], 0x10
	s_waitcnt lgkmcnt(0)
	s_cmp_lt_i32 s2, 1
	s_cbranch_scc1 .LBB162_18
; %bb.13:
	v_cmp_lt_f32_e32 vcc, v9, v12
	v_cndmask_b32_e32 v10, v12, v9, vcc
	v_cndmask_b32_e32 v9, v15, v12, vcc
	;; [unrolled: 1-line block ×4, first 2 shown]
	v_mbcnt_lo_u32_b32 v13, -1, 0
	v_mbcnt_hi_u32_b32 v13, -1, v13
	v_bfrev_b32_e32 v17, 0.5
	v_cndmask_b32_e32 v8, v14, v1, vcc
	v_cndmask_b32_e32 v1, v1, v14, vcc
	v_mov_b32_e32 v15, 0
	v_mov_b32_e32 v14, 0
	;; [unrolled: 1-line block ×3, first 2 shown]
	v_lshl_or_b32 v17, v13, 2, v17
	v_mov_b32_e32 v18, v0
	s_mov_b32 s3, s2
	v_mov_b32_e32 v13, 0
.LBB162_14:                             ; =>This Inner Loop Header: Depth=1
	v_cmp_eq_u32_e32 vcc, 1, v15
	v_cndmask_b32_e32 v19, v6, v9, vcc
	v_cmp_eq_u32_e64 s[0:1], 2, v15
	v_cndmask_b32_e64 v19, v19, v10, s[0:1]
	v_cndmask_b32_e32 v20, v4, v1, vcc
	v_cndmask_b32_e32 v21, v2, v11, vcc
	v_cmp_eq_u32_e32 vcc, 3, v15
	v_cndmask_b32_e32 v19, v19, v5, vcc
	v_cndmask_b32_e64 v20, v20, v8, s[0:1]
	v_cndmask_b32_e64 v21, v21, v12, s[0:1]
	v_cmp_gt_u32_e64 s[0:1], 4, v15
	v_cndmask_b32_e64 v19, v16, v19, s[0:1]
	;;#ASMSTART
	v_max_f32 v23, v19, v19 quad_perm:[1,0,3,2] row_mask:0xf bank_mask:0xf bound_ctrl:1
	;;#ASMEND
	;;#ASMSTART
	v_max_f32 v24, v23, v23 quad_perm:[2,3,0,1] row_mask:0xf bank_mask:0xf bound_ctrl:1
	;;#ASMEND
	;;#ASMSTART
	v_max_f32 v23, v24, v24 row_half_mirror row_mask:0xf bank_mask:0xf bound_ctrl:1
	;;#ASMEND
	;;#ASMSTART
	v_max_f32 v24, v23, v23 row_mirror row_mask:0xf bank_mask:0xf bound_ctrl:1
	;;#ASMEND
	;;#ASMSTART
	v_max_f32 v23, v24, v24 row_ror:4 row_mask:0xf bank_mask:0xf bound_ctrl:1
	;;#ASMEND
	;;#ASMSTART
	v_max_f32 v24, v23, v23 row_ror:8 row_mask:0xf bank_mask:0xf bound_ctrl:1
	;;#ASMEND
	;;#ASMSTART
	v_max_f32 v23, v24, v24 row_bcast:15 row_mask:0xf bank_mask:0xf bound_ctrl:1
	;;#ASMEND
	;;#ASMSTART
	v_max_f32 v24, v23, v23 row_bcast:31 row_mask:0xf bank_mask:0xf bound_ctrl:1
	;;#ASMEND
	ds_bpermute_b32 v23, v17, v24
	v_cndmask_b32_e32 v20, v20, v7, vcc
	v_cndmask_b32_e32 v21, v21, v3, vcc
	v_cndmask_b32_e64 v22, 0, v20, s[0:1]
	s_waitcnt lgkmcnt(0)
	v_cmp_eq_f32_e32 vcc, v19, v23
	s_ff1_i32_b64 s7, vcc
	s_cmp_lg_u64 vcc, 0
	s_cselect_b32 s7, s7, 0
	v_readlane_b32 s7, v22, s7
	v_cmp_eq_u32_e32 vcc, s7, v20
	s_and_b64 vcc, s[0:1], vcc
	s_and_b32 s12, s7, 63
	v_cndmask_b32_e32 v20, 0, v21, vcc
	v_addc_co_u32_e32 v15, vcc, 0, v15, vcc
	v_readlane_b32 s0, v20, s12
	s_add_i32 s3, s3, -1
	v_mov_b32_e32 v19, s7
	v_mov_b32_e32 v20, s0
	v_cmp_eq_u32_e32 vcc, 0, v18
	s_cmp_eq_u32 s3, 0
	v_add_u32_e32 v18, -1, v18
	v_cndmask_b32_e32 v14, v14, v20, vcc
	v_cndmask_b32_e32 v13, v13, v19, vcc
	s_cbranch_scc0 .LBB162_14
; %bb.15:
	v_cmp_gt_i32_e32 vcc, s2, v0
	s_and_saveexec_b64 s[0:1], vcc
	s_cbranch_execz .LBB162_17
.LBB162_16:
	s_load_dword s2, s[4:5], 0x30
	s_load_dwordx2 s[0:1], s[4:5], 0x20
	s_ashr_i32 s3, s6, 31
	v_lshlrev_b32_e32 v0, 2, v0
	s_waitcnt lgkmcnt(0)
	v_mul_f32_e32 v1, s2, v14
	s_mul_i32 s1, s6, s1
	s_mul_hi_u32 s2, s6, s0
	s_add_i32 s1, s2, s1
	s_mul_i32 s3, s3, s0
	s_add_i32 s1, s1, s3
	s_mul_i32 s0, s6, s0
	s_lshl_b64 s[0:1], s[0:1], 2
	s_add_u32 s2, s8, s0
	s_addc_u32 s3, s9, s1
	s_add_u32 s0, s10, s0
	s_addc_u32 s1, s11, s1
	global_store_dword v0, v1, s[2:3]
	global_store_dword v0, v13, s[0:1]
.LBB162_17:
	s_endpgm
.LBB162_18:
	v_mov_b32_e32 v13, 0
	v_mov_b32_e32 v14, 0
	v_cmp_gt_i32_e32 vcc, s2, v0
	s_and_saveexec_b64 s[0:1], vcc
	s_cbranch_execnz .LBB162_16
	s_branch .LBB162_17
	.section	.rodata,"a",@progbits
	.p2align	6, 0x0
	.amdhsa_kernel _ZN5aiter24topk_softplus_kernel_optI6__halfS1_Li256ELb0ELi0EEEvPKT_PKT0_PfPimiif
		.amdhsa_group_segment_fixed_size 0
		.amdhsa_private_segment_fixed_size 0
		.amdhsa_kernarg_size 52
		.amdhsa_user_sgpr_count 6
		.amdhsa_user_sgpr_private_segment_buffer 1
		.amdhsa_user_sgpr_dispatch_ptr 0
		.amdhsa_user_sgpr_queue_ptr 0
		.amdhsa_user_sgpr_kernarg_segment_ptr 1
		.amdhsa_user_sgpr_dispatch_id 0
		.amdhsa_user_sgpr_flat_scratch_init 0
		.amdhsa_user_sgpr_kernarg_preload_length 0
		.amdhsa_user_sgpr_kernarg_preload_offset 0
		.amdhsa_user_sgpr_private_segment_size 0
		.amdhsa_uses_dynamic_stack 0
		.amdhsa_system_sgpr_private_segment_wavefront_offset 0
		.amdhsa_system_sgpr_workgroup_id_x 1
		.amdhsa_system_sgpr_workgroup_id_y 0
		.amdhsa_system_sgpr_workgroup_id_z 0
		.amdhsa_system_sgpr_workgroup_info 0
		.amdhsa_system_vgpr_workitem_id 0
		.amdhsa_next_free_vgpr 25
		.amdhsa_next_free_sgpr 16
		.amdhsa_accum_offset 28
		.amdhsa_reserve_vcc 1
		.amdhsa_reserve_flat_scratch 0
		.amdhsa_float_round_mode_32 0
		.amdhsa_float_round_mode_16_64 0
		.amdhsa_float_denorm_mode_32 3
		.amdhsa_float_denorm_mode_16_64 3
		.amdhsa_dx10_clamp 1
		.amdhsa_ieee_mode 1
		.amdhsa_fp16_overflow 0
		.amdhsa_tg_split 0
		.amdhsa_exception_fp_ieee_invalid_op 0
		.amdhsa_exception_fp_denorm_src 0
		.amdhsa_exception_fp_ieee_div_zero 0
		.amdhsa_exception_fp_ieee_overflow 0
		.amdhsa_exception_fp_ieee_underflow 0
		.amdhsa_exception_fp_ieee_inexact 0
		.amdhsa_exception_int_div_zero 0
	.end_amdhsa_kernel
	.section	.text._ZN5aiter24topk_softplus_kernel_optI6__halfS1_Li256ELb0ELi0EEEvPKT_PKT0_PfPimiif,"axG",@progbits,_ZN5aiter24topk_softplus_kernel_optI6__halfS1_Li256ELb0ELi0EEEvPKT_PKT0_PfPimiif,comdat
.Lfunc_end162:
	.size	_ZN5aiter24topk_softplus_kernel_optI6__halfS1_Li256ELb0ELi0EEEvPKT_PKT0_PfPimiif, .Lfunc_end162-_ZN5aiter24topk_softplus_kernel_optI6__halfS1_Li256ELb0ELi0EEEvPKT_PKT0_PfPimiif
                                        ; -- End function
	.section	.AMDGPU.csdata,"",@progbits
; Kernel info:
; codeLenInByte = 1800
; NumSgprs: 20
; NumVgprs: 25
; NumAgprs: 0
; TotalNumVgprs: 25
; ScratchSize: 0
; MemoryBound: 0
; FloatMode: 240
; IeeeMode: 1
; LDSByteSize: 0 bytes/workgroup (compile time only)
; SGPRBlocks: 2
; VGPRBlocks: 3
; NumSGPRsForWavesPerEU: 20
; NumVGPRsForWavesPerEU: 25
; AccumOffset: 28
; Occupancy: 8
; WaveLimiterHint : 0
; COMPUTE_PGM_RSRC2:SCRATCH_EN: 0
; COMPUTE_PGM_RSRC2:USER_SGPR: 6
; COMPUTE_PGM_RSRC2:TRAP_HANDLER: 0
; COMPUTE_PGM_RSRC2:TGID_X_EN: 1
; COMPUTE_PGM_RSRC2:TGID_Y_EN: 0
; COMPUTE_PGM_RSRC2:TGID_Z_EN: 0
; COMPUTE_PGM_RSRC2:TIDIG_COMP_CNT: 0
; COMPUTE_PGM_RSRC3_GFX90A:ACCUM_OFFSET: 6
; COMPUTE_PGM_RSRC3_GFX90A:TG_SPLIT: 0
	.section	.text._ZN5aiter24topk_softplus_kernel_optI6__halfS1_Li384ELb1ELi0EEEvPKT_PKT0_PfPimiif,"axG",@progbits,_ZN5aiter24topk_softplus_kernel_optI6__halfS1_Li384ELb1ELi0EEEvPKT_PKT0_PfPimiif,comdat
	.protected	_ZN5aiter24topk_softplus_kernel_optI6__halfS1_Li384ELb1ELi0EEEvPKT_PKT0_PfPimiif ; -- Begin function _ZN5aiter24topk_softplus_kernel_optI6__halfS1_Li384ELb1ELi0EEEvPKT_PKT0_PfPimiif
	.globl	_ZN5aiter24topk_softplus_kernel_optI6__halfS1_Li384ELb1ELi0EEEvPKT_PKT0_PfPimiif
	.p2align	8
	.type	_ZN5aiter24topk_softplus_kernel_optI6__halfS1_Li384ELb1ELi0EEEvPKT_PKT0_PfPimiif,@function
_ZN5aiter24topk_softplus_kernel_optI6__halfS1_Li384ELb1ELi0EEEvPKT_PKT0_PfPimiif: ; @_ZN5aiter24topk_softplus_kernel_optI6__halfS1_Li384ELb1ELi0EEEvPKT_PKT0_PfPimiif
; %bb.0:
	s_load_dwordx4 s[8:11], s[4:5], 0x0
	s_mul_i32 s0, s6, 0x180
	s_ashr_i32 s1, s0, 31
	s_lshl_b64 s[0:1], s[0:1], 1
	v_lshlrev_b32_e32 v1, 1, v0
	s_waitcnt lgkmcnt(0)
	s_add_u32 s0, s8, s0
	s_addc_u32 s1, s9, s1
	global_load_ushort v2, v1, s[0:1]
	s_mov_b32 s13, 0xc2fc0000
	v_mov_b32_e32 v7, 0x42800000
	s_mov_b32 s12, 0x3fb8aa3b
	v_mov_b32_e32 v8, 0x1f800000
	s_mov_b32 s14, 0x800000
	v_mov_b32_e32 v9, 0x4f800000
	v_mov_b32_e32 v10, 0x42000000
	s_movk_i32 s7, 0x4d00
	s_mov_b32 s15, 0xf800000
	v_mov_b32_e32 v6, 0x260
	s_cmp_lg_u64 s[10:11], 0
	s_cselect_b64 s[8:9], -1, 0
	s_waitcnt vmcnt(0)
	v_cvt_f32_f16_e32 v3, v2
	v_mul_f32_e32 v4, 0x3fb8aa3b, v3
	v_cmp_gt_f32_e32 vcc, s13, v4
	v_cndmask_b32_e32 v4, 0, v7, vcc
	v_fma_mix_f32 v4, v2, s12, v4 op_sel_hi:[1,0,0]
	v_exp_f32_e32 v4, v4
	v_cndmask_b32_e32 v5, 1.0, v8, vcc
	v_fma_f32 v4, v4, v5, 1.0
	v_cmp_gt_f32_e32 vcc, s14, v4
	v_cndmask_b32_e32 v5, 1.0, v9, vcc
	v_mul_f32_e32 v4, v4, v5
	v_log_f32_e32 v4, v4
	v_cndmask_b32_e32 v11, 0, v10, vcc
	v_cmp_lt_f16_e32 vcc, s7, v2
	v_mov_b32_e32 v5, s1
	v_sub_f32_e32 v4, v4, v11
	v_mul_f32_e32 v4, 0x3f317218, v4
	v_cndmask_b32_e32 v2, v4, v3, vcc
	v_mul_f32_e32 v3, 0x4f800000, v2
	v_cmp_gt_f32_e32 vcc, s15, v2
	v_cndmask_b32_e32 v4, v2, v3, vcc
	v_sqrt_f32_e32 v11, v4
	v_add_co_u32_e64 v2, s[0:1], s0, v1
	v_addc_co_u32_e64 v3, s[0:1], 0, v5, s[0:1]
	v_add_u32_e32 v5, -1, v11
	v_add_u32_e32 v12, 1, v11
	v_fma_f32 v13, -v5, v11, v4
	v_fma_f32 v14, -v12, v11, v4
	v_cmp_ge_f32_e64 s[2:3], 0, v13
	v_cndmask_b32_e64 v5, v11, v5, s[2:3]
	v_cmp_lt_f32_e64 s[2:3], 0, v14
	v_cndmask_b32_e64 v5, v5, v12, s[2:3]
	v_mul_f32_e32 v11, 0x37800000, v5
	v_cndmask_b32_e32 v5, v5, v11, vcc
	v_cmp_class_f32_e32 vcc, v4, v6
	s_and_b64 s[0:1], exec, s[8:9]
	v_cndmask_b32_e32 v4, v5, v4, vcc
	v_mov_b32_e32 v5, v4
	s_mov_b64 vcc, s[0:1]
	s_cbranch_vccz .LBB163_2
; %bb.1:
	global_load_ushort v5, v1, s[10:11]
	s_waitcnt vmcnt(0)
	v_cvt_f32_f16_e32 v5, v5
	v_add_f32_e32 v5, v4, v5
.LBB163_2:
	global_load_ushort v11, v[2:3], off offset:128
	s_waitcnt vmcnt(0)
	v_cvt_f32_f16_e32 v12, v11
	v_mul_f32_e32 v13, 0x3fb8aa3b, v12
	v_cmp_gt_f32_e32 vcc, s13, v13
	v_cndmask_b32_e32 v7, 0, v7, vcc
	v_fma_mix_f32 v7, v11, s12, v7 op_sel_hi:[1,0,0]
	v_exp_f32_e32 v7, v7
	v_cndmask_b32_e32 v8, 1.0, v8, vcc
	v_fma_f32 v7, v7, v8, 1.0
	v_cmp_gt_f32_e32 vcc, s14, v7
	v_cndmask_b32_e32 v8, 1.0, v9, vcc
	v_mul_f32_e32 v7, v7, v8
	v_log_f32_e32 v7, v7
	v_cndmask_b32_e32 v8, 0, v10, vcc
	v_cmp_lt_f16_e32 vcc, s7, v11
	v_cndmask_b32_e64 v9, 0, 1, s[8:9]
	v_sub_f32_e32 v7, v7, v8
	v_mul_f32_e32 v7, 0x3f317218, v7
	v_cndmask_b32_e32 v7, v7, v12, vcc
	v_mul_f32_e32 v8, 0x4f800000, v7
	v_cmp_gt_f32_e32 vcc, s15, v7
	v_cndmask_b32_e32 v7, v7, v8, vcc
	v_sqrt_f32_e32 v8, v7
	v_cmp_ne_u32_e64 s[0:1], 1, v9
	v_add_u32_e32 v9, -1, v8
	v_add_u32_e32 v10, 1, v8
	v_fma_f32 v11, -v9, v8, v7
	v_fma_f32 v12, -v10, v8, v7
	v_cmp_ge_f32_e64 s[2:3], 0, v11
	v_cndmask_b32_e64 v8, v8, v9, s[2:3]
	v_cmp_lt_f32_e64 s[2:3], 0, v12
	v_cndmask_b32_e64 v8, v8, v10, s[2:3]
	v_mul_f32_e32 v9, 0x37800000, v8
	v_cndmask_b32_e32 v8, v8, v9, vcc
	v_cmp_class_f32_e32 vcc, v7, v6
	v_cndmask_b32_e32 v6, v8, v7, vcc
	s_andn2_b64 vcc, exec, s[8:9]
	v_mov_b32_e32 v7, v6
	s_cbranch_vccnz .LBB163_4
; %bb.3:
	global_load_ushort v7, v1, s[10:11] offset:128
	s_waitcnt vmcnt(0)
	v_cvt_f32_f16_e32 v7, v7
	v_add_f32_e32 v7, v6, v7
.LBB163_4:
	global_load_ushort v8, v[2:3], off offset:256
	s_mov_b32 s12, 0xc2fc0000
	v_mov_b32_e32 v12, 0x42800000
	s_mov_b32 s8, 0x3fb8aa3b
	v_mov_b32_e32 v10, 0x1f800000
	;; [unrolled: 2-line block ×3, first 2 shown]
	s_mov_b32 s9, 0xf800000
	s_waitcnt vmcnt(0)
	v_cvt_f32_f16_e32 v9, v8
	v_mul_f32_e32 v11, 0x3fb8aa3b, v9
	v_cmp_gt_f32_e32 vcc, s12, v11
	v_cndmask_b32_e32 v13, 0, v12, vcc
	v_fma_mix_f32 v13, v8, s8, v13 op_sel_hi:[1,0,0]
	v_exp_f32_e32 v13, v13
	v_cndmask_b32_e32 v11, 1.0, v10, vcc
	v_fma_f32 v11, v13, v11, 1.0
	v_cmp_gt_f32_e32 vcc, s13, v11
	v_cndmask_b32_e32 v13, 1.0, v14, vcc
	v_mul_f32_e32 v11, v11, v13
	v_log_f32_e32 v13, v11
	v_mov_b32_e32 v11, 0x42000000
	v_cndmask_b32_e32 v15, 0, v11, vcc
	v_cmp_lt_f16_e32 vcc, s7, v8
	v_sub_f32_e32 v13, v13, v15
	v_mul_f32_e32 v13, 0x3f317218, v13
	v_cndmask_b32_e32 v8, v13, v9, vcc
	v_mul_f32_e32 v9, 0x4f800000, v8
	v_cmp_gt_f32_e32 vcc, s9, v8
	v_cndmask_b32_e32 v8, v8, v9, vcc
	v_sqrt_f32_e32 v9, v8
	v_mov_b32_e32 v13, 0x260
	v_add_u32_e32 v15, -1, v9
	v_add_u32_e32 v16, 1, v9
	v_fma_f32 v17, -v15, v9, v8
	v_fma_f32 v18, -v16, v9, v8
	v_cmp_ge_f32_e64 s[2:3], 0, v17
	v_cndmask_b32_e64 v9, v9, v15, s[2:3]
	v_cmp_lt_f32_e64 s[2:3], 0, v18
	v_cndmask_b32_e64 v9, v9, v16, s[2:3]
	v_mul_f32_e32 v15, 0x37800000, v9
	v_cndmask_b32_e32 v9, v9, v15, vcc
	v_cmp_class_f32_e32 vcc, v8, v13
	v_cndmask_b32_e32 v8, v9, v8, vcc
	s_and_b64 vcc, exec, s[0:1]
	v_mov_b32_e32 v9, v8
	s_cbranch_vccnz .LBB163_6
; %bb.5:
	global_load_ushort v9, v1, s[10:11] offset:256
	s_waitcnt vmcnt(0)
	v_cvt_f32_f16_e32 v9, v9
	v_add_f32_e32 v9, v8, v9
.LBB163_6:
	global_load_ushort v15, v[2:3], off offset:384
	s_waitcnt vmcnt(0)
	v_cvt_f32_f16_e32 v16, v15
	v_mul_f32_e32 v17, 0x3fb8aa3b, v16
	v_cmp_gt_f32_e32 vcc, s12, v17
	v_cndmask_b32_e32 v12, 0, v12, vcc
	v_fma_mix_f32 v12, v15, s8, v12 op_sel_hi:[1,0,0]
	v_exp_f32_e32 v12, v12
	v_cndmask_b32_e32 v10, 1.0, v10, vcc
	v_fma_f32 v10, v12, v10, 1.0
	v_cmp_gt_f32_e32 vcc, s13, v10
	v_cndmask_b32_e32 v12, 1.0, v14, vcc
	v_mul_f32_e32 v10, v10, v12
	v_log_f32_e32 v10, v10
	v_cndmask_b32_e32 v11, 0, v11, vcc
	v_cmp_lt_f16_e32 vcc, s7, v15
	v_sub_f32_e32 v10, v10, v11
	v_mul_f32_e32 v10, 0x3f317218, v10
	v_cndmask_b32_e32 v10, v10, v16, vcc
	v_mul_f32_e32 v11, 0x4f800000, v10
	v_cmp_gt_f32_e32 vcc, s9, v10
	v_cndmask_b32_e32 v10, v10, v11, vcc
	v_sqrt_f32_e32 v11, v10
	v_add_u32_e32 v12, -1, v11
	v_add_u32_e32 v14, 1, v11
	v_fma_f32 v15, -v12, v11, v10
	v_fma_f32 v16, -v14, v11, v10
	v_cmp_ge_f32_e64 s[2:3], 0, v15
	v_cndmask_b32_e64 v11, v11, v12, s[2:3]
	v_cmp_lt_f32_e64 s[2:3], 0, v16
	v_cndmask_b32_e64 v11, v11, v14, s[2:3]
	v_mul_f32_e32 v12, 0x37800000, v11
	v_cndmask_b32_e32 v11, v11, v12, vcc
	v_cmp_class_f32_e32 vcc, v10, v13
	v_cndmask_b32_e32 v10, v11, v10, vcc
	s_and_b64 vcc, exec, s[0:1]
	v_mov_b32_e32 v11, v10
	s_cbranch_vccnz .LBB163_8
; %bb.7:
	global_load_ushort v11, v1, s[10:11] offset:384
	s_waitcnt vmcnt(0)
	v_cvt_f32_f16_e32 v11, v11
	v_add_f32_e32 v11, v10, v11
.LBB163_8:
	global_load_ushort v12, v[2:3], off offset:512
	v_mov_b32_e32 v16, 0x42800000
	v_mov_b32_e32 v14, 0x1f800000
	;; [unrolled: 1-line block ×3, first 2 shown]
	s_waitcnt vmcnt(0)
	v_cvt_f32_f16_e32 v13, v12
	v_mul_f32_e32 v15, 0x3fb8aa3b, v13
	v_cmp_gt_f32_e32 vcc, s12, v15
	v_cndmask_b32_e32 v17, 0, v16, vcc
	v_fma_mix_f32 v17, v12, s8, v17 op_sel_hi:[1,0,0]
	v_exp_f32_e32 v17, v17
	v_cndmask_b32_e32 v15, 1.0, v14, vcc
	v_fma_f32 v15, v17, v15, 1.0
	v_cmp_gt_f32_e32 vcc, s13, v15
	v_cndmask_b32_e32 v17, 1.0, v18, vcc
	v_mul_f32_e32 v15, v15, v17
	v_log_f32_e32 v17, v15
	v_mov_b32_e32 v15, 0x42000000
	v_cndmask_b32_e32 v19, 0, v15, vcc
	v_cmp_lt_f16_e32 vcc, s7, v12
	v_sub_f32_e32 v17, v17, v19
	v_mul_f32_e32 v17, 0x3f317218, v17
	v_cndmask_b32_e32 v12, v17, v13, vcc
	v_mul_f32_e32 v13, 0x4f800000, v12
	v_cmp_gt_f32_e32 vcc, s9, v12
	v_cndmask_b32_e32 v12, v12, v13, vcc
	v_sqrt_f32_e32 v13, v12
	v_mov_b32_e32 v17, 0x260
	v_add_u32_e32 v19, -1, v13
	v_add_u32_e32 v20, 1, v13
	v_fma_f32 v21, -v19, v13, v12
	v_fma_f32 v22, -v20, v13, v12
	v_cmp_ge_f32_e64 s[2:3], 0, v21
	v_cndmask_b32_e64 v13, v13, v19, s[2:3]
	v_cmp_lt_f32_e64 s[2:3], 0, v22
	v_cndmask_b32_e64 v13, v13, v20, s[2:3]
	v_mul_f32_e32 v19, 0x37800000, v13
	v_cndmask_b32_e32 v13, v13, v19, vcc
	v_cmp_class_f32_e32 vcc, v12, v17
	v_cndmask_b32_e32 v12, v13, v12, vcc
	s_and_b64 vcc, exec, s[0:1]
	v_mov_b32_e32 v13, v12
	s_cbranch_vccnz .LBB163_10
; %bb.9:
	global_load_ushort v13, v1, s[10:11] offset:512
	s_waitcnt vmcnt(0)
	v_cvt_f32_f16_e32 v13, v13
	v_add_f32_e32 v13, v12, v13
.LBB163_10:
	global_load_ushort v2, v[2:3], off offset:640
	s_waitcnt vmcnt(0)
	v_cvt_f32_f16_e32 v3, v2
	v_mul_f32_e32 v19, 0x3fb8aa3b, v3
	v_cmp_gt_f32_e32 vcc, s12, v19
	v_cndmask_b32_e32 v16, 0, v16, vcc
	v_fma_mix_f32 v16, v2, s8, v16 op_sel_hi:[1,0,0]
	v_exp_f32_e32 v16, v16
	v_cndmask_b32_e32 v14, 1.0, v14, vcc
	v_fma_f32 v14, v16, v14, 1.0
	v_cmp_gt_f32_e32 vcc, s13, v14
	v_cndmask_b32_e32 v16, 1.0, v18, vcc
	v_mul_f32_e32 v14, v14, v16
	v_log_f32_e32 v14, v14
	v_cndmask_b32_e32 v15, 0, v15, vcc
	v_cmp_lt_f16_e32 vcc, s7, v2
	v_sub_f32_e32 v14, v14, v15
	v_mul_f32_e32 v14, 0x3f317218, v14
	v_cndmask_b32_e32 v2, v14, v3, vcc
	v_mul_f32_e32 v3, 0x4f800000, v2
	v_cmp_gt_f32_e32 vcc, s9, v2
	v_cndmask_b32_e32 v2, v2, v3, vcc
	v_sqrt_f32_e32 v3, v2
	v_add_u32_e32 v14, -1, v3
	v_add_u32_e32 v15, 1, v3
	v_fma_f32 v16, -v14, v3, v2
	v_fma_f32 v18, -v15, v3, v2
	v_cmp_ge_f32_e64 s[2:3], 0, v16
	v_cndmask_b32_e64 v3, v3, v14, s[2:3]
	v_cmp_lt_f32_e64 s[2:3], 0, v18
	v_cndmask_b32_e64 v3, v3, v15, s[2:3]
	v_mul_f32_e32 v14, 0x37800000, v3
	v_cndmask_b32_e32 v3, v3, v14, vcc
	v_cmp_class_f32_e32 vcc, v2, v17
	v_cndmask_b32_e32 v2, v3, v2, vcc
	s_and_b64 vcc, exec, s[0:1]
	v_mov_b32_e32 v3, v2
	s_cbranch_vccnz .LBB163_12
; %bb.11:
	global_load_ushort v1, v1, s[10:11] offset:640
	s_waitcnt vmcnt(0)
	v_cvt_f32_f16_e32 v1, v1
	v_add_f32_e32 v3, v2, v1
.LBB163_12:
	v_add_u32_e32 v1, 64, v0
	v_cmp_lt_f32_e32 vcc, v5, v7
	v_add_u32_e32 v14, 0x80, v0
	v_add_u32_e32 v15, 0xc0, v0
	v_cndmask_b32_e32 v18, v6, v4, vcc
	v_cndmask_b32_e32 v4, v4, v6, vcc
	;; [unrolled: 1-line block ×6, first 2 shown]
	v_cmp_lt_f32_e32 vcc, v9, v11
	v_add_u32_e32 v16, 0x100, v0
	v_add_u32_e32 v17, 0x140, v0
	v_cndmask_b32_e32 v7, v10, v8, vcc
	v_cndmask_b32_e32 v8, v8, v10, vcc
	v_cndmask_b32_e32 v10, v15, v14, vcc
	v_cndmask_b32_e32 v14, v14, v15, vcc
	v_cndmask_b32_e32 v15, v11, v9, vcc
	v_cndmask_b32_e32 v9, v9, v11, vcc
	v_cmp_lt_f32_e32 vcc, v13, v3
	v_cndmask_b32_e32 v11, v2, v12, vcc
	v_cndmask_b32_e32 v2, v12, v2, vcc
	v_cndmask_b32_e32 v12, v17, v16, vcc
	v_cndmask_b32_e32 v16, v16, v17, vcc
	v_cndmask_b32_e32 v17, v3, v13, vcc
	v_cndmask_b32_e32 v3, v13, v3, vcc
	v_cmp_lt_f32_e32 vcc, v5, v9
	;; [unrolled: 7-line block ×7, first 2 shown]
	v_cndmask_b32_e32 v12, v21, v23, vcc
	v_cmp_lt_f32_e64 s[0:1], v26, v13
	v_cndmask_b32_e32 v5, v22, v9, vcc
	v_cndmask_b32_e32 v8, v9, v22, vcc
	;; [unrolled: 1-line block ×3, first 2 shown]
	v_cndmask_b32_e64 v18, v1, v24, s[0:1]
	v_cndmask_b32_e64 v14, v3, v25, s[0:1]
	;; [unrolled: 1-line block ×3, first 2 shown]
	v_cmp_lt_f32_e64 s[2:3], v16, v12
	v_cndmask_b32_e32 v10, v20, v11, vcc
	v_cndmask_b32_e32 v9, v23, v21, vcc
	v_cndmask_b32_e64 v1, v24, v1, s[0:1]
	v_cndmask_b32_e64 v3, v25, v3, s[0:1]
	;; [unrolled: 1-line block ×3, first 2 shown]
	s_and_saveexec_b64 s[0:1], s[2:3]
	s_xor_b64 s[0:1], exec, s[0:1]
; %bb.13:
	v_mov_b32_e32 v13, v19
	v_mov_b32_e32 v20, v15
	v_mov_b32_e32 v21, v16
	v_swap_b32 v16, v12
	v_swap_b32 v19, v8
	;; [unrolled: 1-line block ×3, first 2 shown]
; %bb.14:
	s_or_b64 exec, exec, s[0:1]
	s_load_dword s7, s[4:5], 0x28
	s_load_dwordx4 s[16:19], s[4:5], 0x10
	v_mov_b32_e32 v21, 0
	s_waitcnt lgkmcnt(0)
	s_cmp_lt_i32 s7, 1
	s_cbranch_scc1 .LBB163_20
; %bb.15:
	v_cmp_lt_f32_e32 vcc, v17, v16
	v_cndmask_b32_e32 v13, v15, v14, vcc
	v_cndmask_b32_e32 v14, v14, v15, vcc
	;; [unrolled: 1-line block ×6, first 2 shown]
	v_mbcnt_lo_u32_b32 v19, -1, 0
	v_mbcnt_hi_u32_b32 v19, -1, v19
	v_bfrev_b32_e32 v20, 0.5
	v_mov_b32_e32 v21, 0
	v_mov_b32_e32 v22, 0
	;; [unrolled: 1-line block ×3, first 2 shown]
	v_lshl_or_b32 v24, v19, 2, v20
	v_mov_b32_e32 v25, v0
	s_mov_b32 s20, s7
	v_mov_b32_e32 v19, 0
	v_mov_b32_e32 v20, 0
.LBB163_16:                             ; =>This Inner Loop Header: Depth=1
	v_cmp_eq_u32_e32 vcc, 1, v22
	v_cndmask_b32_e32 v26, v6, v11, vcc
	v_cmp_eq_u32_e64 s[0:1], 2, v22
	v_cndmask_b32_e64 v26, v26, v16, s[0:1]
	v_cmp_eq_u32_e64 s[2:3], 3, v22
	v_cndmask_b32_e64 v26, v26, v15, s[2:3]
	;; [unrolled: 2-line block ×4, first 2 shown]
	v_cmp_gt_u32_e64 s[12:13], 6, v22
	v_cndmask_b32_e64 v26, v23, v26, s[12:13]
	;;#ASMSTART
	v_max_f32 v27, v26, v26 quad_perm:[1,0,3,2] row_mask:0xf bank_mask:0xf bound_ctrl:1
	;;#ASMEND
	;;#ASMSTART
	v_max_f32 v28, v27, v27 quad_perm:[2,3,0,1] row_mask:0xf bank_mask:0xf bound_ctrl:1
	;;#ASMEND
	;;#ASMSTART
	v_max_f32 v27, v28, v28 row_half_mirror row_mask:0xf bank_mask:0xf bound_ctrl:1
	;;#ASMEND
	;;#ASMSTART
	v_max_f32 v28, v27, v27 row_mirror row_mask:0xf bank_mask:0xf bound_ctrl:1
	;;#ASMEND
	;;#ASMSTART
	v_max_f32 v27, v28, v28 row_ror:4 row_mask:0xf bank_mask:0xf bound_ctrl:1
	;;#ASMEND
	;;#ASMSTART
	v_max_f32 v28, v27, v27 row_ror:8 row_mask:0xf bank_mask:0xf bound_ctrl:1
	;;#ASMEND
	;;#ASMSTART
	v_max_f32 v27, v28, v28 row_bcast:15 row_mask:0xf bank_mask:0xf bound_ctrl:1
	;;#ASMEND
	;;#ASMSTART
	v_max_f32 v28, v27, v27 row_bcast:31 row_mask:0xf bank_mask:0xf bound_ctrl:1
	;;#ASMEND
	ds_bpermute_b32 v27, v24, v28
	s_waitcnt lgkmcnt(0)
	v_cmp_eq_f32_e64 s[14:15], v26, v27
	v_cndmask_b32_e32 v26, v4, v3, vcc
	v_cndmask_b32_e64 v26, v26, v14, s[0:1]
	v_cndmask_b32_e64 v26, v26, v13, s[2:3]
	;; [unrolled: 1-line block ×4, first 2 shown]
	s_ff1_i32_b64 s21, s[14:15]
	s_cmp_lg_u64 s[14:15], 0
	s_cselect_b32 s14, s21, 0
	v_cndmask_b32_e64 v27, 0, v26, s[12:13]
	v_readlane_b32 s21, v27, s14
	v_cmp_eq_u32_e64 s[14:15], s21, v26
	v_cndmask_b32_e32 v26, v2, v1, vcc
	v_cndmask_b32_e64 v26, v26, v18, s[0:1]
	v_cndmask_b32_e64 v26, v26, v17, s[2:3]
	;; [unrolled: 1-line block ×4, first 2 shown]
	s_and_b64 vcc, s[12:13], s[14:15]
	s_and_b32 s0, s21, 63
	v_cndmask_b32_e32 v26, 0, v26, vcc
	v_readlane_b32 s2, v26, s0
	v_mov_b32_e32 v26, s2
	v_cmp_eq_u32_e64 s[0:1], 0, v25
	v_cndmask_b32_e64 v20, v20, v26, s[0:1]
	v_mov_b32_e32 v26, s21
	s_add_i32 s20, s20, -1
	v_cndmask_b32_e64 v19, v19, v26, s[0:1]
	v_addc_co_u32_e32 v22, vcc, 0, v22, vcc
	s_cmp_eq_u32 s20, 0
	v_add_f32_e32 v21, s2, v21
	v_add_u32_e32 v25, -1, v25
	s_cbranch_scc0 .LBB163_16
; %bb.17:
	v_cmp_gt_i32_e32 vcc, s7, v0
	s_and_saveexec_b64 s[0:1], vcc
	s_cbranch_execz .LBB163_19
.LBB163_18:
	s_load_dword s2, s[4:5], 0x30
	v_max_f32_e32 v1, v21, v21
	v_max_f32_e32 v1, 0x1e3ce508, v1
	v_lshlrev_b32_e32 v0, 2, v0
	s_waitcnt lgkmcnt(0)
	v_div_scale_f32 v2, s[0:1], v1, v1, s2
	v_rcp_f32_e32 v3, v2
	v_div_scale_f32 v4, vcc, s2, v1, s2
	s_load_dwordx2 s[0:1], s[4:5], 0x20
	v_fma_f32 v5, -v2, v3, 1.0
	v_fmac_f32_e32 v3, v5, v3
	v_mul_f32_e32 v5, v4, v3
	v_fma_f32 v6, -v2, v5, v4
	v_fmac_f32_e32 v5, v6, v3
	v_fma_f32 v2, -v2, v5, v4
	v_div_fmas_f32 v2, v2, v3, v5
	v_div_fixup_f32 v1, v2, v1, s2
	s_ashr_i32 s2, s6, 31
	s_waitcnt lgkmcnt(0)
	s_mul_i32 s1, s6, s1
	s_mul_hi_u32 s3, s6, s0
	s_add_i32 s1, s3, s1
	s_mul_i32 s2, s2, s0
	s_add_i32 s1, s1, s2
	s_mul_i32 s0, s6, s0
	s_lshl_b64 s[0:1], s[0:1], 2
	s_add_u32 s2, s16, s0
	s_addc_u32 s3, s17, s1
	s_add_u32 s0, s18, s0
	v_mul_f32_e32 v1, v20, v1
	s_addc_u32 s1, s19, s1
	global_store_dword v0, v1, s[2:3]
	global_store_dword v0, v19, s[0:1]
.LBB163_19:
	s_endpgm
.LBB163_20:
	v_mov_b32_e32 v19, 0
	v_mov_b32_e32 v20, 0
	v_cmp_gt_i32_e32 vcc, s7, v0
	s_and_saveexec_b64 s[0:1], vcc
	s_cbranch_execnz .LBB163_18
	s_branch .LBB163_19
	.section	.rodata,"a",@progbits
	.p2align	6, 0x0
	.amdhsa_kernel _ZN5aiter24topk_softplus_kernel_optI6__halfS1_Li384ELb1ELi0EEEvPKT_PKT0_PfPimiif
		.amdhsa_group_segment_fixed_size 0
		.amdhsa_private_segment_fixed_size 0
		.amdhsa_kernarg_size 52
		.amdhsa_user_sgpr_count 6
		.amdhsa_user_sgpr_private_segment_buffer 1
		.amdhsa_user_sgpr_dispatch_ptr 0
		.amdhsa_user_sgpr_queue_ptr 0
		.amdhsa_user_sgpr_kernarg_segment_ptr 1
		.amdhsa_user_sgpr_dispatch_id 0
		.amdhsa_user_sgpr_flat_scratch_init 0
		.amdhsa_user_sgpr_kernarg_preload_length 0
		.amdhsa_user_sgpr_kernarg_preload_offset 0
		.amdhsa_user_sgpr_private_segment_size 0
		.amdhsa_uses_dynamic_stack 0
		.amdhsa_system_sgpr_private_segment_wavefront_offset 0
		.amdhsa_system_sgpr_workgroup_id_x 1
		.amdhsa_system_sgpr_workgroup_id_y 0
		.amdhsa_system_sgpr_workgroup_id_z 0
		.amdhsa_system_sgpr_workgroup_info 0
		.amdhsa_system_vgpr_workitem_id 0
		.amdhsa_next_free_vgpr 29
		.amdhsa_next_free_sgpr 22
		.amdhsa_accum_offset 32
		.amdhsa_reserve_vcc 1
		.amdhsa_reserve_flat_scratch 0
		.amdhsa_float_round_mode_32 0
		.amdhsa_float_round_mode_16_64 0
		.amdhsa_float_denorm_mode_32 3
		.amdhsa_float_denorm_mode_16_64 3
		.amdhsa_dx10_clamp 1
		.amdhsa_ieee_mode 1
		.amdhsa_fp16_overflow 0
		.amdhsa_tg_split 0
		.amdhsa_exception_fp_ieee_invalid_op 0
		.amdhsa_exception_fp_denorm_src 0
		.amdhsa_exception_fp_ieee_div_zero 0
		.amdhsa_exception_fp_ieee_overflow 0
		.amdhsa_exception_fp_ieee_underflow 0
		.amdhsa_exception_fp_ieee_inexact 0
		.amdhsa_exception_int_div_zero 0
	.end_amdhsa_kernel
	.section	.text._ZN5aiter24topk_softplus_kernel_optI6__halfS1_Li384ELb1ELi0EEEvPKT_PKT0_PfPimiif,"axG",@progbits,_ZN5aiter24topk_softplus_kernel_optI6__halfS1_Li384ELb1ELi0EEEvPKT_PKT0_PfPimiif,comdat
.Lfunc_end163:
	.size	_ZN5aiter24topk_softplus_kernel_optI6__halfS1_Li384ELb1ELi0EEEvPKT_PKT0_PfPimiif, .Lfunc_end163-_ZN5aiter24topk_softplus_kernel_optI6__halfS1_Li384ELb1ELi0EEEvPKT_PKT0_PfPimiif
                                        ; -- End function
	.section	.AMDGPU.csdata,"",@progbits
; Kernel info:
; codeLenInByte = 2704
; NumSgprs: 26
; NumVgprs: 29
; NumAgprs: 0
; TotalNumVgprs: 29
; ScratchSize: 0
; MemoryBound: 0
; FloatMode: 240
; IeeeMode: 1
; LDSByteSize: 0 bytes/workgroup (compile time only)
; SGPRBlocks: 3
; VGPRBlocks: 3
; NumSGPRsForWavesPerEU: 26
; NumVGPRsForWavesPerEU: 29
; AccumOffset: 32
; Occupancy: 8
; WaveLimiterHint : 0
; COMPUTE_PGM_RSRC2:SCRATCH_EN: 0
; COMPUTE_PGM_RSRC2:USER_SGPR: 6
; COMPUTE_PGM_RSRC2:TRAP_HANDLER: 0
; COMPUTE_PGM_RSRC2:TGID_X_EN: 1
; COMPUTE_PGM_RSRC2:TGID_Y_EN: 0
; COMPUTE_PGM_RSRC2:TGID_Z_EN: 0
; COMPUTE_PGM_RSRC2:TIDIG_COMP_CNT: 0
; COMPUTE_PGM_RSRC3_GFX90A:ACCUM_OFFSET: 7
; COMPUTE_PGM_RSRC3_GFX90A:TG_SPLIT: 0
	.section	.text._ZN5aiter24topk_softplus_kernel_optI6__halfS1_Li384ELb0ELi0EEEvPKT_PKT0_PfPimiif,"axG",@progbits,_ZN5aiter24topk_softplus_kernel_optI6__halfS1_Li384ELb0ELi0EEEvPKT_PKT0_PfPimiif,comdat
	.protected	_ZN5aiter24topk_softplus_kernel_optI6__halfS1_Li384ELb0ELi0EEEvPKT_PKT0_PfPimiif ; -- Begin function _ZN5aiter24topk_softplus_kernel_optI6__halfS1_Li384ELb0ELi0EEEvPKT_PKT0_PfPimiif
	.globl	_ZN5aiter24topk_softplus_kernel_optI6__halfS1_Li384ELb0ELi0EEEvPKT_PKT0_PfPimiif
	.p2align	8
	.type	_ZN5aiter24topk_softplus_kernel_optI6__halfS1_Li384ELb0ELi0EEEvPKT_PKT0_PfPimiif,@function
_ZN5aiter24topk_softplus_kernel_optI6__halfS1_Li384ELb0ELi0EEEvPKT_PKT0_PfPimiif: ; @_ZN5aiter24topk_softplus_kernel_optI6__halfS1_Li384ELb0ELi0EEEvPKT_PKT0_PfPimiif
; %bb.0:
	s_load_dwordx4 s[8:11], s[4:5], 0x0
	s_mul_i32 s0, s6, 0x180
	s_ashr_i32 s1, s0, 31
	s_lshl_b64 s[0:1], s[0:1], 1
	v_lshlrev_b32_e32 v1, 1, v0
	s_waitcnt lgkmcnt(0)
	s_add_u32 s0, s8, s0
	s_addc_u32 s1, s9, s1
	global_load_ushort v2, v1, s[0:1]
	s_mov_b32 s13, 0xc2fc0000
	v_mov_b32_e32 v7, 0x42800000
	s_mov_b32 s12, 0x3fb8aa3b
	v_mov_b32_e32 v8, 0x1f800000
	;; [unrolled: 2-line block ×3, first 2 shown]
	v_mov_b32_e32 v10, 0x42000000
	s_movk_i32 s7, 0x4d00
	s_mov_b32 s15, 0xf800000
	v_mov_b32_e32 v6, 0x260
	s_cmp_lg_u64 s[10:11], 0
	s_cselect_b64 s[8:9], -1, 0
	s_waitcnt vmcnt(0)
	v_cvt_f32_f16_e32 v3, v2
	v_mul_f32_e32 v4, 0x3fb8aa3b, v3
	v_cmp_gt_f32_e32 vcc, s13, v4
	v_cndmask_b32_e32 v4, 0, v7, vcc
	v_fma_mix_f32 v4, v2, s12, v4 op_sel_hi:[1,0,0]
	v_exp_f32_e32 v4, v4
	v_cndmask_b32_e32 v5, 1.0, v8, vcc
	v_fma_f32 v4, v4, v5, 1.0
	v_cmp_gt_f32_e32 vcc, s14, v4
	v_cndmask_b32_e32 v5, 1.0, v9, vcc
	v_mul_f32_e32 v4, v4, v5
	v_log_f32_e32 v4, v4
	v_cndmask_b32_e32 v11, 0, v10, vcc
	v_cmp_lt_f16_e32 vcc, s7, v2
	v_mov_b32_e32 v5, s1
	v_sub_f32_e32 v4, v4, v11
	v_mul_f32_e32 v4, 0x3f317218, v4
	v_cndmask_b32_e32 v2, v4, v3, vcc
	v_mul_f32_e32 v3, 0x4f800000, v2
	v_cmp_gt_f32_e32 vcc, s15, v2
	v_cndmask_b32_e32 v4, v2, v3, vcc
	v_sqrt_f32_e32 v11, v4
	v_add_co_u32_e64 v2, s[0:1], s0, v1
	v_addc_co_u32_e64 v3, s[0:1], 0, v5, s[0:1]
	v_add_u32_e32 v5, -1, v11
	v_add_u32_e32 v12, 1, v11
	v_fma_f32 v13, -v5, v11, v4
	v_fma_f32 v14, -v12, v11, v4
	v_cmp_ge_f32_e64 s[2:3], 0, v13
	v_cndmask_b32_e64 v5, v11, v5, s[2:3]
	v_cmp_lt_f32_e64 s[2:3], 0, v14
	v_cndmask_b32_e64 v5, v5, v12, s[2:3]
	v_mul_f32_e32 v11, 0x37800000, v5
	v_cndmask_b32_e32 v5, v5, v11, vcc
	v_cmp_class_f32_e32 vcc, v4, v6
	s_and_b64 s[0:1], exec, s[8:9]
	v_cndmask_b32_e32 v4, v5, v4, vcc
	v_mov_b32_e32 v5, v4
	s_mov_b64 vcc, s[0:1]
	s_cbranch_vccz .LBB164_2
; %bb.1:
	global_load_ushort v5, v1, s[10:11]
	s_waitcnt vmcnt(0)
	v_cvt_f32_f16_e32 v5, v5
	v_add_f32_e32 v5, v4, v5
.LBB164_2:
	global_load_ushort v11, v[2:3], off offset:128
	s_waitcnt vmcnt(0)
	v_cvt_f32_f16_e32 v12, v11
	v_mul_f32_e32 v13, 0x3fb8aa3b, v12
	v_cmp_gt_f32_e32 vcc, s13, v13
	v_cndmask_b32_e32 v7, 0, v7, vcc
	v_fma_mix_f32 v7, v11, s12, v7 op_sel_hi:[1,0,0]
	v_exp_f32_e32 v7, v7
	v_cndmask_b32_e32 v8, 1.0, v8, vcc
	v_fma_f32 v7, v7, v8, 1.0
	v_cmp_gt_f32_e32 vcc, s14, v7
	v_cndmask_b32_e32 v8, 1.0, v9, vcc
	v_mul_f32_e32 v7, v7, v8
	v_log_f32_e32 v7, v7
	v_cndmask_b32_e32 v8, 0, v10, vcc
	v_cmp_lt_f16_e32 vcc, s7, v11
	v_cndmask_b32_e64 v9, 0, 1, s[8:9]
	v_sub_f32_e32 v7, v7, v8
	v_mul_f32_e32 v7, 0x3f317218, v7
	v_cndmask_b32_e32 v7, v7, v12, vcc
	v_mul_f32_e32 v8, 0x4f800000, v7
	v_cmp_gt_f32_e32 vcc, s15, v7
	v_cndmask_b32_e32 v7, v7, v8, vcc
	v_sqrt_f32_e32 v8, v7
	v_cmp_ne_u32_e64 s[0:1], 1, v9
	v_add_u32_e32 v9, -1, v8
	v_add_u32_e32 v10, 1, v8
	v_fma_f32 v11, -v9, v8, v7
	v_fma_f32 v12, -v10, v8, v7
	v_cmp_ge_f32_e64 s[2:3], 0, v11
	v_cndmask_b32_e64 v8, v8, v9, s[2:3]
	v_cmp_lt_f32_e64 s[2:3], 0, v12
	v_cndmask_b32_e64 v8, v8, v10, s[2:3]
	v_mul_f32_e32 v9, 0x37800000, v8
	v_cndmask_b32_e32 v8, v8, v9, vcc
	v_cmp_class_f32_e32 vcc, v7, v6
	v_cndmask_b32_e32 v6, v8, v7, vcc
	s_andn2_b64 vcc, exec, s[8:9]
	v_mov_b32_e32 v7, v6
	s_cbranch_vccnz .LBB164_4
; %bb.3:
	global_load_ushort v7, v1, s[10:11] offset:128
	s_waitcnt vmcnt(0)
	v_cvt_f32_f16_e32 v7, v7
	v_add_f32_e32 v7, v6, v7
.LBB164_4:
	global_load_ushort v8, v[2:3], off offset:256
	s_mov_b32 s12, 0xc2fc0000
	v_mov_b32_e32 v12, 0x42800000
	s_mov_b32 s8, 0x3fb8aa3b
	v_mov_b32_e32 v10, 0x1f800000
	;; [unrolled: 2-line block ×3, first 2 shown]
	s_mov_b32 s9, 0xf800000
	s_waitcnt vmcnt(0)
	v_cvt_f32_f16_e32 v9, v8
	v_mul_f32_e32 v11, 0x3fb8aa3b, v9
	v_cmp_gt_f32_e32 vcc, s12, v11
	v_cndmask_b32_e32 v13, 0, v12, vcc
	v_fma_mix_f32 v13, v8, s8, v13 op_sel_hi:[1,0,0]
	v_exp_f32_e32 v13, v13
	v_cndmask_b32_e32 v11, 1.0, v10, vcc
	v_fma_f32 v11, v13, v11, 1.0
	v_cmp_gt_f32_e32 vcc, s13, v11
	v_cndmask_b32_e32 v13, 1.0, v14, vcc
	v_mul_f32_e32 v11, v11, v13
	v_log_f32_e32 v13, v11
	v_mov_b32_e32 v11, 0x42000000
	v_cndmask_b32_e32 v15, 0, v11, vcc
	v_cmp_lt_f16_e32 vcc, s7, v8
	v_sub_f32_e32 v13, v13, v15
	v_mul_f32_e32 v13, 0x3f317218, v13
	v_cndmask_b32_e32 v8, v13, v9, vcc
	v_mul_f32_e32 v9, 0x4f800000, v8
	v_cmp_gt_f32_e32 vcc, s9, v8
	v_cndmask_b32_e32 v8, v8, v9, vcc
	v_sqrt_f32_e32 v9, v8
	v_mov_b32_e32 v13, 0x260
	v_add_u32_e32 v15, -1, v9
	v_add_u32_e32 v16, 1, v9
	v_fma_f32 v17, -v15, v9, v8
	v_fma_f32 v18, -v16, v9, v8
	v_cmp_ge_f32_e64 s[2:3], 0, v17
	v_cndmask_b32_e64 v9, v9, v15, s[2:3]
	v_cmp_lt_f32_e64 s[2:3], 0, v18
	v_cndmask_b32_e64 v9, v9, v16, s[2:3]
	v_mul_f32_e32 v15, 0x37800000, v9
	v_cndmask_b32_e32 v9, v9, v15, vcc
	v_cmp_class_f32_e32 vcc, v8, v13
	v_cndmask_b32_e32 v8, v9, v8, vcc
	s_and_b64 vcc, exec, s[0:1]
	v_mov_b32_e32 v9, v8
	s_cbranch_vccnz .LBB164_6
; %bb.5:
	global_load_ushort v9, v1, s[10:11] offset:256
	s_waitcnt vmcnt(0)
	v_cvt_f32_f16_e32 v9, v9
	v_add_f32_e32 v9, v8, v9
.LBB164_6:
	global_load_ushort v15, v[2:3], off offset:384
	s_waitcnt vmcnt(0)
	v_cvt_f32_f16_e32 v16, v15
	v_mul_f32_e32 v17, 0x3fb8aa3b, v16
	v_cmp_gt_f32_e32 vcc, s12, v17
	v_cndmask_b32_e32 v12, 0, v12, vcc
	v_fma_mix_f32 v12, v15, s8, v12 op_sel_hi:[1,0,0]
	v_exp_f32_e32 v12, v12
	v_cndmask_b32_e32 v10, 1.0, v10, vcc
	v_fma_f32 v10, v12, v10, 1.0
	v_cmp_gt_f32_e32 vcc, s13, v10
	v_cndmask_b32_e32 v12, 1.0, v14, vcc
	v_mul_f32_e32 v10, v10, v12
	v_log_f32_e32 v10, v10
	v_cndmask_b32_e32 v11, 0, v11, vcc
	v_cmp_lt_f16_e32 vcc, s7, v15
	v_sub_f32_e32 v10, v10, v11
	v_mul_f32_e32 v10, 0x3f317218, v10
	v_cndmask_b32_e32 v10, v10, v16, vcc
	v_mul_f32_e32 v11, 0x4f800000, v10
	v_cmp_gt_f32_e32 vcc, s9, v10
	v_cndmask_b32_e32 v10, v10, v11, vcc
	v_sqrt_f32_e32 v11, v10
	v_add_u32_e32 v12, -1, v11
	v_add_u32_e32 v14, 1, v11
	v_fma_f32 v15, -v12, v11, v10
	v_fma_f32 v16, -v14, v11, v10
	v_cmp_ge_f32_e64 s[2:3], 0, v15
	v_cndmask_b32_e64 v11, v11, v12, s[2:3]
	v_cmp_lt_f32_e64 s[2:3], 0, v16
	v_cndmask_b32_e64 v11, v11, v14, s[2:3]
	v_mul_f32_e32 v12, 0x37800000, v11
	v_cndmask_b32_e32 v11, v11, v12, vcc
	v_cmp_class_f32_e32 vcc, v10, v13
	v_cndmask_b32_e32 v10, v11, v10, vcc
	s_and_b64 vcc, exec, s[0:1]
	v_mov_b32_e32 v11, v10
	s_cbranch_vccnz .LBB164_8
; %bb.7:
	global_load_ushort v11, v1, s[10:11] offset:384
	s_waitcnt vmcnt(0)
	v_cvt_f32_f16_e32 v11, v11
	v_add_f32_e32 v11, v10, v11
.LBB164_8:
	global_load_ushort v12, v[2:3], off offset:512
	v_mov_b32_e32 v16, 0x42800000
	v_mov_b32_e32 v14, 0x1f800000
	;; [unrolled: 1-line block ×3, first 2 shown]
	s_waitcnt vmcnt(0)
	v_cvt_f32_f16_e32 v13, v12
	v_mul_f32_e32 v15, 0x3fb8aa3b, v13
	v_cmp_gt_f32_e32 vcc, s12, v15
	v_cndmask_b32_e32 v17, 0, v16, vcc
	v_fma_mix_f32 v17, v12, s8, v17 op_sel_hi:[1,0,0]
	v_exp_f32_e32 v17, v17
	v_cndmask_b32_e32 v15, 1.0, v14, vcc
	v_fma_f32 v15, v17, v15, 1.0
	v_cmp_gt_f32_e32 vcc, s13, v15
	v_cndmask_b32_e32 v17, 1.0, v18, vcc
	v_mul_f32_e32 v15, v15, v17
	v_log_f32_e32 v17, v15
	v_mov_b32_e32 v15, 0x42000000
	v_cndmask_b32_e32 v19, 0, v15, vcc
	v_cmp_lt_f16_e32 vcc, s7, v12
	v_sub_f32_e32 v17, v17, v19
	v_mul_f32_e32 v17, 0x3f317218, v17
	v_cndmask_b32_e32 v12, v17, v13, vcc
	v_mul_f32_e32 v13, 0x4f800000, v12
	v_cmp_gt_f32_e32 vcc, s9, v12
	v_cndmask_b32_e32 v12, v12, v13, vcc
	v_sqrt_f32_e32 v13, v12
	v_mov_b32_e32 v17, 0x260
	v_add_u32_e32 v19, -1, v13
	v_add_u32_e32 v20, 1, v13
	v_fma_f32 v21, -v19, v13, v12
	v_fma_f32 v22, -v20, v13, v12
	v_cmp_ge_f32_e64 s[2:3], 0, v21
	v_cndmask_b32_e64 v13, v13, v19, s[2:3]
	v_cmp_lt_f32_e64 s[2:3], 0, v22
	v_cndmask_b32_e64 v13, v13, v20, s[2:3]
	v_mul_f32_e32 v19, 0x37800000, v13
	v_cndmask_b32_e32 v13, v13, v19, vcc
	v_cmp_class_f32_e32 vcc, v12, v17
	v_cndmask_b32_e32 v12, v13, v12, vcc
	s_and_b64 vcc, exec, s[0:1]
	v_mov_b32_e32 v13, v12
	s_cbranch_vccnz .LBB164_10
; %bb.9:
	global_load_ushort v13, v1, s[10:11] offset:512
	s_waitcnt vmcnt(0)
	v_cvt_f32_f16_e32 v13, v13
	v_add_f32_e32 v13, v12, v13
.LBB164_10:
	global_load_ushort v2, v[2:3], off offset:640
	s_waitcnt vmcnt(0)
	v_cvt_f32_f16_e32 v3, v2
	v_mul_f32_e32 v19, 0x3fb8aa3b, v3
	v_cmp_gt_f32_e32 vcc, s12, v19
	v_cndmask_b32_e32 v16, 0, v16, vcc
	v_fma_mix_f32 v16, v2, s8, v16 op_sel_hi:[1,0,0]
	v_exp_f32_e32 v16, v16
	v_cndmask_b32_e32 v14, 1.0, v14, vcc
	v_fma_f32 v14, v16, v14, 1.0
	v_cmp_gt_f32_e32 vcc, s13, v14
	v_cndmask_b32_e32 v16, 1.0, v18, vcc
	v_mul_f32_e32 v14, v14, v16
	v_log_f32_e32 v14, v14
	v_cndmask_b32_e32 v15, 0, v15, vcc
	v_cmp_lt_f16_e32 vcc, s7, v2
	v_sub_f32_e32 v14, v14, v15
	v_mul_f32_e32 v14, 0x3f317218, v14
	v_cndmask_b32_e32 v2, v14, v3, vcc
	v_mul_f32_e32 v3, 0x4f800000, v2
	v_cmp_gt_f32_e32 vcc, s9, v2
	v_cndmask_b32_e32 v2, v2, v3, vcc
	v_sqrt_f32_e32 v3, v2
	v_add_u32_e32 v14, -1, v3
	v_add_u32_e32 v15, 1, v3
	v_fma_f32 v16, -v14, v3, v2
	v_fma_f32 v18, -v15, v3, v2
	v_cmp_ge_f32_e64 s[2:3], 0, v16
	v_cndmask_b32_e64 v3, v3, v14, s[2:3]
	v_cmp_lt_f32_e64 s[2:3], 0, v18
	v_cndmask_b32_e64 v3, v3, v15, s[2:3]
	v_mul_f32_e32 v14, 0x37800000, v3
	v_cndmask_b32_e32 v3, v3, v14, vcc
	v_cmp_class_f32_e32 vcc, v2, v17
	v_cndmask_b32_e32 v2, v3, v2, vcc
	s_and_b64 vcc, exec, s[0:1]
	v_mov_b32_e32 v3, v2
	s_cbranch_vccnz .LBB164_12
; %bb.11:
	global_load_ushort v1, v1, s[10:11] offset:640
	s_waitcnt vmcnt(0)
	v_cvt_f32_f16_e32 v1, v1
	v_add_f32_e32 v3, v2, v1
.LBB164_12:
	v_add_u32_e32 v1, 64, v0
	v_cmp_lt_f32_e32 vcc, v5, v7
	v_add_u32_e32 v14, 0x80, v0
	v_add_u32_e32 v15, 0xc0, v0
	v_cndmask_b32_e32 v18, v6, v4, vcc
	v_cndmask_b32_e32 v4, v4, v6, vcc
	;; [unrolled: 1-line block ×6, first 2 shown]
	v_cmp_lt_f32_e32 vcc, v9, v11
	v_add_u32_e32 v16, 0x100, v0
	v_add_u32_e32 v17, 0x140, v0
	v_cndmask_b32_e32 v7, v10, v8, vcc
	v_cndmask_b32_e32 v8, v8, v10, vcc
	v_cndmask_b32_e32 v10, v15, v14, vcc
	v_cndmask_b32_e32 v14, v14, v15, vcc
	v_cndmask_b32_e32 v15, v11, v9, vcc
	v_cndmask_b32_e32 v9, v9, v11, vcc
	v_cmp_lt_f32_e32 vcc, v13, v3
	v_cndmask_b32_e32 v11, v2, v12, vcc
	v_cndmask_b32_e32 v2, v12, v2, vcc
	v_cndmask_b32_e32 v12, v17, v16, vcc
	v_cndmask_b32_e32 v16, v16, v17, vcc
	v_cndmask_b32_e32 v17, v3, v13, vcc
	v_cndmask_b32_e32 v3, v13, v3, vcc
	v_cmp_lt_f32_e32 vcc, v5, v9
	;; [unrolled: 7-line block ×7, first 2 shown]
	v_cndmask_b32_e32 v12, v21, v23, vcc
	v_cmp_lt_f32_e64 s[0:1], v26, v13
	v_cndmask_b32_e32 v5, v22, v9, vcc
	v_cndmask_b32_e32 v8, v9, v22, vcc
	;; [unrolled: 1-line block ×3, first 2 shown]
	v_cndmask_b32_e64 v18, v1, v24, s[0:1]
	v_cndmask_b32_e64 v14, v3, v25, s[0:1]
	;; [unrolled: 1-line block ×3, first 2 shown]
	v_cmp_lt_f32_e64 s[2:3], v16, v12
	v_cndmask_b32_e32 v10, v20, v11, vcc
	v_cndmask_b32_e32 v9, v23, v21, vcc
	v_cndmask_b32_e64 v1, v24, v1, s[0:1]
	v_cndmask_b32_e64 v3, v25, v3, s[0:1]
	v_cndmask_b32_e64 v11, v26, v13, s[0:1]
	s_and_saveexec_b64 s[0:1], s[2:3]
	s_xor_b64 s[0:1], exec, s[0:1]
; %bb.13:
	v_mov_b32_e32 v13, v19
	v_mov_b32_e32 v20, v15
	;; [unrolled: 1-line block ×3, first 2 shown]
	v_swap_b32 v16, v12
	v_swap_b32 v19, v8
	;; [unrolled: 1-line block ×3, first 2 shown]
; %bb.14:
	s_or_b64 exec, exec, s[0:1]
	s_load_dword s7, s[4:5], 0x28
	s_load_dwordx4 s[16:19], s[4:5], 0x10
	s_waitcnt lgkmcnt(0)
	s_cmp_lt_i32 s7, 1
	s_cbranch_scc1 .LBB164_20
; %bb.15:
	v_cmp_lt_f32_e32 vcc, v17, v16
	v_cndmask_b32_e32 v13, v15, v14, vcc
	v_cndmask_b32_e32 v14, v14, v15, vcc
	v_cndmask_b32_e32 v15, v16, v17, vcc
	v_cndmask_b32_e32 v16, v17, v16, vcc
	v_cndmask_b32_e32 v17, v19, v18, vcc
	v_cndmask_b32_e32 v18, v18, v19, vcc
	v_mbcnt_lo_u32_b32 v19, -1, 0
	v_mbcnt_hi_u32_b32 v19, -1, v19
	v_bfrev_b32_e32 v23, 0.5
	v_mov_b32_e32 v21, 0
	v_mov_b32_e32 v20, 0
	;; [unrolled: 1-line block ×3, first 2 shown]
	v_lshl_or_b32 v23, v19, 2, v23
	v_mov_b32_e32 v24, v0
	s_mov_b32 s20, s7
	v_mov_b32_e32 v19, 0
.LBB164_16:                             ; =>This Inner Loop Header: Depth=1
	v_cmp_eq_u32_e32 vcc, 1, v21
	v_cndmask_b32_e32 v25, v6, v11, vcc
	v_cmp_eq_u32_e64 s[0:1], 2, v21
	v_cndmask_b32_e64 v25, v25, v16, s[0:1]
	v_cmp_eq_u32_e64 s[2:3], 3, v21
	v_cndmask_b32_e64 v25, v25, v15, s[2:3]
	;; [unrolled: 2-line block ×4, first 2 shown]
	v_cmp_gt_u32_e64 s[12:13], 6, v21
	v_cndmask_b32_e64 v25, v22, v25, s[12:13]
	;;#ASMSTART
	v_max_f32 v26, v25, v25 quad_perm:[1,0,3,2] row_mask:0xf bank_mask:0xf bound_ctrl:1
	;;#ASMEND
	;;#ASMSTART
	v_max_f32 v27, v26, v26 quad_perm:[2,3,0,1] row_mask:0xf bank_mask:0xf bound_ctrl:1
	;;#ASMEND
	;;#ASMSTART
	v_max_f32 v26, v27, v27 row_half_mirror row_mask:0xf bank_mask:0xf bound_ctrl:1
	;;#ASMEND
	;;#ASMSTART
	v_max_f32 v27, v26, v26 row_mirror row_mask:0xf bank_mask:0xf bound_ctrl:1
	;;#ASMEND
	;;#ASMSTART
	v_max_f32 v26, v27, v27 row_ror:4 row_mask:0xf bank_mask:0xf bound_ctrl:1
	;;#ASMEND
	;;#ASMSTART
	v_max_f32 v27, v26, v26 row_ror:8 row_mask:0xf bank_mask:0xf bound_ctrl:1
	;;#ASMEND
	;;#ASMSTART
	v_max_f32 v26, v27, v27 row_bcast:15 row_mask:0xf bank_mask:0xf bound_ctrl:1
	;;#ASMEND
	;;#ASMSTART
	v_max_f32 v27, v26, v26 row_bcast:31 row_mask:0xf bank_mask:0xf bound_ctrl:1
	;;#ASMEND
	ds_bpermute_b32 v26, v23, v27
	s_waitcnt lgkmcnt(0)
	v_cmp_eq_f32_e64 s[14:15], v25, v26
	v_cndmask_b32_e32 v25, v4, v3, vcc
	v_cndmask_b32_e64 v25, v25, v14, s[0:1]
	v_cndmask_b32_e64 v25, v25, v13, s[2:3]
	v_cndmask_b32_e64 v25, v25, v10, s[8:9]
	v_cndmask_b32_e64 v25, v25, v7, s[10:11]
	s_ff1_i32_b64 s21, s[14:15]
	s_cmp_lg_u64 s[14:15], 0
	s_cselect_b32 s14, s21, 0
	v_cndmask_b32_e64 v26, 0, v25, s[12:13]
	v_readlane_b32 s21, v26, s14
	v_cmp_eq_u32_e64 s[14:15], s21, v25
	v_cndmask_b32_e32 v25, v2, v1, vcc
	v_cndmask_b32_e64 v25, v25, v18, s[0:1]
	v_cndmask_b32_e64 v25, v25, v17, s[2:3]
	;; [unrolled: 1-line block ×4, first 2 shown]
	s_and_b64 vcc, s[12:13], s[14:15]
	s_and_b32 s0, s21, 63
	v_cndmask_b32_e32 v25, 0, v25, vcc
	v_readlane_b32 s0, v25, s0
	v_mov_b32_e32 v25, s0
	v_cmp_eq_u32_e64 s[0:1], 0, v24
	v_cndmask_b32_e64 v20, v20, v25, s[0:1]
	v_mov_b32_e32 v25, s21
	s_add_i32 s20, s20, -1
	v_cndmask_b32_e64 v19, v19, v25, s[0:1]
	v_addc_co_u32_e32 v21, vcc, 0, v21, vcc
	s_cmp_eq_u32 s20, 0
	v_add_u32_e32 v24, -1, v24
	s_cbranch_scc0 .LBB164_16
; %bb.17:
	v_cmp_gt_i32_e32 vcc, s7, v0
	s_and_saveexec_b64 s[0:1], vcc
	s_cbranch_execz .LBB164_19
.LBB164_18:
	s_load_dword s2, s[4:5], 0x30
	s_load_dwordx2 s[0:1], s[4:5], 0x20
	s_ashr_i32 s3, s6, 31
	v_lshlrev_b32_e32 v0, 2, v0
	s_waitcnt lgkmcnt(0)
	v_mul_f32_e32 v1, s2, v20
	s_mul_i32 s1, s6, s1
	s_mul_hi_u32 s2, s6, s0
	s_add_i32 s1, s2, s1
	s_mul_i32 s3, s3, s0
	s_add_i32 s1, s1, s3
	s_mul_i32 s0, s6, s0
	s_lshl_b64 s[0:1], s[0:1], 2
	s_add_u32 s2, s16, s0
	s_addc_u32 s3, s17, s1
	s_add_u32 s0, s18, s0
	s_addc_u32 s1, s19, s1
	global_store_dword v0, v1, s[2:3]
	global_store_dword v0, v19, s[0:1]
.LBB164_19:
	s_endpgm
.LBB164_20:
	v_mov_b32_e32 v19, 0
	v_mov_b32_e32 v20, 0
	v_cmp_gt_i32_e32 vcc, s7, v0
	s_and_saveexec_b64 s[0:1], vcc
	s_cbranch_execnz .LBB164_18
	s_branch .LBB164_19
	.section	.rodata,"a",@progbits
	.p2align	6, 0x0
	.amdhsa_kernel _ZN5aiter24topk_softplus_kernel_optI6__halfS1_Li384ELb0ELi0EEEvPKT_PKT0_PfPimiif
		.amdhsa_group_segment_fixed_size 0
		.amdhsa_private_segment_fixed_size 0
		.amdhsa_kernarg_size 52
		.amdhsa_user_sgpr_count 6
		.amdhsa_user_sgpr_private_segment_buffer 1
		.amdhsa_user_sgpr_dispatch_ptr 0
		.amdhsa_user_sgpr_queue_ptr 0
		.amdhsa_user_sgpr_kernarg_segment_ptr 1
		.amdhsa_user_sgpr_dispatch_id 0
		.amdhsa_user_sgpr_flat_scratch_init 0
		.amdhsa_user_sgpr_kernarg_preload_length 0
		.amdhsa_user_sgpr_kernarg_preload_offset 0
		.amdhsa_user_sgpr_private_segment_size 0
		.amdhsa_uses_dynamic_stack 0
		.amdhsa_system_sgpr_private_segment_wavefront_offset 0
		.amdhsa_system_sgpr_workgroup_id_x 1
		.amdhsa_system_sgpr_workgroup_id_y 0
		.amdhsa_system_sgpr_workgroup_id_z 0
		.amdhsa_system_sgpr_workgroup_info 0
		.amdhsa_system_vgpr_workitem_id 0
		.amdhsa_next_free_vgpr 28
		.amdhsa_next_free_sgpr 22
		.amdhsa_accum_offset 28
		.amdhsa_reserve_vcc 1
		.amdhsa_reserve_flat_scratch 0
		.amdhsa_float_round_mode_32 0
		.amdhsa_float_round_mode_16_64 0
		.amdhsa_float_denorm_mode_32 3
		.amdhsa_float_denorm_mode_16_64 3
		.amdhsa_dx10_clamp 1
		.amdhsa_ieee_mode 1
		.amdhsa_fp16_overflow 0
		.amdhsa_tg_split 0
		.amdhsa_exception_fp_ieee_invalid_op 0
		.amdhsa_exception_fp_denorm_src 0
		.amdhsa_exception_fp_ieee_div_zero 0
		.amdhsa_exception_fp_ieee_overflow 0
		.amdhsa_exception_fp_ieee_underflow 0
		.amdhsa_exception_fp_ieee_inexact 0
		.amdhsa_exception_int_div_zero 0
	.end_amdhsa_kernel
	.section	.text._ZN5aiter24topk_softplus_kernel_optI6__halfS1_Li384ELb0ELi0EEEvPKT_PKT0_PfPimiif,"axG",@progbits,_ZN5aiter24topk_softplus_kernel_optI6__halfS1_Li384ELb0ELi0EEEvPKT_PKT0_PfPimiif,comdat
.Lfunc_end164:
	.size	_ZN5aiter24topk_softplus_kernel_optI6__halfS1_Li384ELb0ELi0EEEvPKT_PKT0_PfPimiif, .Lfunc_end164-_ZN5aiter24topk_softplus_kernel_optI6__halfS1_Li384ELb0ELi0EEEvPKT_PKT0_PfPimiif
                                        ; -- End function
	.section	.AMDGPU.csdata,"",@progbits
; Kernel info:
; codeLenInByte = 2604
; NumSgprs: 26
; NumVgprs: 28
; NumAgprs: 0
; TotalNumVgprs: 28
; ScratchSize: 0
; MemoryBound: 0
; FloatMode: 240
; IeeeMode: 1
; LDSByteSize: 0 bytes/workgroup (compile time only)
; SGPRBlocks: 3
; VGPRBlocks: 3
; NumSGPRsForWavesPerEU: 26
; NumVGPRsForWavesPerEU: 28
; AccumOffset: 28
; Occupancy: 8
; WaveLimiterHint : 0
; COMPUTE_PGM_RSRC2:SCRATCH_EN: 0
; COMPUTE_PGM_RSRC2:USER_SGPR: 6
; COMPUTE_PGM_RSRC2:TRAP_HANDLER: 0
; COMPUTE_PGM_RSRC2:TGID_X_EN: 1
; COMPUTE_PGM_RSRC2:TGID_Y_EN: 0
; COMPUTE_PGM_RSRC2:TGID_Z_EN: 0
; COMPUTE_PGM_RSRC2:TIDIG_COMP_CNT: 0
; COMPUTE_PGM_RSRC3_GFX90A:ACCUM_OFFSET: 6
; COMPUTE_PGM_RSRC3_GFX90A:TG_SPLIT: 0
	.section	.text._ZN5aiter20topk_softplus_kernelI6__halfS1_Dv4_fLb1ELi0EEEvPKT_PKT0_PfPimiiif,"axG",@progbits,_ZN5aiter20topk_softplus_kernelI6__halfS1_Dv4_fLb1ELi0EEEvPKT_PKT0_PfPimiiif,comdat
	.protected	_ZN5aiter20topk_softplus_kernelI6__halfS1_Dv4_fLb1ELi0EEEvPKT_PKT0_PfPimiiif ; -- Begin function _ZN5aiter20topk_softplus_kernelI6__halfS1_Dv4_fLb1ELi0EEEvPKT_PKT0_PfPimiiif
	.globl	_ZN5aiter20topk_softplus_kernelI6__halfS1_Dv4_fLb1ELi0EEEvPKT_PKT0_PfPimiiif
	.p2align	8
	.type	_ZN5aiter20topk_softplus_kernelI6__halfS1_Dv4_fLb1ELi0EEEvPKT_PKT0_PfPimiiif,@function
_ZN5aiter20topk_softplus_kernelI6__halfS1_Dv4_fLb1ELi0EEEvPKT_PKT0_PfPimiiif: ; @_ZN5aiter20topk_softplus_kernelI6__halfS1_Dv4_fLb1ELi0EEEvPKT_PKT0_PfPimiiif
; %bb.0:
	s_load_dwordx2 s[20:21], s[4:5], 0x28
	s_load_dwordx8 s[12:19], s[4:5], 0x0
	v_lshlrev_b32_e32 v1, 2, v0
	v_lshl_add_u32 v12, v0, 4, 0
	s_waitcnt lgkmcnt(0)
	s_ashr_i32 s0, s20, 31
	s_lshr_b32 s0, s0, 30
	s_add_i32 s0, s20, s0
	s_mul_i32 s22, s6, s20
	s_ashr_i32 s7, s0, 2
	s_ashr_i32 s23, s22, 31
	v_cmp_gt_i32_e64 s[0:1], s7, v0
	s_and_saveexec_b64 s[24:25], s[0:1]
	s_cbranch_execz .LBB165_11
; %bb.1:
	s_load_dword s8, s[4:5], 0x44
	s_cmp_lg_u64 s[14:15], 0
	s_cselect_b64 s[2:3], -1, 0
	v_lshlrev_b32_e32 v2, 3, v0
	s_mov_b64 s[26:27], 0
	s_waitcnt lgkmcnt(0)
	s_and_b32 s28, s8, 0xffff
	s_add_u32 s29, s14, 2
	s_addc_u32 s30, s15, 0
	s_add_u32 s31, s14, 4
	s_addc_u32 s33, s15, 0
	;; [unrolled: 2-line block ×3, first 2 shown]
	s_lshl_b64 s[8:9], s[22:23], 1
	s_add_u32 s8, s12, s8
	s_addc_u32 s9, s13, s9
	v_mov_b32_e32 v3, s9
	v_add_co_u32_e32 v6, vcc, s8, v2
	v_cndmask_b32_e64 v2, 0, 1, s[2:3]
	s_mov_b32 s36, 0
	v_addc_co_u32_e32 v7, vcc, 0, v3, vcc
	s_lshl_b32 s37, s28, 3
	v_lshlrev_b32_e32 v8, 2, v0
	s_lshl_b32 s38, s28, 2
	v_lshl_add_u32 v13, v0, 4, 0
	s_lshl_b32 s39, s28, 4
	v_mov_b32_e32 v9, 0
	s_movk_i32 s40, 0x4d00
	s_mov_b32 s41, 0x3fb8aa3b
	s_mov_b32 s42, 0xc2fc0000
	v_mov_b32_e32 v14, 0x1f800000
	v_mov_b32_e32 v15, 0x42800000
	s_mov_b32 s43, 0x800000
	v_mov_b32_e32 v16, 0x4f800000
	v_mov_b32_e32 v17, 0x42000000
	s_mov_b32 s44, 0xf800000
	v_mov_b32_e32 v18, 0x260
	v_cmp_ne_u32_e64 s[2:3], 1, v2
	v_mov_b32_e32 v19, v0
	s_branch .LBB165_3
.LBB165_2:                              ;   in Loop: Header=BB165_3 Depth=1
	ds_write_b128 v13, v[2:5]
	v_mov_b32_e32 v2, s36
	v_add_co_u32_e32 v6, vcc, s37, v6
	v_add_u32_e32 v19, s28, v19
	v_addc_co_u32_e32 v7, vcc, v7, v2, vcc
	v_cmp_le_i32_e32 vcc, s7, v19
	v_add_u32_e32 v8, s38, v8
	s_or_b64 s[26:27], vcc, s[26:27]
	v_add_u32_e32 v13, s39, v13
	s_andn2_b64 exec, exec, s[26:27]
	s_cbranch_execz .LBB165_11
.LBB165_3:                              ; =>This Inner Loop Header: Depth=1
	global_load_dwordx2 v[4:5], v[6:7], off
	s_waitcnt vmcnt(0)
	v_cvt_f32_f16_e32 v2, v4
	v_mul_f32_e32 v3, 0x3fb8aa3b, v2
	v_cmp_gt_f32_e32 vcc, s42, v3
	v_cndmask_b32_e32 v10, 0, v15, vcc
	v_fma_mix_f32 v10, v4, s41, v10 op_sel_hi:[1,0,0]
	v_exp_f32_e32 v10, v10
	v_cndmask_b32_e32 v3, 1.0, v14, vcc
	v_fma_f32 v3, v10, v3, 1.0
	v_cmp_gt_f32_e32 vcc, s43, v3
	v_cndmask_b32_e32 v10, 1.0, v16, vcc
	v_mul_f32_e32 v3, v3, v10
	v_log_f32_e32 v3, v3
	v_cndmask_b32_e32 v10, 0, v17, vcc
	v_cmp_lt_f16_e32 vcc, s40, v4
	v_sub_f32_e32 v3, v3, v10
	v_mul_f32_e32 v3, 0x3f317218, v3
	v_cndmask_b32_e32 v2, v3, v2, vcc
	v_mul_f32_e32 v3, 0x4f800000, v2
	v_cmp_gt_f32_e64 s[8:9], s44, v2
	v_cndmask_b32_e64 v2, v2, v3, s[8:9]
	v_sqrt_f32_e32 v3, v2
	s_and_b64 vcc, exec, s[2:3]
	v_add_u32_e32 v10, -1, v3
	v_add_u32_e32 v11, 1, v3
	v_fma_f32 v20, -v10, v3, v2
	v_fma_f32 v21, -v11, v3, v2
	v_cmp_ge_f32_e64 s[10:11], 0, v20
	v_cndmask_b32_e64 v3, v3, v10, s[10:11]
	v_cmp_lt_f32_e64 s[10:11], 0, v21
	v_cndmask_b32_e64 v3, v3, v11, s[10:11]
	v_mul_f32_e32 v10, 0x37800000, v3
	v_cndmask_b32_e64 v3, v3, v10, s[8:9]
	v_cmp_class_f32_e64 s[8:9], v2, v18
	v_cndmask_b32_e64 v2, v3, v2, s[8:9]
	v_lshlrev_b64 v[10:11], 1, v[8:9]
	s_cbranch_vccnz .LBB165_5
; %bb.4:                                ;   in Loop: Header=BB165_3 Depth=1
	v_mov_b32_e32 v3, s15
	v_add_co_u32_e32 v20, vcc, s14, v10
	v_addc_co_u32_e32 v21, vcc, v3, v11, vcc
	global_load_ushort v3, v[20:21], off
	s_waitcnt vmcnt(0)
	v_cvt_f32_f16_e32 v3, v3
	v_add_f32_e32 v2, v2, v3
.LBB165_5:                              ;   in Loop: Header=BB165_3 Depth=1
	v_cvt_f32_f16_sdwa v3, v4 dst_sel:DWORD dst_unused:UNUSED_PAD src0_sel:WORD_1
	v_mul_f32_e32 v20, 0x3fb8aa3b, v3
	v_cmp_gt_f32_e32 vcc, s42, v20
	v_cndmask_b32_e32 v21, 0, v15, vcc
	v_fma_mix_f32 v21, v4, s41, v21 op_sel:[1,0,0] op_sel_hi:[1,0,0]
	v_exp_f32_e32 v21, v21
	v_cndmask_b32_e32 v20, 1.0, v14, vcc
	v_fma_f32 v20, v21, v20, 1.0
	v_cmp_gt_f32_e32 vcc, s43, v20
	v_cndmask_b32_e32 v21, 1.0, v16, vcc
	v_mul_f32_e32 v20, v20, v21
	v_log_f32_e32 v20, v20
	v_cndmask_b32_e32 v21, 0, v17, vcc
	v_cmp_gt_f16_sdwa vcc, v4, s40 src0_sel:WORD_1 src1_sel:DWORD
	v_sub_f32_e32 v20, v20, v21
	v_mul_f32_e32 v20, 0x3f317218, v20
	v_cndmask_b32_e32 v3, v20, v3, vcc
	v_mul_f32_e32 v4, 0x4f800000, v3
	v_cmp_gt_f32_e64 s[8:9], s44, v3
	v_cndmask_b32_e64 v3, v3, v4, s[8:9]
	v_sqrt_f32_e32 v4, v3
	s_and_b64 vcc, exec, s[2:3]
	v_add_u32_e32 v20, -1, v4
	v_add_u32_e32 v21, 1, v4
	v_fma_f32 v22, -v20, v4, v3
	v_fma_f32 v23, -v21, v4, v3
	v_cmp_ge_f32_e64 s[10:11], 0, v22
	v_cndmask_b32_e64 v4, v4, v20, s[10:11]
	v_cmp_lt_f32_e64 s[10:11], 0, v23
	v_cndmask_b32_e64 v4, v4, v21, s[10:11]
	v_mul_f32_e32 v20, 0x37800000, v4
	v_cndmask_b32_e64 v4, v4, v20, s[8:9]
	v_cmp_class_f32_e64 s[8:9], v3, v18
	v_cndmask_b32_e64 v3, v4, v3, s[8:9]
	s_cbranch_vccnz .LBB165_7
; %bb.6:                                ;   in Loop: Header=BB165_3 Depth=1
	v_mov_b32_e32 v4, s30
	v_add_co_u32_e32 v20, vcc, s29, v10
	v_addc_co_u32_e32 v21, vcc, v4, v11, vcc
	global_load_ushort v4, v[20:21], off
	s_waitcnt vmcnt(0)
	v_cvt_f32_f16_e32 v4, v4
	v_add_f32_e32 v3, v3, v4
.LBB165_7:                              ;   in Loop: Header=BB165_3 Depth=1
	v_cvt_f32_f16_e32 v4, v5
	v_mul_f32_e32 v20, 0x3fb8aa3b, v4
	v_cmp_gt_f32_e32 vcc, s42, v20
	v_cndmask_b32_e32 v21, 0, v15, vcc
	v_fma_mix_f32 v21, v5, s41, v21 op_sel_hi:[1,0,0]
	v_exp_f32_e32 v21, v21
	v_cndmask_b32_e32 v20, 1.0, v14, vcc
	v_fma_f32 v20, v21, v20, 1.0
	v_cmp_gt_f32_e32 vcc, s43, v20
	v_cndmask_b32_e32 v21, 1.0, v16, vcc
	v_mul_f32_e32 v20, v20, v21
	v_log_f32_e32 v20, v20
	v_cndmask_b32_e32 v21, 0, v17, vcc
	v_cmp_lt_f16_e32 vcc, s40, v5
	v_sub_f32_e32 v20, v20, v21
	v_mul_f32_e32 v20, 0x3f317218, v20
	v_cndmask_b32_e32 v4, v20, v4, vcc
	v_mul_f32_e32 v20, 0x4f800000, v4
	v_cmp_gt_f32_e64 s[8:9], s44, v4
	v_cndmask_b32_e64 v4, v4, v20, s[8:9]
	v_sqrt_f32_e32 v20, v4
	s_and_b64 vcc, exec, s[2:3]
	v_add_u32_e32 v21, -1, v20
	v_add_u32_e32 v22, 1, v20
	v_fma_f32 v23, -v21, v20, v4
	v_fma_f32 v24, -v22, v20, v4
	v_cmp_ge_f32_e64 s[10:11], 0, v23
	v_cndmask_b32_e64 v20, v20, v21, s[10:11]
	v_cmp_lt_f32_e64 s[10:11], 0, v24
	v_cndmask_b32_e64 v20, v20, v22, s[10:11]
	v_mul_f32_e32 v21, 0x37800000, v20
	v_cndmask_b32_e64 v20, v20, v21, s[8:9]
	v_cmp_class_f32_e64 s[8:9], v4, v18
	v_cndmask_b32_e64 v4, v20, v4, s[8:9]
	s_cbranch_vccnz .LBB165_9
; %bb.8:                                ;   in Loop: Header=BB165_3 Depth=1
	v_mov_b32_e32 v21, s33
	v_add_co_u32_e32 v20, vcc, s31, v10
	v_addc_co_u32_e32 v21, vcc, v21, v11, vcc
	global_load_ushort v20, v[20:21], off
	s_waitcnt vmcnt(0)
	v_cvt_f32_f16_e32 v20, v20
	v_add_f32_e32 v4, v4, v20
.LBB165_9:                              ;   in Loop: Header=BB165_3 Depth=1
	v_cvt_f32_f16_sdwa v20, v5 dst_sel:DWORD dst_unused:UNUSED_PAD src0_sel:WORD_1
	v_mul_f32_e32 v21, 0x3fb8aa3b, v20
	v_cmp_gt_f32_e32 vcc, s42, v21
	v_cndmask_b32_e32 v22, 0, v15, vcc
	v_fma_mix_f32 v22, v5, s41, v22 op_sel:[1,0,0] op_sel_hi:[1,0,0]
	v_exp_f32_e32 v22, v22
	v_cndmask_b32_e32 v21, 1.0, v14, vcc
	v_fma_f32 v21, v22, v21, 1.0
	v_cmp_gt_f32_e32 vcc, s43, v21
	v_cndmask_b32_e32 v22, 1.0, v16, vcc
	v_mul_f32_e32 v21, v21, v22
	v_log_f32_e32 v21, v21
	v_cndmask_b32_e32 v22, 0, v17, vcc
	v_cmp_gt_f16_sdwa vcc, v5, s40 src0_sel:WORD_1 src1_sel:DWORD
	v_sub_f32_e32 v21, v21, v22
	v_mul_f32_e32 v21, 0x3f317218, v21
	v_cndmask_b32_e32 v5, v21, v20, vcc
	v_mul_f32_e32 v20, 0x4f800000, v5
	v_cmp_gt_f32_e64 s[8:9], s44, v5
	v_cndmask_b32_e64 v5, v5, v20, s[8:9]
	v_sqrt_f32_e32 v20, v5
	s_and_b64 vcc, exec, s[2:3]
	v_add_u32_e32 v21, -1, v20
	v_add_u32_e32 v22, 1, v20
	v_fma_f32 v23, -v21, v20, v5
	v_fma_f32 v24, -v22, v20, v5
	v_cmp_ge_f32_e64 s[10:11], 0, v23
	v_cndmask_b32_e64 v20, v20, v21, s[10:11]
	v_cmp_lt_f32_e64 s[10:11], 0, v24
	v_cndmask_b32_e64 v20, v20, v22, s[10:11]
	v_mul_f32_e32 v21, 0x37800000, v20
	v_cndmask_b32_e64 v20, v20, v21, s[8:9]
	v_cmp_class_f32_e64 s[8:9], v5, v18
	v_cndmask_b32_e64 v5, v20, v5, s[8:9]
	s_cbranch_vccnz .LBB165_2
; %bb.10:                               ;   in Loop: Header=BB165_3 Depth=1
	v_mov_b32_e32 v20, s35
	v_add_co_u32_e32 v10, vcc, s34, v10
	v_addc_co_u32_e32 v11, vcc, v20, v11, vcc
	global_load_ushort v10, v[10:11], off
	s_waitcnt vmcnt(0)
	v_cvt_f32_f16_e32 v10, v10
	v_add_f32_e32 v5, v5, v10
	s_branch .LBB165_2
.LBB165_11:
	s_or_b64 exec, exec, s[24:25]
	v_lshl_add_u32 v2, s7, 2, v0
	v_cmp_gt_i32_e32 vcc, s20, v2
	s_and_saveexec_b64 s[10:11], vcc
	s_cbranch_execz .LBB165_16
; %bb.12:
	s_load_dword s8, s[4:5], 0x44
	s_lshl_b64 s[2:3], s[22:23], 1
	s_add_u32 s22, s12, s2
	s_addc_u32 s9, s13, s3
	s_cmp_lg_u64 s[14:15], 0
	s_cselect_b64 s[2:3], -1, 0
	s_waitcnt lgkmcnt(0)
	s_and_b32 s23, s8, 0xffff
	s_lshl_b32 s8, s7, 4
	s_add_i32 s8, s8, 0
	v_cndmask_b32_e64 v3, 0, 1, s[2:3]
	s_mov_b64 s[12:13], 0
	v_lshl_add_u32 v6, v0, 2, s8
	s_lshl_b32 s24, s23, 2
	v_mov_b32_e32 v7, s9
	s_movk_i32 s25, 0x4d00
	s_mov_b32 s26, 0x3fb8aa3b
	s_mov_b32 s27, 0xc2fc0000
	v_mov_b32_e32 v8, 0x42800000
	v_mov_b32_e32 v9, 0x1f800000
	s_mov_b32 s28, 0x800000
	v_mov_b32_e32 v10, 0x4f800000
	v_mov_b32_e32 v11, 0x42000000
	s_mov_b32 s29, 0xf800000
	v_mov_b32_e32 v13, 0x260
	v_cmp_ne_u32_e64 s[2:3], 1, v3
	s_branch .LBB165_14
.LBB165_13:                             ;   in Loop: Header=BB165_14 Depth=1
	v_add_u32_e32 v2, s23, v2
	v_cmp_le_i32_e32 vcc, s20, v2
	s_or_b64 s[12:13], vcc, s[12:13]
	v_add_u32_e32 v6, s24, v6
	s_andn2_b64 exec, exec, s[12:13]
	s_cbranch_execz .LBB165_16
.LBB165_14:                             ; =>This Inner Loop Header: Depth=1
	v_ashrrev_i32_e32 v3, 31, v2
	v_lshlrev_b64 v[4:5], 1, v[2:3]
	v_add_co_u32_e32 v14, vcc, s22, v4
	v_addc_co_u32_e32 v15, vcc, v7, v5, vcc
	global_load_ushort v3, v[14:15], off
	s_waitcnt vmcnt(0)
	v_cvt_f32_f16_e32 v14, v3
	v_mul_f32_e32 v15, 0x3fb8aa3b, v14
	v_cmp_gt_f32_e32 vcc, s27, v15
	v_cndmask_b32_e32 v15, 0, v8, vcc
	v_fma_mix_f32 v15, v3, s26, v15 op_sel_hi:[1,0,0]
	v_exp_f32_e32 v15, v15
	v_cndmask_b32_e32 v16, 1.0, v9, vcc
	v_fma_f32 v15, v15, v16, 1.0
	v_cmp_gt_f32_e32 vcc, s28, v15
	v_cndmask_b32_e32 v16, 1.0, v10, vcc
	v_mul_f32_e32 v15, v15, v16
	v_log_f32_e32 v15, v15
	v_cndmask_b32_e32 v16, 0, v11, vcc
	v_cmp_lt_f16_e32 vcc, s25, v3
	v_sub_f32_e32 v15, v15, v16
	v_mul_f32_e32 v15, 0x3f317218, v15
	v_cndmask_b32_e32 v3, v15, v14, vcc
	v_mul_f32_e32 v14, 0x4f800000, v3
	v_cmp_gt_f32_e32 vcc, s29, v3
	v_cndmask_b32_e32 v3, v3, v14, vcc
	v_sqrt_f32_e32 v14, v3
	v_add_u32_e32 v15, -1, v14
	v_add_u32_e32 v16, 1, v14
	v_fma_f32 v17, -v15, v14, v3
	v_fma_f32 v18, -v16, v14, v3
	v_cmp_ge_f32_e64 s[8:9], 0, v17
	v_cndmask_b32_e64 v14, v14, v15, s[8:9]
	v_cmp_lt_f32_e64 s[8:9], 0, v18
	v_cndmask_b32_e64 v14, v14, v16, s[8:9]
	v_mul_f32_e32 v15, 0x37800000, v14
	v_cndmask_b32_e32 v14, v14, v15, vcc
	v_cmp_class_f32_e32 vcc, v3, v13
	v_cndmask_b32_e32 v3, v14, v3, vcc
	s_and_b64 vcc, exec, s[2:3]
	ds_write_b32 v6, v3
	s_cbranch_vccnz .LBB165_13
; %bb.15:                               ;   in Loop: Header=BB165_14 Depth=1
	v_mov_b32_e32 v14, s15
	v_add_co_u32_e32 v4, vcc, s14, v4
	v_addc_co_u32_e32 v5, vcc, v14, v5, vcc
	global_load_ushort v4, v[4:5], off
	s_waitcnt vmcnt(0)
	v_cvt_f32_f16_e32 v4, v4
	v_add_f32_e32 v3, v3, v4
	ds_write_b32 v6, v3
	s_branch .LBB165_13
.LBB165_16:
	s_or_b64 exec, exec, s[10:11]
	s_cmp_lt_i32 s21, 1
	v_mov_b32_e32 v3, 0
	s_waitcnt lgkmcnt(0)
	s_barrier
	s_cbranch_scc1 .LBB165_25
; %bb.17:
	s_add_u32 s2, s4, 56
	s_addc_u32 s3, s5, 0
	v_mbcnt_lo_u32_b32 v2, -1, 0
	s_cmp_lg_u64 s[14:15], 0
	v_mbcnt_hi_u32_b32 v2, -1, v2
	v_bfrev_b32_e32 v4, 0.5
	s_cselect_b64 s[8:9], -1, 0
	s_mov_b32 s20, 0
	v_mov_b32_e32 v3, 0
	v_lshl_or_b32 v5, v2, 2, v4
	v_mov_b32_e32 v6, 0
	v_mov_b32_e32 v7, 0xff800000
	;; [unrolled: 1-line block ×4, first 2 shown]
	s_branch .LBB165_19
.LBB165_18:                             ;   in Loop: Header=BB165_19 Depth=1
	s_lshl_b32 s11, s10, 2
	s_add_i32 s11, s11, 0
	v_mov_b32_e32 v8, s11
	ds_write_b32 v8, v7
	v_mov_b32_e32 v8, s10
	v_cmp_eq_u32_e32 vcc, s20, v0
	s_add_i32 s20, s20, 1
	v_cndmask_b32_e32 v2, v2, v8, vcc
	v_cndmask_b32_e32 v3, v3, v10, vcc
	s_cmp_eq_u32 s20, s21
	v_add_f32_e32 v4, v4, v10
	s_cbranch_scc1 .LBB165_26
.LBB165_19:                             ; =>This Loop Header: Depth=1
                                        ;     Child Loop BB165_21 Depth 2
	v_mov_b32_e32 v8, s20
	v_mov_b32_e32 v9, 0xff800000
	s_and_saveexec_b64 s[10:11], s[0:1]
	s_cbranch_execz .LBB165_23
; %bb.20:                               ;   in Loop: Header=BB165_19 Depth=1
	s_load_dword s22, s[2:3], 0xc
	s_mov_b64 s[12:13], 0
	v_mov_b32_e32 v8, s20
	v_mov_b32_e32 v9, 0xff800000
	;; [unrolled: 1-line block ×3, first 2 shown]
	s_waitcnt lgkmcnt(0)
	s_and_b32 s22, s22, 0xffff
	s_lshl_b32 s23, s22, 2
	s_lshl_b32 s24, s22, 4
	v_mov_b32_e32 v11, v1
	v_mov_b32_e32 v13, v0
.LBB165_21:                             ;   Parent Loop BB165_19 Depth=1
                                        ; =>  This Inner Loop Header: Depth=2
	ds_read_b128 v[14:17], v10
	v_add_u32_e32 v13, s22, v13
	v_cmp_le_i32_e32 vcc, s7, v13
	s_or_b64 s[12:13], vcc, s[12:13]
	v_add_u32_e32 v18, 1, v11
	s_waitcnt lgkmcnt(0)
	v_cmp_gt_f32_e32 vcc, v14, v9
	v_cndmask_b32_e32 v9, v9, v14, vcc
	v_cndmask_b32_e32 v8, v8, v11, vcc
	v_cmp_gt_f32_e32 vcc, v15, v9
	v_cndmask_b32_e32 v9, v9, v15, vcc
	v_cndmask_b32_e32 v8, v8, v18, vcc
	v_cmp_gt_f32_e32 vcc, v16, v9
	v_add_u32_e32 v19, 2, v11
	v_cndmask_b32_e32 v9, v9, v16, vcc
	v_add_u32_e32 v20, 3, v11
	v_cndmask_b32_e32 v8, v8, v19, vcc
	v_cmp_gt_f32_e32 vcc, v17, v9
	v_add_u32_e32 v10, s24, v10
	v_add_u32_e32 v11, s23, v11
	v_cndmask_b32_e32 v9, v9, v17, vcc
	v_cndmask_b32_e32 v8, v8, v20, vcc
	s_andn2_b64 exec, exec, s[12:13]
	s_cbranch_execnz .LBB165_21
; %bb.22:                               ;   in Loop: Header=BB165_19 Depth=1
	s_or_b64 exec, exec, s[12:13]
.LBB165_23:                             ;   in Loop: Header=BB165_19 Depth=1
	s_or_b64 exec, exec, s[10:11]
	;;#ASMSTART
	v_max_f32 v10, v9, v9 quad_perm:[1,0,3,2] row_mask:0xf bank_mask:0xf bound_ctrl:1
	;;#ASMEND
	;;#ASMSTART
	v_max_f32 v11, v10, v10 quad_perm:[2,3,0,1] row_mask:0xf bank_mask:0xf bound_ctrl:1
	;;#ASMEND
	;;#ASMSTART
	v_max_f32 v10, v11, v11 row_half_mirror row_mask:0xf bank_mask:0xf bound_ctrl:1
	;;#ASMEND
	;;#ASMSTART
	v_max_f32 v11, v10, v10 row_mirror row_mask:0xf bank_mask:0xf bound_ctrl:1
	;;#ASMEND
	;;#ASMSTART
	v_max_f32 v10, v11, v11 row_ror:4 row_mask:0xf bank_mask:0xf bound_ctrl:1
	;;#ASMEND
	;;#ASMSTART
	v_max_f32 v11, v10, v10 row_ror:8 row_mask:0xf bank_mask:0xf bound_ctrl:1
	;;#ASMEND
	;;#ASMSTART
	v_max_f32 v10, v11, v11 row_bcast:15 row_mask:0xf bank_mask:0xf bound_ctrl:1
	;;#ASMEND
	;;#ASMSTART
	v_max_f32 v11, v10, v10 row_bcast:31 row_mask:0xf bank_mask:0xf bound_ctrl:1
	;;#ASMEND
	ds_bpermute_b32 v10, v5, v11
	s_waitcnt lgkmcnt(0)
	v_cmp_eq_f32_e32 vcc, v9, v10
	s_ff1_i32_b64 s10, vcc
	s_cmp_lg_u64 vcc, 0
	s_cselect_b32 s10, s10, 0
	s_and_b64 vcc, exec, s[8:9]
	v_readlane_b32 s10, v8, s10
	s_cbranch_vccz .LBB165_18
; %bb.24:                               ;   in Loop: Header=BB165_19 Depth=1
	s_ashr_i32 s11, s10, 31
	s_lshl_b64 s[12:13], s[10:11], 1
	s_add_u32 s12, s14, s12
	s_addc_u32 s13, s15, s13
	global_load_ushort v8, v6, s[12:13]
	s_waitcnt vmcnt(0)
	v_cvt_f32_f16_e32 v8, v8
	v_sub_f32_e32 v10, v10, v8
	s_branch .LBB165_18
.LBB165_25:
	v_mov_b32_e32 v2, 0
	v_mov_b32_e32 v4, 0
.LBB165_26:
	v_cmp_gt_i32_e32 vcc, s21, v0
	s_and_saveexec_b64 s[0:1], vcc
	s_cbranch_execz .LBB165_29
; %bb.27:
	s_load_dword s2, s[4:5], 0x34
	v_max_f32_e32 v1, v4, v4
	v_max_f32_e32 v1, 0x1e3ce508, v1
	s_load_dword s3, s[4:5], 0x44
	s_waitcnt lgkmcnt(0)
	v_div_scale_f32 v4, s[0:1], v1, v1, s2
	s_load_dwordx2 s[0:1], s[4:5], 0x20
	v_rcp_f32_e32 v5, v4
	v_div_scale_f32 v6, vcc, s2, v1, s2
	s_and_b32 s3, s3, 0xffff
	v_fma_f32 v7, -v4, v5, 1.0
	v_fmac_f32_e32 v5, v7, v5
	v_mul_f32_e32 v7, v6, v5
	v_fma_f32 v8, -v4, v7, v6
	v_fmac_f32_e32 v7, v8, v5
	v_fma_f32 v4, -v4, v7, v6
	v_div_fmas_f32 v4, v4, v5, v7
	v_div_fixup_f32 v1, v4, v1, s2
	s_ashr_i32 s2, s6, 31
	s_waitcnt lgkmcnt(0)
	s_mul_i32 s1, s6, s1
	s_mul_hi_u32 s4, s6, s0
	s_add_i32 s1, s4, s1
	s_mul_i32 s2, s2, s0
	s_add_i32 s4, s1, s2
	v_mul_f32_e32 v1, v3, v1
	s_mul_i32 s2, s6, s0
	s_mov_b64 s[0:1], 0
	v_mov_b32_e32 v3, s4
	v_mov_b32_e32 v4, s17
	;; [unrolled: 1-line block ×3, first 2 shown]
.LBB165_28:                             ; =>This Inner Loop Header: Depth=1
	v_ashrrev_i32_e32 v7, 31, v0
	v_add_co_u32_e32 v6, vcc, s2, v0
	v_addc_co_u32_e32 v7, vcc, v3, v7, vcc
	v_add_u32_e32 v0, s3, v0
	v_cmp_le_i32_e32 vcc, s21, v0
	v_lshlrev_b64 v[6:7], 2, v[6:7]
	s_or_b64 s[0:1], vcc, s[0:1]
	v_add_co_u32_e32 v8, vcc, s16, v6
	v_addc_co_u32_e32 v9, vcc, v4, v7, vcc
	v_add_co_u32_e32 v6, vcc, s18, v6
	v_addc_co_u32_e32 v7, vcc, v5, v7, vcc
	global_store_dword v[8:9], v1, off
	global_store_dword v[6:7], v2, off
	s_andn2_b64 exec, exec, s[0:1]
	s_cbranch_execnz .LBB165_28
.LBB165_29:
	s_endpgm
	.section	.rodata,"a",@progbits
	.p2align	6, 0x0
	.amdhsa_kernel _ZN5aiter20topk_softplus_kernelI6__halfS1_Dv4_fLb1ELi0EEEvPKT_PKT0_PfPimiiif
		.amdhsa_group_segment_fixed_size 0
		.amdhsa_private_segment_fixed_size 0
		.amdhsa_kernarg_size 312
		.amdhsa_user_sgpr_count 6
		.amdhsa_user_sgpr_private_segment_buffer 1
		.amdhsa_user_sgpr_dispatch_ptr 0
		.amdhsa_user_sgpr_queue_ptr 0
		.amdhsa_user_sgpr_kernarg_segment_ptr 1
		.amdhsa_user_sgpr_dispatch_id 0
		.amdhsa_user_sgpr_flat_scratch_init 0
		.amdhsa_user_sgpr_kernarg_preload_length 0
		.amdhsa_user_sgpr_kernarg_preload_offset 0
		.amdhsa_user_sgpr_private_segment_size 0
		.amdhsa_uses_dynamic_stack 0
		.amdhsa_system_sgpr_private_segment_wavefront_offset 0
		.amdhsa_system_sgpr_workgroup_id_x 1
		.amdhsa_system_sgpr_workgroup_id_y 0
		.amdhsa_system_sgpr_workgroup_id_z 0
		.amdhsa_system_sgpr_workgroup_info 0
		.amdhsa_system_vgpr_workitem_id 0
		.amdhsa_next_free_vgpr 25
		.amdhsa_next_free_sgpr 45
		.amdhsa_accum_offset 28
		.amdhsa_reserve_vcc 1
		.amdhsa_reserve_flat_scratch 0
		.amdhsa_float_round_mode_32 0
		.amdhsa_float_round_mode_16_64 0
		.amdhsa_float_denorm_mode_32 3
		.amdhsa_float_denorm_mode_16_64 3
		.amdhsa_dx10_clamp 1
		.amdhsa_ieee_mode 1
		.amdhsa_fp16_overflow 0
		.amdhsa_tg_split 0
		.amdhsa_exception_fp_ieee_invalid_op 0
		.amdhsa_exception_fp_denorm_src 0
		.amdhsa_exception_fp_ieee_div_zero 0
		.amdhsa_exception_fp_ieee_overflow 0
		.amdhsa_exception_fp_ieee_underflow 0
		.amdhsa_exception_fp_ieee_inexact 0
		.amdhsa_exception_int_div_zero 0
	.end_amdhsa_kernel
	.section	.text._ZN5aiter20topk_softplus_kernelI6__halfS1_Dv4_fLb1ELi0EEEvPKT_PKT0_PfPimiiif,"axG",@progbits,_ZN5aiter20topk_softplus_kernelI6__halfS1_Dv4_fLb1ELi0EEEvPKT_PKT0_PfPimiiif,comdat
.Lfunc_end165:
	.size	_ZN5aiter20topk_softplus_kernelI6__halfS1_Dv4_fLb1ELi0EEEvPKT_PKT0_PfPimiiif, .Lfunc_end165-_ZN5aiter20topk_softplus_kernelI6__halfS1_Dv4_fLb1ELi0EEEvPKT_PKT0_PfPimiiif
                                        ; -- End function
	.section	.AMDGPU.csdata,"",@progbits
; Kernel info:
; codeLenInByte = 2572
; NumSgprs: 49
; NumVgprs: 25
; NumAgprs: 0
; TotalNumVgprs: 25
; ScratchSize: 0
; MemoryBound: 0
; FloatMode: 240
; IeeeMode: 1
; LDSByteSize: 0 bytes/workgroup (compile time only)
; SGPRBlocks: 6
; VGPRBlocks: 3
; NumSGPRsForWavesPerEU: 49
; NumVGPRsForWavesPerEU: 25
; AccumOffset: 28
; Occupancy: 8
; WaveLimiterHint : 0
; COMPUTE_PGM_RSRC2:SCRATCH_EN: 0
; COMPUTE_PGM_RSRC2:USER_SGPR: 6
; COMPUTE_PGM_RSRC2:TRAP_HANDLER: 0
; COMPUTE_PGM_RSRC2:TGID_X_EN: 1
; COMPUTE_PGM_RSRC2:TGID_Y_EN: 0
; COMPUTE_PGM_RSRC2:TGID_Z_EN: 0
; COMPUTE_PGM_RSRC2:TIDIG_COMP_CNT: 0
; COMPUTE_PGM_RSRC3_GFX90A:ACCUM_OFFSET: 6
; COMPUTE_PGM_RSRC3_GFX90A:TG_SPLIT: 0
	.section	.text._ZN5aiter20topk_softplus_kernelI6__halfS1_Dv4_fLb0ELi0EEEvPKT_PKT0_PfPimiiif,"axG",@progbits,_ZN5aiter20topk_softplus_kernelI6__halfS1_Dv4_fLb0ELi0EEEvPKT_PKT0_PfPimiiif,comdat
	.protected	_ZN5aiter20topk_softplus_kernelI6__halfS1_Dv4_fLb0ELi0EEEvPKT_PKT0_PfPimiiif ; -- Begin function _ZN5aiter20topk_softplus_kernelI6__halfS1_Dv4_fLb0ELi0EEEvPKT_PKT0_PfPimiiif
	.globl	_ZN5aiter20topk_softplus_kernelI6__halfS1_Dv4_fLb0ELi0EEEvPKT_PKT0_PfPimiiif
	.p2align	8
	.type	_ZN5aiter20topk_softplus_kernelI6__halfS1_Dv4_fLb0ELi0EEEvPKT_PKT0_PfPimiiif,@function
_ZN5aiter20topk_softplus_kernelI6__halfS1_Dv4_fLb0ELi0EEEvPKT_PKT0_PfPimiiif: ; @_ZN5aiter20topk_softplus_kernelI6__halfS1_Dv4_fLb0ELi0EEEvPKT_PKT0_PfPimiiif
; %bb.0:
	s_load_dwordx2 s[20:21], s[4:5], 0x28
	s_load_dwordx8 s[12:19], s[4:5], 0x0
	v_lshlrev_b32_e32 v1, 2, v0
	v_lshl_add_u32 v12, v0, 4, 0
	s_waitcnt lgkmcnt(0)
	s_ashr_i32 s0, s20, 31
	s_lshr_b32 s0, s0, 30
	s_add_i32 s0, s20, s0
	s_mul_i32 s22, s6, s20
	s_ashr_i32 s7, s0, 2
	s_ashr_i32 s23, s22, 31
	v_cmp_gt_i32_e64 s[0:1], s7, v0
	s_and_saveexec_b64 s[24:25], s[0:1]
	s_cbranch_execz .LBB166_11
; %bb.1:
	s_load_dword s8, s[4:5], 0x44
	s_cmp_lg_u64 s[14:15], 0
	s_cselect_b64 s[2:3], -1, 0
	v_lshlrev_b32_e32 v2, 3, v0
	s_mov_b64 s[26:27], 0
	s_waitcnt lgkmcnt(0)
	s_and_b32 s28, s8, 0xffff
	s_add_u32 s29, s14, 2
	s_addc_u32 s30, s15, 0
	s_add_u32 s31, s14, 4
	s_addc_u32 s33, s15, 0
	;; [unrolled: 2-line block ×3, first 2 shown]
	s_lshl_b64 s[8:9], s[22:23], 1
	s_add_u32 s8, s12, s8
	s_addc_u32 s9, s13, s9
	v_mov_b32_e32 v3, s9
	v_add_co_u32_e32 v6, vcc, s8, v2
	v_cndmask_b32_e64 v2, 0, 1, s[2:3]
	s_mov_b32 s36, 0
	v_addc_co_u32_e32 v7, vcc, 0, v3, vcc
	s_lshl_b32 s37, s28, 3
	v_lshlrev_b32_e32 v8, 2, v0
	s_lshl_b32 s38, s28, 2
	v_lshl_add_u32 v13, v0, 4, 0
	s_lshl_b32 s39, s28, 4
	v_mov_b32_e32 v9, 0
	s_movk_i32 s40, 0x4d00
	s_mov_b32 s41, 0x3fb8aa3b
	s_mov_b32 s42, 0xc2fc0000
	v_mov_b32_e32 v14, 0x1f800000
	v_mov_b32_e32 v15, 0x42800000
	s_mov_b32 s43, 0x800000
	v_mov_b32_e32 v16, 0x4f800000
	v_mov_b32_e32 v17, 0x42000000
	s_mov_b32 s44, 0xf800000
	v_mov_b32_e32 v18, 0x260
	v_cmp_ne_u32_e64 s[2:3], 1, v2
	v_mov_b32_e32 v19, v0
	s_branch .LBB166_3
.LBB166_2:                              ;   in Loop: Header=BB166_3 Depth=1
	ds_write_b128 v13, v[2:5]
	v_mov_b32_e32 v2, s36
	v_add_co_u32_e32 v6, vcc, s37, v6
	v_add_u32_e32 v19, s28, v19
	v_addc_co_u32_e32 v7, vcc, v7, v2, vcc
	v_cmp_le_i32_e32 vcc, s7, v19
	v_add_u32_e32 v8, s38, v8
	s_or_b64 s[26:27], vcc, s[26:27]
	v_add_u32_e32 v13, s39, v13
	s_andn2_b64 exec, exec, s[26:27]
	s_cbranch_execz .LBB166_11
.LBB166_3:                              ; =>This Inner Loop Header: Depth=1
	global_load_dwordx2 v[4:5], v[6:7], off
	s_waitcnt vmcnt(0)
	v_cvt_f32_f16_e32 v2, v4
	v_mul_f32_e32 v3, 0x3fb8aa3b, v2
	v_cmp_gt_f32_e32 vcc, s42, v3
	v_cndmask_b32_e32 v10, 0, v15, vcc
	v_fma_mix_f32 v10, v4, s41, v10 op_sel_hi:[1,0,0]
	v_exp_f32_e32 v10, v10
	v_cndmask_b32_e32 v3, 1.0, v14, vcc
	v_fma_f32 v3, v10, v3, 1.0
	v_cmp_gt_f32_e32 vcc, s43, v3
	v_cndmask_b32_e32 v10, 1.0, v16, vcc
	v_mul_f32_e32 v3, v3, v10
	v_log_f32_e32 v3, v3
	v_cndmask_b32_e32 v10, 0, v17, vcc
	v_cmp_lt_f16_e32 vcc, s40, v4
	v_sub_f32_e32 v3, v3, v10
	v_mul_f32_e32 v3, 0x3f317218, v3
	v_cndmask_b32_e32 v2, v3, v2, vcc
	v_mul_f32_e32 v3, 0x4f800000, v2
	v_cmp_gt_f32_e64 s[8:9], s44, v2
	v_cndmask_b32_e64 v2, v2, v3, s[8:9]
	v_sqrt_f32_e32 v3, v2
	s_and_b64 vcc, exec, s[2:3]
	v_add_u32_e32 v10, -1, v3
	v_add_u32_e32 v11, 1, v3
	v_fma_f32 v20, -v10, v3, v2
	v_fma_f32 v21, -v11, v3, v2
	v_cmp_ge_f32_e64 s[10:11], 0, v20
	v_cndmask_b32_e64 v3, v3, v10, s[10:11]
	v_cmp_lt_f32_e64 s[10:11], 0, v21
	v_cndmask_b32_e64 v3, v3, v11, s[10:11]
	v_mul_f32_e32 v10, 0x37800000, v3
	v_cndmask_b32_e64 v3, v3, v10, s[8:9]
	v_cmp_class_f32_e64 s[8:9], v2, v18
	v_cndmask_b32_e64 v2, v3, v2, s[8:9]
	v_lshlrev_b64 v[10:11], 1, v[8:9]
	s_cbranch_vccnz .LBB166_5
; %bb.4:                                ;   in Loop: Header=BB166_3 Depth=1
	v_mov_b32_e32 v3, s15
	v_add_co_u32_e32 v20, vcc, s14, v10
	v_addc_co_u32_e32 v21, vcc, v3, v11, vcc
	global_load_ushort v3, v[20:21], off
	s_waitcnt vmcnt(0)
	v_cvt_f32_f16_e32 v3, v3
	v_add_f32_e32 v2, v2, v3
.LBB166_5:                              ;   in Loop: Header=BB166_3 Depth=1
	v_cvt_f32_f16_sdwa v3, v4 dst_sel:DWORD dst_unused:UNUSED_PAD src0_sel:WORD_1
	v_mul_f32_e32 v20, 0x3fb8aa3b, v3
	v_cmp_gt_f32_e32 vcc, s42, v20
	v_cndmask_b32_e32 v21, 0, v15, vcc
	v_fma_mix_f32 v21, v4, s41, v21 op_sel:[1,0,0] op_sel_hi:[1,0,0]
	v_exp_f32_e32 v21, v21
	v_cndmask_b32_e32 v20, 1.0, v14, vcc
	v_fma_f32 v20, v21, v20, 1.0
	v_cmp_gt_f32_e32 vcc, s43, v20
	v_cndmask_b32_e32 v21, 1.0, v16, vcc
	v_mul_f32_e32 v20, v20, v21
	v_log_f32_e32 v20, v20
	v_cndmask_b32_e32 v21, 0, v17, vcc
	v_cmp_gt_f16_sdwa vcc, v4, s40 src0_sel:WORD_1 src1_sel:DWORD
	v_sub_f32_e32 v20, v20, v21
	v_mul_f32_e32 v20, 0x3f317218, v20
	v_cndmask_b32_e32 v3, v20, v3, vcc
	v_mul_f32_e32 v4, 0x4f800000, v3
	v_cmp_gt_f32_e64 s[8:9], s44, v3
	v_cndmask_b32_e64 v3, v3, v4, s[8:9]
	v_sqrt_f32_e32 v4, v3
	s_and_b64 vcc, exec, s[2:3]
	v_add_u32_e32 v20, -1, v4
	v_add_u32_e32 v21, 1, v4
	v_fma_f32 v22, -v20, v4, v3
	v_fma_f32 v23, -v21, v4, v3
	v_cmp_ge_f32_e64 s[10:11], 0, v22
	v_cndmask_b32_e64 v4, v4, v20, s[10:11]
	v_cmp_lt_f32_e64 s[10:11], 0, v23
	v_cndmask_b32_e64 v4, v4, v21, s[10:11]
	v_mul_f32_e32 v20, 0x37800000, v4
	v_cndmask_b32_e64 v4, v4, v20, s[8:9]
	v_cmp_class_f32_e64 s[8:9], v3, v18
	v_cndmask_b32_e64 v3, v4, v3, s[8:9]
	s_cbranch_vccnz .LBB166_7
; %bb.6:                                ;   in Loop: Header=BB166_3 Depth=1
	v_mov_b32_e32 v4, s30
	v_add_co_u32_e32 v20, vcc, s29, v10
	v_addc_co_u32_e32 v21, vcc, v4, v11, vcc
	global_load_ushort v4, v[20:21], off
	s_waitcnt vmcnt(0)
	v_cvt_f32_f16_e32 v4, v4
	v_add_f32_e32 v3, v3, v4
.LBB166_7:                              ;   in Loop: Header=BB166_3 Depth=1
	v_cvt_f32_f16_e32 v4, v5
	v_mul_f32_e32 v20, 0x3fb8aa3b, v4
	v_cmp_gt_f32_e32 vcc, s42, v20
	v_cndmask_b32_e32 v21, 0, v15, vcc
	v_fma_mix_f32 v21, v5, s41, v21 op_sel_hi:[1,0,0]
	v_exp_f32_e32 v21, v21
	v_cndmask_b32_e32 v20, 1.0, v14, vcc
	v_fma_f32 v20, v21, v20, 1.0
	v_cmp_gt_f32_e32 vcc, s43, v20
	v_cndmask_b32_e32 v21, 1.0, v16, vcc
	v_mul_f32_e32 v20, v20, v21
	v_log_f32_e32 v20, v20
	v_cndmask_b32_e32 v21, 0, v17, vcc
	v_cmp_lt_f16_e32 vcc, s40, v5
	v_sub_f32_e32 v20, v20, v21
	v_mul_f32_e32 v20, 0x3f317218, v20
	v_cndmask_b32_e32 v4, v20, v4, vcc
	v_mul_f32_e32 v20, 0x4f800000, v4
	v_cmp_gt_f32_e64 s[8:9], s44, v4
	v_cndmask_b32_e64 v4, v4, v20, s[8:9]
	v_sqrt_f32_e32 v20, v4
	s_and_b64 vcc, exec, s[2:3]
	v_add_u32_e32 v21, -1, v20
	v_add_u32_e32 v22, 1, v20
	v_fma_f32 v23, -v21, v20, v4
	v_fma_f32 v24, -v22, v20, v4
	v_cmp_ge_f32_e64 s[10:11], 0, v23
	v_cndmask_b32_e64 v20, v20, v21, s[10:11]
	v_cmp_lt_f32_e64 s[10:11], 0, v24
	v_cndmask_b32_e64 v20, v20, v22, s[10:11]
	v_mul_f32_e32 v21, 0x37800000, v20
	v_cndmask_b32_e64 v20, v20, v21, s[8:9]
	v_cmp_class_f32_e64 s[8:9], v4, v18
	v_cndmask_b32_e64 v4, v20, v4, s[8:9]
	s_cbranch_vccnz .LBB166_9
; %bb.8:                                ;   in Loop: Header=BB166_3 Depth=1
	v_mov_b32_e32 v21, s33
	v_add_co_u32_e32 v20, vcc, s31, v10
	v_addc_co_u32_e32 v21, vcc, v21, v11, vcc
	global_load_ushort v20, v[20:21], off
	s_waitcnt vmcnt(0)
	v_cvt_f32_f16_e32 v20, v20
	v_add_f32_e32 v4, v4, v20
.LBB166_9:                              ;   in Loop: Header=BB166_3 Depth=1
	v_cvt_f32_f16_sdwa v20, v5 dst_sel:DWORD dst_unused:UNUSED_PAD src0_sel:WORD_1
	v_mul_f32_e32 v21, 0x3fb8aa3b, v20
	v_cmp_gt_f32_e32 vcc, s42, v21
	v_cndmask_b32_e32 v22, 0, v15, vcc
	v_fma_mix_f32 v22, v5, s41, v22 op_sel:[1,0,0] op_sel_hi:[1,0,0]
	v_exp_f32_e32 v22, v22
	v_cndmask_b32_e32 v21, 1.0, v14, vcc
	v_fma_f32 v21, v22, v21, 1.0
	v_cmp_gt_f32_e32 vcc, s43, v21
	v_cndmask_b32_e32 v22, 1.0, v16, vcc
	v_mul_f32_e32 v21, v21, v22
	v_log_f32_e32 v21, v21
	v_cndmask_b32_e32 v22, 0, v17, vcc
	v_cmp_gt_f16_sdwa vcc, v5, s40 src0_sel:WORD_1 src1_sel:DWORD
	v_sub_f32_e32 v21, v21, v22
	v_mul_f32_e32 v21, 0x3f317218, v21
	v_cndmask_b32_e32 v5, v21, v20, vcc
	v_mul_f32_e32 v20, 0x4f800000, v5
	v_cmp_gt_f32_e64 s[8:9], s44, v5
	v_cndmask_b32_e64 v5, v5, v20, s[8:9]
	v_sqrt_f32_e32 v20, v5
	s_and_b64 vcc, exec, s[2:3]
	v_add_u32_e32 v21, -1, v20
	v_add_u32_e32 v22, 1, v20
	v_fma_f32 v23, -v21, v20, v5
	v_fma_f32 v24, -v22, v20, v5
	v_cmp_ge_f32_e64 s[10:11], 0, v23
	v_cndmask_b32_e64 v20, v20, v21, s[10:11]
	v_cmp_lt_f32_e64 s[10:11], 0, v24
	v_cndmask_b32_e64 v20, v20, v22, s[10:11]
	v_mul_f32_e32 v21, 0x37800000, v20
	v_cndmask_b32_e64 v20, v20, v21, s[8:9]
	v_cmp_class_f32_e64 s[8:9], v5, v18
	v_cndmask_b32_e64 v5, v20, v5, s[8:9]
	s_cbranch_vccnz .LBB166_2
; %bb.10:                               ;   in Loop: Header=BB166_3 Depth=1
	v_mov_b32_e32 v20, s35
	v_add_co_u32_e32 v10, vcc, s34, v10
	v_addc_co_u32_e32 v11, vcc, v20, v11, vcc
	global_load_ushort v10, v[10:11], off
	s_waitcnt vmcnt(0)
	v_cvt_f32_f16_e32 v10, v10
	v_add_f32_e32 v5, v5, v10
	s_branch .LBB166_2
.LBB166_11:
	s_or_b64 exec, exec, s[24:25]
	v_lshl_add_u32 v2, s7, 2, v0
	v_cmp_gt_i32_e32 vcc, s20, v2
	s_and_saveexec_b64 s[10:11], vcc
	s_cbranch_execz .LBB166_16
; %bb.12:
	s_load_dword s8, s[4:5], 0x44
	s_lshl_b64 s[2:3], s[22:23], 1
	s_add_u32 s22, s12, s2
	s_addc_u32 s9, s13, s3
	s_cmp_lg_u64 s[14:15], 0
	s_cselect_b64 s[2:3], -1, 0
	s_waitcnt lgkmcnt(0)
	s_and_b32 s23, s8, 0xffff
	s_lshl_b32 s8, s7, 4
	s_add_i32 s8, s8, 0
	v_cndmask_b32_e64 v3, 0, 1, s[2:3]
	s_mov_b64 s[12:13], 0
	v_lshl_add_u32 v6, v0, 2, s8
	s_lshl_b32 s24, s23, 2
	v_mov_b32_e32 v7, s9
	s_movk_i32 s25, 0x4d00
	s_mov_b32 s26, 0x3fb8aa3b
	s_mov_b32 s27, 0xc2fc0000
	v_mov_b32_e32 v8, 0x42800000
	v_mov_b32_e32 v9, 0x1f800000
	s_mov_b32 s28, 0x800000
	v_mov_b32_e32 v10, 0x4f800000
	v_mov_b32_e32 v11, 0x42000000
	s_mov_b32 s29, 0xf800000
	v_mov_b32_e32 v13, 0x260
	v_cmp_ne_u32_e64 s[2:3], 1, v3
	s_branch .LBB166_14
.LBB166_13:                             ;   in Loop: Header=BB166_14 Depth=1
	v_add_u32_e32 v2, s23, v2
	v_cmp_le_i32_e32 vcc, s20, v2
	s_or_b64 s[12:13], vcc, s[12:13]
	v_add_u32_e32 v6, s24, v6
	s_andn2_b64 exec, exec, s[12:13]
	s_cbranch_execz .LBB166_16
.LBB166_14:                             ; =>This Inner Loop Header: Depth=1
	v_ashrrev_i32_e32 v3, 31, v2
	v_lshlrev_b64 v[4:5], 1, v[2:3]
	v_add_co_u32_e32 v14, vcc, s22, v4
	v_addc_co_u32_e32 v15, vcc, v7, v5, vcc
	global_load_ushort v3, v[14:15], off
	s_waitcnt vmcnt(0)
	v_cvt_f32_f16_e32 v14, v3
	v_mul_f32_e32 v15, 0x3fb8aa3b, v14
	v_cmp_gt_f32_e32 vcc, s27, v15
	v_cndmask_b32_e32 v15, 0, v8, vcc
	v_fma_mix_f32 v15, v3, s26, v15 op_sel_hi:[1,0,0]
	v_exp_f32_e32 v15, v15
	v_cndmask_b32_e32 v16, 1.0, v9, vcc
	v_fma_f32 v15, v15, v16, 1.0
	v_cmp_gt_f32_e32 vcc, s28, v15
	v_cndmask_b32_e32 v16, 1.0, v10, vcc
	v_mul_f32_e32 v15, v15, v16
	v_log_f32_e32 v15, v15
	v_cndmask_b32_e32 v16, 0, v11, vcc
	v_cmp_lt_f16_e32 vcc, s25, v3
	v_sub_f32_e32 v15, v15, v16
	v_mul_f32_e32 v15, 0x3f317218, v15
	v_cndmask_b32_e32 v3, v15, v14, vcc
	v_mul_f32_e32 v14, 0x4f800000, v3
	v_cmp_gt_f32_e32 vcc, s29, v3
	v_cndmask_b32_e32 v3, v3, v14, vcc
	v_sqrt_f32_e32 v14, v3
	v_add_u32_e32 v15, -1, v14
	v_add_u32_e32 v16, 1, v14
	v_fma_f32 v17, -v15, v14, v3
	v_fma_f32 v18, -v16, v14, v3
	v_cmp_ge_f32_e64 s[8:9], 0, v17
	v_cndmask_b32_e64 v14, v14, v15, s[8:9]
	v_cmp_lt_f32_e64 s[8:9], 0, v18
	v_cndmask_b32_e64 v14, v14, v16, s[8:9]
	v_mul_f32_e32 v15, 0x37800000, v14
	v_cndmask_b32_e32 v14, v14, v15, vcc
	v_cmp_class_f32_e32 vcc, v3, v13
	v_cndmask_b32_e32 v3, v14, v3, vcc
	s_and_b64 vcc, exec, s[2:3]
	ds_write_b32 v6, v3
	s_cbranch_vccnz .LBB166_13
; %bb.15:                               ;   in Loop: Header=BB166_14 Depth=1
	v_mov_b32_e32 v14, s15
	v_add_co_u32_e32 v4, vcc, s14, v4
	v_addc_co_u32_e32 v5, vcc, v14, v5, vcc
	global_load_ushort v4, v[4:5], off
	s_waitcnt vmcnt(0)
	v_cvt_f32_f16_e32 v4, v4
	v_add_f32_e32 v3, v3, v4
	ds_write_b32 v6, v3
	s_branch .LBB166_13
.LBB166_16:
	s_or_b64 exec, exec, s[10:11]
	s_cmp_lt_i32 s21, 1
	s_waitcnt lgkmcnt(0)
	s_barrier
	s_cbranch_scc1 .LBB166_25
; %bb.17:
	s_add_u32 s2, s4, 56
	s_addc_u32 s3, s5, 0
	v_mbcnt_lo_u32_b32 v3, -1, 0
	s_cmp_lg_u64 s[14:15], 0
	v_mbcnt_hi_u32_b32 v3, -1, v3
	v_bfrev_b32_e32 v5, 0.5
	s_cselect_b64 s[8:9], -1, 0
	s_mov_b32 s20, 0
	v_mov_b32_e32 v2, 0
	v_mov_b32_e32 v4, 0
	v_lshl_or_b32 v5, v3, 2, v5
	v_mov_b32_e32 v6, 0xff800000
	v_mov_b32_e32 v3, 0
	s_branch .LBB166_19
.LBB166_18:                             ;   in Loop: Header=BB166_19 Depth=1
	s_lshl_b32 s11, s10, 2
	s_add_i32 s11, s11, 0
	v_mov_b32_e32 v7, s11
	ds_write_b32 v7, v6
	v_mov_b32_e32 v7, s10
	v_cmp_eq_u32_e32 vcc, s20, v0
	s_add_i32 s20, s20, 1
	v_cndmask_b32_e32 v2, v2, v7, vcc
	s_cmp_eq_u32 s20, s21
	v_cndmask_b32_e32 v3, v3, v9, vcc
	s_cbranch_scc1 .LBB166_26
.LBB166_19:                             ; =>This Loop Header: Depth=1
                                        ;     Child Loop BB166_21 Depth 2
	v_mov_b32_e32 v7, s20
	v_mov_b32_e32 v8, 0xff800000
	s_and_saveexec_b64 s[10:11], s[0:1]
	s_cbranch_execz .LBB166_23
; %bb.20:                               ;   in Loop: Header=BB166_19 Depth=1
	s_load_dword s22, s[2:3], 0xc
	s_mov_b64 s[12:13], 0
	v_mov_b32_e32 v7, s20
	v_mov_b32_e32 v8, 0xff800000
	;; [unrolled: 1-line block ×3, first 2 shown]
	s_waitcnt lgkmcnt(0)
	s_and_b32 s22, s22, 0xffff
	s_lshl_b32 s23, s22, 2
	s_lshl_b32 s24, s22, 4
	v_mov_b32_e32 v10, v1
	v_mov_b32_e32 v11, v0
.LBB166_21:                             ;   Parent Loop BB166_19 Depth=1
                                        ; =>  This Inner Loop Header: Depth=2
	ds_read_b128 v[14:17], v9
	v_add_u32_e32 v11, s22, v11
	v_cmp_le_i32_e32 vcc, s7, v11
	s_or_b64 s[12:13], vcc, s[12:13]
	v_add_u32_e32 v13, 1, v10
	s_waitcnt lgkmcnt(0)
	v_cmp_gt_f32_e32 vcc, v14, v8
	v_cndmask_b32_e32 v8, v8, v14, vcc
	v_cndmask_b32_e32 v7, v7, v10, vcc
	v_cmp_gt_f32_e32 vcc, v15, v8
	v_cndmask_b32_e32 v8, v8, v15, vcc
	v_cndmask_b32_e32 v7, v7, v13, vcc
	v_cmp_gt_f32_e32 vcc, v16, v8
	v_add_u32_e32 v18, 2, v10
	v_cndmask_b32_e32 v8, v8, v16, vcc
	v_add_u32_e32 v19, 3, v10
	v_cndmask_b32_e32 v7, v7, v18, vcc
	v_cmp_gt_f32_e32 vcc, v17, v8
	v_add_u32_e32 v9, s24, v9
	v_add_u32_e32 v10, s23, v10
	v_cndmask_b32_e32 v8, v8, v17, vcc
	v_cndmask_b32_e32 v7, v7, v19, vcc
	s_andn2_b64 exec, exec, s[12:13]
	s_cbranch_execnz .LBB166_21
; %bb.22:                               ;   in Loop: Header=BB166_19 Depth=1
	s_or_b64 exec, exec, s[12:13]
.LBB166_23:                             ;   in Loop: Header=BB166_19 Depth=1
	s_or_b64 exec, exec, s[10:11]
	;;#ASMSTART
	v_max_f32 v9, v8, v8 quad_perm:[1,0,3,2] row_mask:0xf bank_mask:0xf bound_ctrl:1
	;;#ASMEND
	;;#ASMSTART
	v_max_f32 v10, v9, v9 quad_perm:[2,3,0,1] row_mask:0xf bank_mask:0xf bound_ctrl:1
	;;#ASMEND
	;;#ASMSTART
	v_max_f32 v9, v10, v10 row_half_mirror row_mask:0xf bank_mask:0xf bound_ctrl:1
	;;#ASMEND
	;;#ASMSTART
	v_max_f32 v10, v9, v9 row_mirror row_mask:0xf bank_mask:0xf bound_ctrl:1
	;;#ASMEND
	;;#ASMSTART
	v_max_f32 v9, v10, v10 row_ror:4 row_mask:0xf bank_mask:0xf bound_ctrl:1
	;;#ASMEND
	;;#ASMSTART
	v_max_f32 v10, v9, v9 row_ror:8 row_mask:0xf bank_mask:0xf bound_ctrl:1
	;;#ASMEND
	;;#ASMSTART
	v_max_f32 v9, v10, v10 row_bcast:15 row_mask:0xf bank_mask:0xf bound_ctrl:1
	;;#ASMEND
	;;#ASMSTART
	v_max_f32 v10, v9, v9 row_bcast:31 row_mask:0xf bank_mask:0xf bound_ctrl:1
	;;#ASMEND
	ds_bpermute_b32 v9, v5, v10
	s_waitcnt lgkmcnt(0)
	v_cmp_eq_f32_e32 vcc, v8, v9
	s_ff1_i32_b64 s10, vcc
	s_cmp_lg_u64 vcc, 0
	s_cselect_b32 s10, s10, 0
	s_and_b64 vcc, exec, s[8:9]
	v_readlane_b32 s10, v7, s10
	s_cbranch_vccz .LBB166_18
; %bb.24:                               ;   in Loop: Header=BB166_19 Depth=1
	s_ashr_i32 s11, s10, 31
	s_lshl_b64 s[12:13], s[10:11], 1
	s_add_u32 s12, s14, s12
	s_addc_u32 s13, s15, s13
	global_load_ushort v7, v4, s[12:13]
	s_waitcnt vmcnt(0)
	v_cvt_f32_f16_e32 v7, v7
	v_sub_f32_e32 v9, v9, v7
	s_branch .LBB166_18
.LBB166_25:
	v_mov_b32_e32 v3, 0
	v_mov_b32_e32 v2, 0
.LBB166_26:
	v_cmp_gt_i32_e32 vcc, s21, v0
	s_and_saveexec_b64 s[0:1], vcc
	s_cbranch_execz .LBB166_29
; %bb.27:
	s_load_dword s2, s[4:5], 0x34
	s_load_dwordx2 s[0:1], s[4:5], 0x20
	s_ashr_i32 s3, s6, 31
	s_load_dword s4, s[4:5], 0x44
	v_mov_b32_e32 v4, s17
	s_waitcnt lgkmcnt(0)
	v_mul_f32_e32 v1, s2, v3
	s_mul_i32 s1, s6, s1
	s_mul_hi_u32 s2, s6, s0
	s_add_i32 s1, s2, s1
	s_mul_i32 s3, s3, s0
	s_add_i32 s5, s1, s3
	s_mul_i32 s2, s6, s0
	s_and_b32 s3, s4, 0xffff
	s_mov_b64 s[0:1], 0
	v_mov_b32_e32 v3, s5
	v_mov_b32_e32 v5, s19
.LBB166_28:                             ; =>This Inner Loop Header: Depth=1
	v_ashrrev_i32_e32 v7, 31, v0
	v_add_co_u32_e32 v6, vcc, s2, v0
	v_addc_co_u32_e32 v7, vcc, v3, v7, vcc
	v_add_u32_e32 v0, s3, v0
	v_cmp_le_i32_e32 vcc, s21, v0
	v_lshlrev_b64 v[6:7], 2, v[6:7]
	s_or_b64 s[0:1], vcc, s[0:1]
	v_add_co_u32_e32 v8, vcc, s16, v6
	v_addc_co_u32_e32 v9, vcc, v4, v7, vcc
	v_add_co_u32_e32 v6, vcc, s18, v6
	v_addc_co_u32_e32 v7, vcc, v5, v7, vcc
	global_store_dword v[8:9], v1, off
	global_store_dword v[6:7], v2, off
	s_andn2_b64 exec, exec, s[0:1]
	s_cbranch_execnz .LBB166_28
.LBB166_29:
	s_endpgm
	.section	.rodata,"a",@progbits
	.p2align	6, 0x0
	.amdhsa_kernel _ZN5aiter20topk_softplus_kernelI6__halfS1_Dv4_fLb0ELi0EEEvPKT_PKT0_PfPimiiif
		.amdhsa_group_segment_fixed_size 0
		.amdhsa_private_segment_fixed_size 0
		.amdhsa_kernarg_size 312
		.amdhsa_user_sgpr_count 6
		.amdhsa_user_sgpr_private_segment_buffer 1
		.amdhsa_user_sgpr_dispatch_ptr 0
		.amdhsa_user_sgpr_queue_ptr 0
		.amdhsa_user_sgpr_kernarg_segment_ptr 1
		.amdhsa_user_sgpr_dispatch_id 0
		.amdhsa_user_sgpr_flat_scratch_init 0
		.amdhsa_user_sgpr_kernarg_preload_length 0
		.amdhsa_user_sgpr_kernarg_preload_offset 0
		.amdhsa_user_sgpr_private_segment_size 0
		.amdhsa_uses_dynamic_stack 0
		.amdhsa_system_sgpr_private_segment_wavefront_offset 0
		.amdhsa_system_sgpr_workgroup_id_x 1
		.amdhsa_system_sgpr_workgroup_id_y 0
		.amdhsa_system_sgpr_workgroup_id_z 0
		.amdhsa_system_sgpr_workgroup_info 0
		.amdhsa_system_vgpr_workitem_id 0
		.amdhsa_next_free_vgpr 25
		.amdhsa_next_free_sgpr 45
		.amdhsa_accum_offset 28
		.amdhsa_reserve_vcc 1
		.amdhsa_reserve_flat_scratch 0
		.amdhsa_float_round_mode_32 0
		.amdhsa_float_round_mode_16_64 0
		.amdhsa_float_denorm_mode_32 3
		.amdhsa_float_denorm_mode_16_64 3
		.amdhsa_dx10_clamp 1
		.amdhsa_ieee_mode 1
		.amdhsa_fp16_overflow 0
		.amdhsa_tg_split 0
		.amdhsa_exception_fp_ieee_invalid_op 0
		.amdhsa_exception_fp_denorm_src 0
		.amdhsa_exception_fp_ieee_div_zero 0
		.amdhsa_exception_fp_ieee_overflow 0
		.amdhsa_exception_fp_ieee_underflow 0
		.amdhsa_exception_fp_ieee_inexact 0
		.amdhsa_exception_int_div_zero 0
	.end_amdhsa_kernel
	.section	.text._ZN5aiter20topk_softplus_kernelI6__halfS1_Dv4_fLb0ELi0EEEvPKT_PKT0_PfPimiiif,"axG",@progbits,_ZN5aiter20topk_softplus_kernelI6__halfS1_Dv4_fLb0ELi0EEEvPKT_PKT0_PfPimiiif,comdat
.Lfunc_end166:
	.size	_ZN5aiter20topk_softplus_kernelI6__halfS1_Dv4_fLb0ELi0EEEvPKT_PKT0_PfPimiiif, .Lfunc_end166-_ZN5aiter20topk_softplus_kernelI6__halfS1_Dv4_fLb0ELi0EEEvPKT_PKT0_PfPimiiif
                                        ; -- End function
	.section	.AMDGPU.csdata,"",@progbits
; Kernel info:
; codeLenInByte = 2472
; NumSgprs: 49
; NumVgprs: 25
; NumAgprs: 0
; TotalNumVgprs: 25
; ScratchSize: 0
; MemoryBound: 0
; FloatMode: 240
; IeeeMode: 1
; LDSByteSize: 0 bytes/workgroup (compile time only)
; SGPRBlocks: 6
; VGPRBlocks: 3
; NumSGPRsForWavesPerEU: 49
; NumVGPRsForWavesPerEU: 25
; AccumOffset: 28
; Occupancy: 8
; WaveLimiterHint : 0
; COMPUTE_PGM_RSRC2:SCRATCH_EN: 0
; COMPUTE_PGM_RSRC2:USER_SGPR: 6
; COMPUTE_PGM_RSRC2:TRAP_HANDLER: 0
; COMPUTE_PGM_RSRC2:TGID_X_EN: 1
; COMPUTE_PGM_RSRC2:TGID_Y_EN: 0
; COMPUTE_PGM_RSRC2:TGID_Z_EN: 0
; COMPUTE_PGM_RSRC2:TIDIG_COMP_CNT: 0
; COMPUTE_PGM_RSRC3_GFX90A:ACCUM_OFFSET: 6
; COMPUTE_PGM_RSRC3_GFX90A:TG_SPLIT: 0
	.section	.text._ZN5aiter20topk_softplus_kernelI6__halfS1_Dv2_fLb1ELi0EEEvPKT_PKT0_PfPimiiif,"axG",@progbits,_ZN5aiter20topk_softplus_kernelI6__halfS1_Dv2_fLb1ELi0EEEvPKT_PKT0_PfPimiiif,comdat
	.protected	_ZN5aiter20topk_softplus_kernelI6__halfS1_Dv2_fLb1ELi0EEEvPKT_PKT0_PfPimiiif ; -- Begin function _ZN5aiter20topk_softplus_kernelI6__halfS1_Dv2_fLb1ELi0EEEvPKT_PKT0_PfPimiiif
	.globl	_ZN5aiter20topk_softplus_kernelI6__halfS1_Dv2_fLb1ELi0EEEvPKT_PKT0_PfPimiiif
	.p2align	8
	.type	_ZN5aiter20topk_softplus_kernelI6__halfS1_Dv2_fLb1ELi0EEEvPKT_PKT0_PfPimiiif,@function
_ZN5aiter20topk_softplus_kernelI6__halfS1_Dv2_fLb1ELi0EEEvPKT_PKT0_PfPimiiif: ; @_ZN5aiter20topk_softplus_kernelI6__halfS1_Dv2_fLb1ELi0EEEvPKT_PKT0_PfPimiiif
; %bb.0:
	s_load_dwordx2 s[20:21], s[4:5], 0x28
	s_load_dwordx8 s[12:19], s[4:5], 0x0
	v_lshl_add_u32 v6, v0, 3, 0
	s_waitcnt lgkmcnt(0)
	s_lshr_b32 s1, s20, 31
	s_mul_i32 s0, s6, s20
	s_add_i32 s1, s20, s1
	s_ashr_i32 s7, s1, 1
	s_ashr_i32 s1, s0, 31
	s_lshl_b64 s[0:1], s[0:1], 1
	s_add_u32 s24, s12, s0
	s_addc_u32 s25, s13, s1
	v_cmp_gt_i32_e64 s[0:1], s7, v0
	s_and_saveexec_b64 s[12:13], s[0:1]
	s_cbranch_execz .LBB167_7
; %bb.1:
	s_load_dword s8, s[4:5], 0x44
	s_cmp_lg_u64 s[14:15], 0
	s_cselect_b64 s[2:3], -1, 0
	v_cndmask_b32_e64 v4, 0, 1, s[2:3]
	s_mov_b64 s[22:23], 0
	s_waitcnt lgkmcnt(0)
	s_and_b32 s26, s8, 0xffff
	s_mov_b32 s8, 0
	v_lshlrev_b32_e32 v2, 2, v0
	v_mov_b32_e32 v1, 0
	s_lshl_b32 s27, s26, 2
	v_lshl_add_u32 v3, v0, 3, 0
	s_lshl_b32 s28, s26, 3
	v_mov_b32_e32 v7, s25
	s_movk_i32 s29, 0x4d00
	s_mov_b32 s30, 0x3fb8aa3b
	s_mov_b32 s31, 0xc2fc0000
	v_mov_b32_e32 v8, 0x42800000
	v_mov_b32_e32 v9, 0x1f800000
	s_mov_b32 s33, 0x800000
	v_mov_b32_e32 v10, 0x4f800000
	v_mov_b32_e32 v11, 0x42000000
	s_mov_b32 s34, 0xf800000
	v_mov_b32_e32 v12, 0x260
	v_cmp_ne_u32_e64 s[2:3], 1, v4
	v_mov_b32_e32 v13, s8
	v_mov_b32_e32 v14, v0
	s_branch .LBB167_3
.LBB167_2:                              ;   in Loop: Header=BB167_3 Depth=1
	v_add_co_u32_e32 v2, vcc, s27, v2
	v_add_u32_e32 v14, s26, v14
	v_addc_co_u32_e32 v1, vcc, v1, v13, vcc
	v_cmp_le_i32_e32 vcc, s7, v14
	ds_write_b64 v3, v[4:5]
	s_or_b64 s[22:23], vcc, s[22:23]
	v_add_u32_e32 v3, s28, v3
	s_andn2_b64 exec, exec, s[22:23]
	s_cbranch_execz .LBB167_7
.LBB167_3:                              ; =>This Inner Loop Header: Depth=1
	v_add_co_u32_e32 v4, vcc, s24, v2
	v_addc_co_u32_e32 v5, vcc, v7, v1, vcc
	global_load_dword v5, v[4:5], off
	s_waitcnt vmcnt(0)
	v_cvt_f32_f16_e32 v4, v5
	v_mul_f32_e32 v15, 0x3fb8aa3b, v4
	v_cmp_gt_f32_e32 vcc, s31, v15
	v_cndmask_b32_e32 v15, 0, v8, vcc
	v_fma_mix_f32 v15, v5, s30, v15 op_sel_hi:[1,0,0]
	v_exp_f32_e32 v15, v15
	v_cndmask_b32_e32 v16, 1.0, v9, vcc
	v_fma_f32 v15, v15, v16, 1.0
	v_cmp_gt_f32_e32 vcc, s33, v15
	v_cndmask_b32_e32 v16, 1.0, v10, vcc
	v_mul_f32_e32 v15, v15, v16
	v_log_f32_e32 v15, v15
	v_cndmask_b32_e32 v16, 0, v11, vcc
	v_cmp_lt_f16_e32 vcc, s29, v5
	v_sub_f32_e32 v15, v15, v16
	v_mul_f32_e32 v15, 0x3f317218, v15
	v_cndmask_b32_e32 v4, v15, v4, vcc
	v_mul_f32_e32 v15, 0x4f800000, v4
	v_cmp_gt_f32_e64 s[8:9], s34, v4
	v_cndmask_b32_e64 v4, v4, v15, s[8:9]
	v_sqrt_f32_e32 v15, v4
	s_and_b64 vcc, exec, s[2:3]
	v_add_u32_e32 v16, -1, v15
	v_add_u32_e32 v17, 1, v15
	v_fma_f32 v18, -v16, v15, v4
	v_fma_f32 v19, -v17, v15, v4
	v_cmp_ge_f32_e64 s[10:11], 0, v18
	v_cndmask_b32_e64 v15, v15, v16, s[10:11]
	v_cmp_lt_f32_e64 s[10:11], 0, v19
	v_cndmask_b32_e64 v15, v15, v17, s[10:11]
	v_mul_f32_e32 v16, 0x37800000, v15
	v_cndmask_b32_e64 v15, v15, v16, s[8:9]
	v_cmp_class_f32_e64 s[8:9], v4, v12
	v_cndmask_b32_e64 v4, v15, v4, s[8:9]
	s_cbranch_vccnz .LBB167_5
; %bb.4:                                ;   in Loop: Header=BB167_3 Depth=1
	v_mov_b32_e32 v15, s15
	v_add_co_u32_e32 v16, vcc, s14, v2
	v_addc_co_u32_e32 v17, vcc, v15, v1, vcc
	global_load_ushort v15, v[16:17], off
	s_waitcnt vmcnt(0)
	v_cvt_f32_f16_e32 v15, v15
	v_add_f32_e32 v4, v4, v15
.LBB167_5:                              ;   in Loop: Header=BB167_3 Depth=1
	v_cvt_f32_f16_sdwa v15, v5 dst_sel:DWORD dst_unused:UNUSED_PAD src0_sel:WORD_1
	v_mul_f32_e32 v16, 0x3fb8aa3b, v15
	v_cmp_gt_f32_e32 vcc, s31, v16
	v_cndmask_b32_e32 v17, 0, v8, vcc
	v_fma_mix_f32 v17, v5, s30, v17 op_sel:[1,0,0] op_sel_hi:[1,0,0]
	v_exp_f32_e32 v17, v17
	v_cndmask_b32_e32 v16, 1.0, v9, vcc
	v_fma_f32 v16, v17, v16, 1.0
	v_cmp_gt_f32_e32 vcc, s33, v16
	v_cndmask_b32_e32 v17, 1.0, v10, vcc
	v_mul_f32_e32 v16, v16, v17
	v_log_f32_e32 v16, v16
	v_cndmask_b32_e32 v17, 0, v11, vcc
	v_cmp_gt_f16_sdwa vcc, v5, s29 src0_sel:WORD_1 src1_sel:DWORD
	v_sub_f32_e32 v16, v16, v17
	v_mul_f32_e32 v16, 0x3f317218, v16
	v_cndmask_b32_e32 v5, v16, v15, vcc
	v_mul_f32_e32 v15, 0x4f800000, v5
	v_cmp_gt_f32_e64 s[8:9], s34, v5
	v_cndmask_b32_e64 v5, v5, v15, s[8:9]
	v_sqrt_f32_e32 v15, v5
	s_and_b64 vcc, exec, s[2:3]
	v_add_u32_e32 v16, -1, v15
	v_add_u32_e32 v17, 1, v15
	v_fma_f32 v18, -v16, v15, v5
	v_fma_f32 v19, -v17, v15, v5
	v_cmp_ge_f32_e64 s[10:11], 0, v18
	v_cndmask_b32_e64 v15, v15, v16, s[10:11]
	v_cmp_lt_f32_e64 s[10:11], 0, v19
	v_cndmask_b32_e64 v15, v15, v17, s[10:11]
	v_mul_f32_e32 v16, 0x37800000, v15
	v_cndmask_b32_e64 v15, v15, v16, s[8:9]
	v_cmp_class_f32_e64 s[8:9], v5, v12
	v_cndmask_b32_e64 v5, v15, v5, s[8:9]
	s_cbranch_vccnz .LBB167_2
; %bb.6:                                ;   in Loop: Header=BB167_3 Depth=1
	v_mov_b32_e32 v15, s15
	v_add_co_u32_e32 v16, vcc, s14, v2
	v_addc_co_u32_e32 v17, vcc, v15, v1, vcc
	global_load_ushort v15, v[16:17], off offset:2
	s_waitcnt vmcnt(0)
	v_cvt_f32_f16_e32 v15, v15
	v_add_f32_e32 v5, v5, v15
	s_branch .LBB167_2
.LBB167_7:
	s_or_b64 exec, exec, s[12:13]
	v_lshl_add_u32 v2, s7, 1, v0
	v_cmp_gt_i32_e32 vcc, s20, v2
	s_and_saveexec_b64 s[10:11], vcc
	s_cbranch_execz .LBB167_12
; %bb.8:
	s_load_dword s8, s[4:5], 0x44
	s_cmp_lg_u64 s[14:15], 0
	s_cselect_b64 s[2:3], -1, 0
	s_lshl_b32 s9, s7, 3
	v_cndmask_b32_e64 v3, 0, 1, s[2:3]
	s_waitcnt lgkmcnt(0)
	s_and_b32 s22, s8, 0xffff
	s_add_i32 s8, s9, 0
	s_mov_b64 s[12:13], 0
	v_lshl_add_u32 v1, v0, 2, s8
	s_lshl_b32 s23, s22, 2
	v_mov_b32_e32 v7, s25
	s_movk_i32 s25, 0x4d00
	s_mov_b32 s26, 0x3fb8aa3b
	s_mov_b32 s27, 0xc2fc0000
	v_mov_b32_e32 v8, 0x42800000
	v_mov_b32_e32 v9, 0x1f800000
	s_mov_b32 s28, 0x800000
	v_mov_b32_e32 v10, 0x4f800000
	v_mov_b32_e32 v11, 0x42000000
	s_mov_b32 s29, 0xf800000
	v_mov_b32_e32 v12, 0x260
	v_cmp_ne_u32_e64 s[2:3], 1, v3
	s_branch .LBB167_10
.LBB167_9:                              ;   in Loop: Header=BB167_10 Depth=1
	v_add_u32_e32 v2, s22, v2
	v_cmp_le_i32_e32 vcc, s20, v2
	s_or_b64 s[12:13], vcc, s[12:13]
	v_add_u32_e32 v1, s23, v1
	s_andn2_b64 exec, exec, s[12:13]
	s_cbranch_execz .LBB167_12
.LBB167_10:                             ; =>This Inner Loop Header: Depth=1
	v_ashrrev_i32_e32 v3, 31, v2
	v_lshlrev_b64 v[4:5], 1, v[2:3]
	v_add_co_u32_e32 v14, vcc, s24, v4
	v_addc_co_u32_e32 v15, vcc, v7, v5, vcc
	global_load_ushort v3, v[14:15], off
	s_waitcnt vmcnt(0)
	v_cvt_f32_f16_e32 v13, v3
	v_mul_f32_e32 v14, 0x3fb8aa3b, v13
	v_cmp_gt_f32_e32 vcc, s27, v14
	v_cndmask_b32_e32 v14, 0, v8, vcc
	v_fma_mix_f32 v14, v3, s26, v14 op_sel_hi:[1,0,0]
	v_exp_f32_e32 v14, v14
	v_cndmask_b32_e32 v15, 1.0, v9, vcc
	v_fma_f32 v14, v14, v15, 1.0
	v_cmp_gt_f32_e32 vcc, s28, v14
	v_cndmask_b32_e32 v15, 1.0, v10, vcc
	v_mul_f32_e32 v14, v14, v15
	v_log_f32_e32 v14, v14
	v_cndmask_b32_e32 v15, 0, v11, vcc
	v_cmp_lt_f16_e32 vcc, s25, v3
	v_sub_f32_e32 v14, v14, v15
	v_mul_f32_e32 v14, 0x3f317218, v14
	v_cndmask_b32_e32 v3, v14, v13, vcc
	v_mul_f32_e32 v13, 0x4f800000, v3
	v_cmp_gt_f32_e32 vcc, s29, v3
	v_cndmask_b32_e32 v3, v3, v13, vcc
	v_sqrt_f32_e32 v13, v3
	v_add_u32_e32 v14, -1, v13
	v_add_u32_e32 v15, 1, v13
	v_fma_f32 v16, -v14, v13, v3
	v_fma_f32 v17, -v15, v13, v3
	v_cmp_ge_f32_e64 s[8:9], 0, v16
	v_cndmask_b32_e64 v13, v13, v14, s[8:9]
	v_cmp_lt_f32_e64 s[8:9], 0, v17
	v_cndmask_b32_e64 v13, v13, v15, s[8:9]
	v_mul_f32_e32 v14, 0x37800000, v13
	v_cndmask_b32_e32 v13, v13, v14, vcc
	v_cmp_class_f32_e32 vcc, v3, v12
	v_cndmask_b32_e32 v3, v13, v3, vcc
	s_and_b64 vcc, exec, s[2:3]
	ds_write_b32 v1, v3
	s_cbranch_vccnz .LBB167_9
; %bb.11:                               ;   in Loop: Header=BB167_10 Depth=1
	v_mov_b32_e32 v13, s15
	v_add_co_u32_e32 v4, vcc, s14, v4
	v_addc_co_u32_e32 v5, vcc, v13, v5, vcc
	global_load_ushort v4, v[4:5], off
	s_waitcnt vmcnt(0)
	v_cvt_f32_f16_e32 v4, v4
	v_add_f32_e32 v3, v3, v4
	ds_write_b32 v1, v3
	s_branch .LBB167_9
.LBB167_12:
	s_or_b64 exec, exec, s[10:11]
	s_cmp_lt_i32 s21, 1
	v_mov_b32_e32 v2, 0
	s_waitcnt lgkmcnt(0)
	s_barrier
	s_cbranch_scc1 .LBB167_21
; %bb.13:
	s_add_u32 s2, s4, 56
	s_addc_u32 s3, s5, 0
	v_mbcnt_lo_u32_b32 v1, -1, 0
	s_cmp_lg_u64 s[14:15], 0
	v_mbcnt_hi_u32_b32 v1, -1, v1
	v_bfrev_b32_e32 v3, 0.5
	s_cselect_b64 s[8:9], -1, 0
	v_lshlrev_b32_e32 v4, 1, v0
	s_mov_b32 s20, 0
	v_mov_b32_e32 v2, 0
	v_lshl_or_b32 v5, v1, 2, v3
	v_mov_b32_e32 v7, 0
	v_mov_b32_e32 v8, 0xff800000
	;; [unrolled: 1-line block ×4, first 2 shown]
	s_branch .LBB167_15
.LBB167_14:                             ;   in Loop: Header=BB167_15 Depth=1
	s_lshl_b32 s11, s10, 2
	s_add_i32 s11, s11, 0
	v_mov_b32_e32 v9, s11
	ds_write_b32 v9, v8
	v_mov_b32_e32 v9, s10
	v_cmp_eq_u32_e32 vcc, s20, v0
	s_add_i32 s20, s20, 1
	v_cndmask_b32_e32 v1, v1, v9, vcc
	v_cndmask_b32_e32 v2, v2, v11, vcc
	s_cmp_eq_u32 s20, s21
	v_add_f32_e32 v3, v3, v11
	s_cbranch_scc1 .LBB167_22
.LBB167_15:                             ; =>This Loop Header: Depth=1
                                        ;     Child Loop BB167_17 Depth 2
	v_mov_b32_e32 v9, s20
	v_mov_b32_e32 v10, 0xff800000
	s_and_saveexec_b64 s[10:11], s[0:1]
	s_cbranch_execz .LBB167_19
; %bb.16:                               ;   in Loop: Header=BB167_15 Depth=1
	s_load_dword s22, s[2:3], 0xc
	s_mov_b64 s[12:13], 0
	v_mov_b32_e32 v9, s20
	v_mov_b32_e32 v10, 0xff800000
	;; [unrolled: 1-line block ×3, first 2 shown]
	s_waitcnt lgkmcnt(0)
	s_and_b32 s22, s22, 0xffff
	s_lshl_b32 s23, s22, 1
	s_lshl_b32 s24, s22, 3
	v_mov_b32_e32 v12, v4
	v_mov_b32_e32 v13, v0
.LBB167_17:                             ;   Parent Loop BB167_15 Depth=1
                                        ; =>  This Inner Loop Header: Depth=2
	ds_read_b64 v[14:15], v11
	v_add_u32_e32 v13, s22, v13
	v_cmp_le_i32_e32 vcc, s7, v13
	s_or_b64 s[12:13], vcc, s[12:13]
	v_add_u32_e32 v16, 1, v12
	s_waitcnt lgkmcnt(0)
	v_cmp_gt_f32_e32 vcc, v14, v10
	v_cndmask_b32_e32 v10, v10, v14, vcc
	v_cndmask_b32_e32 v9, v9, v12, vcc
	v_cmp_gt_f32_e32 vcc, v15, v10
	v_add_u32_e32 v11, s24, v11
	v_cndmask_b32_e32 v10, v10, v15, vcc
	v_add_u32_e32 v12, s23, v12
	v_cndmask_b32_e32 v9, v9, v16, vcc
	s_andn2_b64 exec, exec, s[12:13]
	s_cbranch_execnz .LBB167_17
; %bb.18:                               ;   in Loop: Header=BB167_15 Depth=1
	s_or_b64 exec, exec, s[12:13]
.LBB167_19:                             ;   in Loop: Header=BB167_15 Depth=1
	s_or_b64 exec, exec, s[10:11]
	;;#ASMSTART
	v_max_f32 v11, v10, v10 quad_perm:[1,0,3,2] row_mask:0xf bank_mask:0xf bound_ctrl:1
	;;#ASMEND
	;;#ASMSTART
	v_max_f32 v12, v11, v11 quad_perm:[2,3,0,1] row_mask:0xf bank_mask:0xf bound_ctrl:1
	;;#ASMEND
	;;#ASMSTART
	v_max_f32 v11, v12, v12 row_half_mirror row_mask:0xf bank_mask:0xf bound_ctrl:1
	;;#ASMEND
	;;#ASMSTART
	v_max_f32 v12, v11, v11 row_mirror row_mask:0xf bank_mask:0xf bound_ctrl:1
	;;#ASMEND
	;;#ASMSTART
	v_max_f32 v11, v12, v12 row_ror:4 row_mask:0xf bank_mask:0xf bound_ctrl:1
	;;#ASMEND
	;;#ASMSTART
	v_max_f32 v12, v11, v11 row_ror:8 row_mask:0xf bank_mask:0xf bound_ctrl:1
	;;#ASMEND
	;;#ASMSTART
	v_max_f32 v11, v12, v12 row_bcast:15 row_mask:0xf bank_mask:0xf bound_ctrl:1
	;;#ASMEND
	;;#ASMSTART
	v_max_f32 v12, v11, v11 row_bcast:31 row_mask:0xf bank_mask:0xf bound_ctrl:1
	;;#ASMEND
	ds_bpermute_b32 v11, v5, v12
	s_waitcnt lgkmcnt(0)
	v_cmp_eq_f32_e32 vcc, v10, v11
	s_ff1_i32_b64 s10, vcc
	s_cmp_lg_u64 vcc, 0
	s_cselect_b32 s10, s10, 0
	s_and_b64 vcc, exec, s[8:9]
	v_readlane_b32 s10, v9, s10
	s_cbranch_vccz .LBB167_14
; %bb.20:                               ;   in Loop: Header=BB167_15 Depth=1
	s_ashr_i32 s11, s10, 31
	s_lshl_b64 s[12:13], s[10:11], 1
	s_add_u32 s12, s14, s12
	s_addc_u32 s13, s15, s13
	global_load_ushort v9, v7, s[12:13]
	s_waitcnt vmcnt(0)
	v_cvt_f32_f16_e32 v9, v9
	v_sub_f32_e32 v11, v11, v9
	s_branch .LBB167_14
.LBB167_21:
	v_mov_b32_e32 v1, 0
	v_mov_b32_e32 v3, 0
.LBB167_22:
	v_cmp_gt_i32_e32 vcc, s21, v0
	s_and_saveexec_b64 s[0:1], vcc
	s_cbranch_execz .LBB167_25
; %bb.23:
	s_load_dword s2, s[4:5], 0x34
	v_max_f32_e32 v3, v3, v3
	v_max_f32_e32 v3, 0x1e3ce508, v3
	s_load_dword s3, s[4:5], 0x44
	s_waitcnt lgkmcnt(0)
	v_div_scale_f32 v4, s[0:1], v3, v3, s2
	s_load_dwordx2 s[0:1], s[4:5], 0x20
	v_rcp_f32_e32 v5, v4
	v_div_scale_f32 v6, vcc, s2, v3, s2
	s_and_b32 s3, s3, 0xffff
	v_fma_f32 v7, -v4, v5, 1.0
	v_fmac_f32_e32 v5, v7, v5
	v_mul_f32_e32 v7, v6, v5
	v_fma_f32 v8, -v4, v7, v6
	v_fmac_f32_e32 v7, v8, v5
	v_fma_f32 v4, -v4, v7, v6
	v_div_fmas_f32 v4, v4, v5, v7
	v_div_fixup_f32 v3, v4, v3, s2
	s_ashr_i32 s2, s6, 31
	s_waitcnt lgkmcnt(0)
	s_mul_i32 s1, s6, s1
	s_mul_hi_u32 s4, s6, s0
	s_add_i32 s1, s4, s1
	s_mul_i32 s2, s2, s0
	s_add_i32 s4, s1, s2
	v_mul_f32_e32 v2, v2, v3
	s_mul_i32 s2, s6, s0
	s_mov_b64 s[0:1], 0
	v_mov_b32_e32 v3, s4
	v_mov_b32_e32 v4, s17
	;; [unrolled: 1-line block ×3, first 2 shown]
.LBB167_24:                             ; =>This Inner Loop Header: Depth=1
	v_ashrrev_i32_e32 v7, 31, v0
	v_add_co_u32_e32 v6, vcc, s2, v0
	v_addc_co_u32_e32 v7, vcc, v3, v7, vcc
	v_add_u32_e32 v0, s3, v0
	v_cmp_le_i32_e32 vcc, s21, v0
	v_lshlrev_b64 v[6:7], 2, v[6:7]
	s_or_b64 s[0:1], vcc, s[0:1]
	v_add_co_u32_e32 v8, vcc, s16, v6
	v_addc_co_u32_e32 v9, vcc, v4, v7, vcc
	v_add_co_u32_e32 v6, vcc, s18, v6
	v_addc_co_u32_e32 v7, vcc, v5, v7, vcc
	global_store_dword v[8:9], v2, off
	global_store_dword v[6:7], v1, off
	s_andn2_b64 exec, exec, s[0:1]
	s_cbranch_execnz .LBB167_24
.LBB167_25:
	s_endpgm
	.section	.rodata,"a",@progbits
	.p2align	6, 0x0
	.amdhsa_kernel _ZN5aiter20topk_softplus_kernelI6__halfS1_Dv2_fLb1ELi0EEEvPKT_PKT0_PfPimiiif
		.amdhsa_group_segment_fixed_size 0
		.amdhsa_private_segment_fixed_size 0
		.amdhsa_kernarg_size 312
		.amdhsa_user_sgpr_count 6
		.amdhsa_user_sgpr_private_segment_buffer 1
		.amdhsa_user_sgpr_dispatch_ptr 0
		.amdhsa_user_sgpr_queue_ptr 0
		.amdhsa_user_sgpr_kernarg_segment_ptr 1
		.amdhsa_user_sgpr_dispatch_id 0
		.amdhsa_user_sgpr_flat_scratch_init 0
		.amdhsa_user_sgpr_kernarg_preload_length 0
		.amdhsa_user_sgpr_kernarg_preload_offset 0
		.amdhsa_user_sgpr_private_segment_size 0
		.amdhsa_uses_dynamic_stack 0
		.amdhsa_system_sgpr_private_segment_wavefront_offset 0
		.amdhsa_system_sgpr_workgroup_id_x 1
		.amdhsa_system_sgpr_workgroup_id_y 0
		.amdhsa_system_sgpr_workgroup_id_z 0
		.amdhsa_system_sgpr_workgroup_info 0
		.amdhsa_system_vgpr_workitem_id 0
		.amdhsa_next_free_vgpr 20
		.amdhsa_next_free_sgpr 35
		.amdhsa_accum_offset 20
		.amdhsa_reserve_vcc 1
		.amdhsa_reserve_flat_scratch 0
		.amdhsa_float_round_mode_32 0
		.amdhsa_float_round_mode_16_64 0
		.amdhsa_float_denorm_mode_32 3
		.amdhsa_float_denorm_mode_16_64 3
		.amdhsa_dx10_clamp 1
		.amdhsa_ieee_mode 1
		.amdhsa_fp16_overflow 0
		.amdhsa_tg_split 0
		.amdhsa_exception_fp_ieee_invalid_op 0
		.amdhsa_exception_fp_denorm_src 0
		.amdhsa_exception_fp_ieee_div_zero 0
		.amdhsa_exception_fp_ieee_overflow 0
		.amdhsa_exception_fp_ieee_underflow 0
		.amdhsa_exception_fp_ieee_inexact 0
		.amdhsa_exception_int_div_zero 0
	.end_amdhsa_kernel
	.section	.text._ZN5aiter20topk_softplus_kernelI6__halfS1_Dv2_fLb1ELi0EEEvPKT_PKT0_PfPimiiif,"axG",@progbits,_ZN5aiter20topk_softplus_kernelI6__halfS1_Dv2_fLb1ELi0EEEvPKT_PKT0_PfPimiiif,comdat
.Lfunc_end167:
	.size	_ZN5aiter20topk_softplus_kernelI6__halfS1_Dv2_fLb1ELi0EEEvPKT_PKT0_PfPimiiif, .Lfunc_end167-_ZN5aiter20topk_softplus_kernelI6__halfS1_Dv2_fLb1ELi0EEEvPKT_PKT0_PfPimiiif
                                        ; -- End function
	.section	.AMDGPU.csdata,"",@progbits
; Kernel info:
; codeLenInByte = 1992
; NumSgprs: 39
; NumVgprs: 20
; NumAgprs: 0
; TotalNumVgprs: 20
; ScratchSize: 0
; MemoryBound: 0
; FloatMode: 240
; IeeeMode: 1
; LDSByteSize: 0 bytes/workgroup (compile time only)
; SGPRBlocks: 4
; VGPRBlocks: 2
; NumSGPRsForWavesPerEU: 39
; NumVGPRsForWavesPerEU: 20
; AccumOffset: 20
; Occupancy: 8
; WaveLimiterHint : 0
; COMPUTE_PGM_RSRC2:SCRATCH_EN: 0
; COMPUTE_PGM_RSRC2:USER_SGPR: 6
; COMPUTE_PGM_RSRC2:TRAP_HANDLER: 0
; COMPUTE_PGM_RSRC2:TGID_X_EN: 1
; COMPUTE_PGM_RSRC2:TGID_Y_EN: 0
; COMPUTE_PGM_RSRC2:TGID_Z_EN: 0
; COMPUTE_PGM_RSRC2:TIDIG_COMP_CNT: 0
; COMPUTE_PGM_RSRC3_GFX90A:ACCUM_OFFSET: 4
; COMPUTE_PGM_RSRC3_GFX90A:TG_SPLIT: 0
	.section	.text._ZN5aiter20topk_softplus_kernelI6__halfS1_Dv2_fLb0ELi0EEEvPKT_PKT0_PfPimiiif,"axG",@progbits,_ZN5aiter20topk_softplus_kernelI6__halfS1_Dv2_fLb0ELi0EEEvPKT_PKT0_PfPimiiif,comdat
	.protected	_ZN5aiter20topk_softplus_kernelI6__halfS1_Dv2_fLb0ELi0EEEvPKT_PKT0_PfPimiiif ; -- Begin function _ZN5aiter20topk_softplus_kernelI6__halfS1_Dv2_fLb0ELi0EEEvPKT_PKT0_PfPimiiif
	.globl	_ZN5aiter20topk_softplus_kernelI6__halfS1_Dv2_fLb0ELi0EEEvPKT_PKT0_PfPimiiif
	.p2align	8
	.type	_ZN5aiter20topk_softplus_kernelI6__halfS1_Dv2_fLb0ELi0EEEvPKT_PKT0_PfPimiiif,@function
_ZN5aiter20topk_softplus_kernelI6__halfS1_Dv2_fLb0ELi0EEEvPKT_PKT0_PfPimiiif: ; @_ZN5aiter20topk_softplus_kernelI6__halfS1_Dv2_fLb0ELi0EEEvPKT_PKT0_PfPimiiif
; %bb.0:
	s_load_dwordx2 s[20:21], s[4:5], 0x28
	s_load_dwordx8 s[12:19], s[4:5], 0x0
	v_lshl_add_u32 v6, v0, 3, 0
	s_waitcnt lgkmcnt(0)
	s_lshr_b32 s1, s20, 31
	s_mul_i32 s0, s6, s20
	s_add_i32 s1, s20, s1
	s_ashr_i32 s7, s1, 1
	s_ashr_i32 s1, s0, 31
	s_lshl_b64 s[0:1], s[0:1], 1
	s_add_u32 s24, s12, s0
	s_addc_u32 s25, s13, s1
	v_cmp_gt_i32_e64 s[0:1], s7, v0
	s_and_saveexec_b64 s[12:13], s[0:1]
	s_cbranch_execz .LBB168_7
; %bb.1:
	s_load_dword s8, s[4:5], 0x44
	s_cmp_lg_u64 s[14:15], 0
	s_cselect_b64 s[2:3], -1, 0
	v_cndmask_b32_e64 v4, 0, 1, s[2:3]
	s_mov_b64 s[22:23], 0
	s_waitcnt lgkmcnt(0)
	s_and_b32 s26, s8, 0xffff
	s_mov_b32 s8, 0
	v_lshlrev_b32_e32 v2, 2, v0
	v_mov_b32_e32 v1, 0
	s_lshl_b32 s27, s26, 2
	v_lshl_add_u32 v3, v0, 3, 0
	s_lshl_b32 s28, s26, 3
	v_mov_b32_e32 v7, s25
	s_movk_i32 s29, 0x4d00
	s_mov_b32 s30, 0x3fb8aa3b
	s_mov_b32 s31, 0xc2fc0000
	v_mov_b32_e32 v8, 0x42800000
	v_mov_b32_e32 v9, 0x1f800000
	s_mov_b32 s33, 0x800000
	v_mov_b32_e32 v10, 0x4f800000
	v_mov_b32_e32 v11, 0x42000000
	s_mov_b32 s34, 0xf800000
	v_mov_b32_e32 v12, 0x260
	v_cmp_ne_u32_e64 s[2:3], 1, v4
	v_mov_b32_e32 v13, s8
	v_mov_b32_e32 v14, v0
	s_branch .LBB168_3
.LBB168_2:                              ;   in Loop: Header=BB168_3 Depth=1
	v_add_co_u32_e32 v2, vcc, s27, v2
	v_add_u32_e32 v14, s26, v14
	v_addc_co_u32_e32 v1, vcc, v1, v13, vcc
	v_cmp_le_i32_e32 vcc, s7, v14
	ds_write_b64 v3, v[4:5]
	s_or_b64 s[22:23], vcc, s[22:23]
	v_add_u32_e32 v3, s28, v3
	s_andn2_b64 exec, exec, s[22:23]
	s_cbranch_execz .LBB168_7
.LBB168_3:                              ; =>This Inner Loop Header: Depth=1
	v_add_co_u32_e32 v4, vcc, s24, v2
	v_addc_co_u32_e32 v5, vcc, v7, v1, vcc
	global_load_dword v5, v[4:5], off
	s_waitcnt vmcnt(0)
	v_cvt_f32_f16_e32 v4, v5
	v_mul_f32_e32 v15, 0x3fb8aa3b, v4
	v_cmp_gt_f32_e32 vcc, s31, v15
	v_cndmask_b32_e32 v15, 0, v8, vcc
	v_fma_mix_f32 v15, v5, s30, v15 op_sel_hi:[1,0,0]
	v_exp_f32_e32 v15, v15
	v_cndmask_b32_e32 v16, 1.0, v9, vcc
	v_fma_f32 v15, v15, v16, 1.0
	v_cmp_gt_f32_e32 vcc, s33, v15
	v_cndmask_b32_e32 v16, 1.0, v10, vcc
	v_mul_f32_e32 v15, v15, v16
	v_log_f32_e32 v15, v15
	v_cndmask_b32_e32 v16, 0, v11, vcc
	v_cmp_lt_f16_e32 vcc, s29, v5
	v_sub_f32_e32 v15, v15, v16
	v_mul_f32_e32 v15, 0x3f317218, v15
	v_cndmask_b32_e32 v4, v15, v4, vcc
	v_mul_f32_e32 v15, 0x4f800000, v4
	v_cmp_gt_f32_e64 s[8:9], s34, v4
	v_cndmask_b32_e64 v4, v4, v15, s[8:9]
	v_sqrt_f32_e32 v15, v4
	s_and_b64 vcc, exec, s[2:3]
	v_add_u32_e32 v16, -1, v15
	v_add_u32_e32 v17, 1, v15
	v_fma_f32 v18, -v16, v15, v4
	v_fma_f32 v19, -v17, v15, v4
	v_cmp_ge_f32_e64 s[10:11], 0, v18
	v_cndmask_b32_e64 v15, v15, v16, s[10:11]
	v_cmp_lt_f32_e64 s[10:11], 0, v19
	v_cndmask_b32_e64 v15, v15, v17, s[10:11]
	v_mul_f32_e32 v16, 0x37800000, v15
	v_cndmask_b32_e64 v15, v15, v16, s[8:9]
	v_cmp_class_f32_e64 s[8:9], v4, v12
	v_cndmask_b32_e64 v4, v15, v4, s[8:9]
	s_cbranch_vccnz .LBB168_5
; %bb.4:                                ;   in Loop: Header=BB168_3 Depth=1
	v_mov_b32_e32 v15, s15
	v_add_co_u32_e32 v16, vcc, s14, v2
	v_addc_co_u32_e32 v17, vcc, v15, v1, vcc
	global_load_ushort v15, v[16:17], off
	s_waitcnt vmcnt(0)
	v_cvt_f32_f16_e32 v15, v15
	v_add_f32_e32 v4, v4, v15
.LBB168_5:                              ;   in Loop: Header=BB168_3 Depth=1
	v_cvt_f32_f16_sdwa v15, v5 dst_sel:DWORD dst_unused:UNUSED_PAD src0_sel:WORD_1
	v_mul_f32_e32 v16, 0x3fb8aa3b, v15
	v_cmp_gt_f32_e32 vcc, s31, v16
	v_cndmask_b32_e32 v17, 0, v8, vcc
	v_fma_mix_f32 v17, v5, s30, v17 op_sel:[1,0,0] op_sel_hi:[1,0,0]
	v_exp_f32_e32 v17, v17
	v_cndmask_b32_e32 v16, 1.0, v9, vcc
	v_fma_f32 v16, v17, v16, 1.0
	v_cmp_gt_f32_e32 vcc, s33, v16
	v_cndmask_b32_e32 v17, 1.0, v10, vcc
	v_mul_f32_e32 v16, v16, v17
	v_log_f32_e32 v16, v16
	v_cndmask_b32_e32 v17, 0, v11, vcc
	v_cmp_gt_f16_sdwa vcc, v5, s29 src0_sel:WORD_1 src1_sel:DWORD
	v_sub_f32_e32 v16, v16, v17
	v_mul_f32_e32 v16, 0x3f317218, v16
	v_cndmask_b32_e32 v5, v16, v15, vcc
	v_mul_f32_e32 v15, 0x4f800000, v5
	v_cmp_gt_f32_e64 s[8:9], s34, v5
	v_cndmask_b32_e64 v5, v5, v15, s[8:9]
	v_sqrt_f32_e32 v15, v5
	s_and_b64 vcc, exec, s[2:3]
	v_add_u32_e32 v16, -1, v15
	v_add_u32_e32 v17, 1, v15
	v_fma_f32 v18, -v16, v15, v5
	v_fma_f32 v19, -v17, v15, v5
	v_cmp_ge_f32_e64 s[10:11], 0, v18
	v_cndmask_b32_e64 v15, v15, v16, s[10:11]
	v_cmp_lt_f32_e64 s[10:11], 0, v19
	v_cndmask_b32_e64 v15, v15, v17, s[10:11]
	v_mul_f32_e32 v16, 0x37800000, v15
	v_cndmask_b32_e64 v15, v15, v16, s[8:9]
	v_cmp_class_f32_e64 s[8:9], v5, v12
	v_cndmask_b32_e64 v5, v15, v5, s[8:9]
	s_cbranch_vccnz .LBB168_2
; %bb.6:                                ;   in Loop: Header=BB168_3 Depth=1
	v_mov_b32_e32 v15, s15
	v_add_co_u32_e32 v16, vcc, s14, v2
	v_addc_co_u32_e32 v17, vcc, v15, v1, vcc
	global_load_ushort v15, v[16:17], off offset:2
	s_waitcnt vmcnt(0)
	v_cvt_f32_f16_e32 v15, v15
	v_add_f32_e32 v5, v5, v15
	s_branch .LBB168_2
.LBB168_7:
	s_or_b64 exec, exec, s[12:13]
	v_lshl_add_u32 v2, s7, 1, v0
	v_cmp_gt_i32_e32 vcc, s20, v2
	s_and_saveexec_b64 s[10:11], vcc
	s_cbranch_execz .LBB168_12
; %bb.8:
	s_load_dword s8, s[4:5], 0x44
	s_cmp_lg_u64 s[14:15], 0
	s_cselect_b64 s[2:3], -1, 0
	s_lshl_b32 s9, s7, 3
	v_cndmask_b32_e64 v3, 0, 1, s[2:3]
	s_waitcnt lgkmcnt(0)
	s_and_b32 s22, s8, 0xffff
	s_add_i32 s8, s9, 0
	s_mov_b64 s[12:13], 0
	v_lshl_add_u32 v1, v0, 2, s8
	s_lshl_b32 s23, s22, 2
	v_mov_b32_e32 v7, s25
	s_movk_i32 s25, 0x4d00
	s_mov_b32 s26, 0x3fb8aa3b
	s_mov_b32 s27, 0xc2fc0000
	v_mov_b32_e32 v8, 0x42800000
	v_mov_b32_e32 v9, 0x1f800000
	s_mov_b32 s28, 0x800000
	v_mov_b32_e32 v10, 0x4f800000
	v_mov_b32_e32 v11, 0x42000000
	s_mov_b32 s29, 0xf800000
	v_mov_b32_e32 v12, 0x260
	v_cmp_ne_u32_e64 s[2:3], 1, v3
	s_branch .LBB168_10
.LBB168_9:                              ;   in Loop: Header=BB168_10 Depth=1
	v_add_u32_e32 v2, s22, v2
	v_cmp_le_i32_e32 vcc, s20, v2
	s_or_b64 s[12:13], vcc, s[12:13]
	v_add_u32_e32 v1, s23, v1
	s_andn2_b64 exec, exec, s[12:13]
	s_cbranch_execz .LBB168_12
.LBB168_10:                             ; =>This Inner Loop Header: Depth=1
	v_ashrrev_i32_e32 v3, 31, v2
	v_lshlrev_b64 v[4:5], 1, v[2:3]
	v_add_co_u32_e32 v14, vcc, s24, v4
	v_addc_co_u32_e32 v15, vcc, v7, v5, vcc
	global_load_ushort v3, v[14:15], off
	s_waitcnt vmcnt(0)
	v_cvt_f32_f16_e32 v13, v3
	v_mul_f32_e32 v14, 0x3fb8aa3b, v13
	v_cmp_gt_f32_e32 vcc, s27, v14
	v_cndmask_b32_e32 v14, 0, v8, vcc
	v_fma_mix_f32 v14, v3, s26, v14 op_sel_hi:[1,0,0]
	v_exp_f32_e32 v14, v14
	v_cndmask_b32_e32 v15, 1.0, v9, vcc
	v_fma_f32 v14, v14, v15, 1.0
	v_cmp_gt_f32_e32 vcc, s28, v14
	v_cndmask_b32_e32 v15, 1.0, v10, vcc
	v_mul_f32_e32 v14, v14, v15
	v_log_f32_e32 v14, v14
	v_cndmask_b32_e32 v15, 0, v11, vcc
	v_cmp_lt_f16_e32 vcc, s25, v3
	v_sub_f32_e32 v14, v14, v15
	v_mul_f32_e32 v14, 0x3f317218, v14
	v_cndmask_b32_e32 v3, v14, v13, vcc
	v_mul_f32_e32 v13, 0x4f800000, v3
	v_cmp_gt_f32_e32 vcc, s29, v3
	v_cndmask_b32_e32 v3, v3, v13, vcc
	v_sqrt_f32_e32 v13, v3
	v_add_u32_e32 v14, -1, v13
	v_add_u32_e32 v15, 1, v13
	v_fma_f32 v16, -v14, v13, v3
	v_fma_f32 v17, -v15, v13, v3
	v_cmp_ge_f32_e64 s[8:9], 0, v16
	v_cndmask_b32_e64 v13, v13, v14, s[8:9]
	v_cmp_lt_f32_e64 s[8:9], 0, v17
	v_cndmask_b32_e64 v13, v13, v15, s[8:9]
	v_mul_f32_e32 v14, 0x37800000, v13
	v_cndmask_b32_e32 v13, v13, v14, vcc
	v_cmp_class_f32_e32 vcc, v3, v12
	v_cndmask_b32_e32 v3, v13, v3, vcc
	s_and_b64 vcc, exec, s[2:3]
	ds_write_b32 v1, v3
	s_cbranch_vccnz .LBB168_9
; %bb.11:                               ;   in Loop: Header=BB168_10 Depth=1
	v_mov_b32_e32 v13, s15
	v_add_co_u32_e32 v4, vcc, s14, v4
	v_addc_co_u32_e32 v5, vcc, v13, v5, vcc
	global_load_ushort v4, v[4:5], off
	s_waitcnt vmcnt(0)
	v_cvt_f32_f16_e32 v4, v4
	v_add_f32_e32 v3, v3, v4
	ds_write_b32 v1, v3
	s_branch .LBB168_9
.LBB168_12:
	s_or_b64 exec, exec, s[10:11]
	s_cmp_lt_i32 s21, 1
	s_waitcnt lgkmcnt(0)
	s_barrier
	s_cbranch_scc1 .LBB168_21
; %bb.13:
	s_add_u32 s2, s4, 56
	s_addc_u32 s3, s5, 0
	v_mbcnt_lo_u32_b32 v2, -1, 0
	s_cmp_lg_u64 s[14:15], 0
	v_mbcnt_hi_u32_b32 v2, -1, v2
	v_bfrev_b32_e32 v5, 0.5
	s_cselect_b64 s[8:9], -1, 0
	v_lshlrev_b32_e32 v3, 1, v0
	s_mov_b32 s20, 0
	v_mov_b32_e32 v1, 0
	v_mov_b32_e32 v4, 0
	v_lshl_or_b32 v5, v2, 2, v5
	v_mov_b32_e32 v7, 0xff800000
	v_mov_b32_e32 v2, 0
	s_branch .LBB168_15
.LBB168_14:                             ;   in Loop: Header=BB168_15 Depth=1
	s_lshl_b32 s11, s10, 2
	s_add_i32 s11, s11, 0
	v_mov_b32_e32 v8, s11
	ds_write_b32 v8, v7
	v_mov_b32_e32 v8, s10
	v_cmp_eq_u32_e32 vcc, s20, v0
	s_add_i32 s20, s20, 1
	v_cndmask_b32_e32 v1, v1, v8, vcc
	s_cmp_eq_u32 s20, s21
	v_cndmask_b32_e32 v2, v2, v10, vcc
	s_cbranch_scc1 .LBB168_22
.LBB168_15:                             ; =>This Loop Header: Depth=1
                                        ;     Child Loop BB168_17 Depth 2
	v_mov_b32_e32 v8, s20
	v_mov_b32_e32 v9, 0xff800000
	s_and_saveexec_b64 s[10:11], s[0:1]
	s_cbranch_execz .LBB168_19
; %bb.16:                               ;   in Loop: Header=BB168_15 Depth=1
	s_load_dword s22, s[2:3], 0xc
	s_mov_b64 s[12:13], 0
	v_mov_b32_e32 v8, s20
	v_mov_b32_e32 v9, 0xff800000
	;; [unrolled: 1-line block ×3, first 2 shown]
	s_waitcnt lgkmcnt(0)
	s_and_b32 s22, s22, 0xffff
	s_lshl_b32 s23, s22, 1
	s_lshl_b32 s24, s22, 3
	v_mov_b32_e32 v11, v3
	v_mov_b32_e32 v12, v0
.LBB168_17:                             ;   Parent Loop BB168_15 Depth=1
                                        ; =>  This Inner Loop Header: Depth=2
	ds_read_b64 v[14:15], v10
	v_add_u32_e32 v12, s22, v12
	v_cmp_le_i32_e32 vcc, s7, v12
	s_or_b64 s[12:13], vcc, s[12:13]
	v_add_u32_e32 v13, 1, v11
	s_waitcnt lgkmcnt(0)
	v_cmp_gt_f32_e32 vcc, v14, v9
	v_cndmask_b32_e32 v9, v9, v14, vcc
	v_cndmask_b32_e32 v8, v8, v11, vcc
	v_cmp_gt_f32_e32 vcc, v15, v9
	v_add_u32_e32 v10, s24, v10
	v_cndmask_b32_e32 v9, v9, v15, vcc
	v_add_u32_e32 v11, s23, v11
	v_cndmask_b32_e32 v8, v8, v13, vcc
	s_andn2_b64 exec, exec, s[12:13]
	s_cbranch_execnz .LBB168_17
; %bb.18:                               ;   in Loop: Header=BB168_15 Depth=1
	s_or_b64 exec, exec, s[12:13]
.LBB168_19:                             ;   in Loop: Header=BB168_15 Depth=1
	s_or_b64 exec, exec, s[10:11]
	;;#ASMSTART
	v_max_f32 v10, v9, v9 quad_perm:[1,0,3,2] row_mask:0xf bank_mask:0xf bound_ctrl:1
	;;#ASMEND
	;;#ASMSTART
	v_max_f32 v11, v10, v10 quad_perm:[2,3,0,1] row_mask:0xf bank_mask:0xf bound_ctrl:1
	;;#ASMEND
	;;#ASMSTART
	v_max_f32 v10, v11, v11 row_half_mirror row_mask:0xf bank_mask:0xf bound_ctrl:1
	;;#ASMEND
	;;#ASMSTART
	v_max_f32 v11, v10, v10 row_mirror row_mask:0xf bank_mask:0xf bound_ctrl:1
	;;#ASMEND
	;;#ASMSTART
	v_max_f32 v10, v11, v11 row_ror:4 row_mask:0xf bank_mask:0xf bound_ctrl:1
	;;#ASMEND
	;;#ASMSTART
	v_max_f32 v11, v10, v10 row_ror:8 row_mask:0xf bank_mask:0xf bound_ctrl:1
	;;#ASMEND
	;;#ASMSTART
	v_max_f32 v10, v11, v11 row_bcast:15 row_mask:0xf bank_mask:0xf bound_ctrl:1
	;;#ASMEND
	;;#ASMSTART
	v_max_f32 v11, v10, v10 row_bcast:31 row_mask:0xf bank_mask:0xf bound_ctrl:1
	;;#ASMEND
	ds_bpermute_b32 v10, v5, v11
	s_waitcnt lgkmcnt(0)
	v_cmp_eq_f32_e32 vcc, v9, v10
	s_ff1_i32_b64 s10, vcc
	s_cmp_lg_u64 vcc, 0
	s_cselect_b32 s10, s10, 0
	s_and_b64 vcc, exec, s[8:9]
	v_readlane_b32 s10, v8, s10
	s_cbranch_vccz .LBB168_14
; %bb.20:                               ;   in Loop: Header=BB168_15 Depth=1
	s_ashr_i32 s11, s10, 31
	s_lshl_b64 s[12:13], s[10:11], 1
	s_add_u32 s12, s14, s12
	s_addc_u32 s13, s15, s13
	global_load_ushort v8, v4, s[12:13]
	s_waitcnt vmcnt(0)
	v_cvt_f32_f16_e32 v8, v8
	v_sub_f32_e32 v10, v10, v8
	s_branch .LBB168_14
.LBB168_21:
	v_mov_b32_e32 v2, 0
	v_mov_b32_e32 v1, 0
.LBB168_22:
	v_cmp_gt_i32_e32 vcc, s21, v0
	s_and_saveexec_b64 s[0:1], vcc
	s_cbranch_execz .LBB168_25
; %bb.23:
	s_load_dword s2, s[4:5], 0x34
	s_load_dwordx2 s[0:1], s[4:5], 0x20
	s_ashr_i32 s3, s6, 31
	s_load_dword s4, s[4:5], 0x44
	v_mov_b32_e32 v4, s17
	s_waitcnt lgkmcnt(0)
	v_mul_f32_e32 v2, s2, v2
	s_mul_i32 s1, s6, s1
	s_mul_hi_u32 s2, s6, s0
	s_add_i32 s1, s2, s1
	s_mul_i32 s3, s3, s0
	s_add_i32 s5, s1, s3
	s_mul_i32 s2, s6, s0
	s_and_b32 s3, s4, 0xffff
	s_mov_b64 s[0:1], 0
	v_mov_b32_e32 v3, s5
	v_mov_b32_e32 v5, s19
.LBB168_24:                             ; =>This Inner Loop Header: Depth=1
	v_ashrrev_i32_e32 v7, 31, v0
	v_add_co_u32_e32 v6, vcc, s2, v0
	v_addc_co_u32_e32 v7, vcc, v3, v7, vcc
	v_add_u32_e32 v0, s3, v0
	v_cmp_le_i32_e32 vcc, s21, v0
	v_lshlrev_b64 v[6:7], 2, v[6:7]
	s_or_b64 s[0:1], vcc, s[0:1]
	v_add_co_u32_e32 v8, vcc, s16, v6
	v_addc_co_u32_e32 v9, vcc, v4, v7, vcc
	v_add_co_u32_e32 v6, vcc, s18, v6
	v_addc_co_u32_e32 v7, vcc, v5, v7, vcc
	global_store_dword v[8:9], v2, off
	global_store_dword v[6:7], v1, off
	s_andn2_b64 exec, exec, s[0:1]
	s_cbranch_execnz .LBB168_24
.LBB168_25:
	s_endpgm
	.section	.rodata,"a",@progbits
	.p2align	6, 0x0
	.amdhsa_kernel _ZN5aiter20topk_softplus_kernelI6__halfS1_Dv2_fLb0ELi0EEEvPKT_PKT0_PfPimiiif
		.amdhsa_group_segment_fixed_size 0
		.amdhsa_private_segment_fixed_size 0
		.amdhsa_kernarg_size 312
		.amdhsa_user_sgpr_count 6
		.amdhsa_user_sgpr_private_segment_buffer 1
		.amdhsa_user_sgpr_dispatch_ptr 0
		.amdhsa_user_sgpr_queue_ptr 0
		.amdhsa_user_sgpr_kernarg_segment_ptr 1
		.amdhsa_user_sgpr_dispatch_id 0
		.amdhsa_user_sgpr_flat_scratch_init 0
		.amdhsa_user_sgpr_kernarg_preload_length 0
		.amdhsa_user_sgpr_kernarg_preload_offset 0
		.amdhsa_user_sgpr_private_segment_size 0
		.amdhsa_uses_dynamic_stack 0
		.amdhsa_system_sgpr_private_segment_wavefront_offset 0
		.amdhsa_system_sgpr_workgroup_id_x 1
		.amdhsa_system_sgpr_workgroup_id_y 0
		.amdhsa_system_sgpr_workgroup_id_z 0
		.amdhsa_system_sgpr_workgroup_info 0
		.amdhsa_system_vgpr_workitem_id 0
		.amdhsa_next_free_vgpr 20
		.amdhsa_next_free_sgpr 35
		.amdhsa_accum_offset 20
		.amdhsa_reserve_vcc 1
		.amdhsa_reserve_flat_scratch 0
		.amdhsa_float_round_mode_32 0
		.amdhsa_float_round_mode_16_64 0
		.amdhsa_float_denorm_mode_32 3
		.amdhsa_float_denorm_mode_16_64 3
		.amdhsa_dx10_clamp 1
		.amdhsa_ieee_mode 1
		.amdhsa_fp16_overflow 0
		.amdhsa_tg_split 0
		.amdhsa_exception_fp_ieee_invalid_op 0
		.amdhsa_exception_fp_denorm_src 0
		.amdhsa_exception_fp_ieee_div_zero 0
		.amdhsa_exception_fp_ieee_overflow 0
		.amdhsa_exception_fp_ieee_underflow 0
		.amdhsa_exception_fp_ieee_inexact 0
		.amdhsa_exception_int_div_zero 0
	.end_amdhsa_kernel
	.section	.text._ZN5aiter20topk_softplus_kernelI6__halfS1_Dv2_fLb0ELi0EEEvPKT_PKT0_PfPimiiif,"axG",@progbits,_ZN5aiter20topk_softplus_kernelI6__halfS1_Dv2_fLb0ELi0EEEvPKT_PKT0_PfPimiiif,comdat
.Lfunc_end168:
	.size	_ZN5aiter20topk_softplus_kernelI6__halfS1_Dv2_fLb0ELi0EEEvPKT_PKT0_PfPimiiif, .Lfunc_end168-_ZN5aiter20topk_softplus_kernelI6__halfS1_Dv2_fLb0ELi0EEEvPKT_PKT0_PfPimiiif
                                        ; -- End function
	.section	.AMDGPU.csdata,"",@progbits
; Kernel info:
; codeLenInByte = 1892
; NumSgprs: 39
; NumVgprs: 20
; NumAgprs: 0
; TotalNumVgprs: 20
; ScratchSize: 0
; MemoryBound: 0
; FloatMode: 240
; IeeeMode: 1
; LDSByteSize: 0 bytes/workgroup (compile time only)
; SGPRBlocks: 4
; VGPRBlocks: 2
; NumSGPRsForWavesPerEU: 39
; NumVGPRsForWavesPerEU: 20
; AccumOffset: 20
; Occupancy: 8
; WaveLimiterHint : 0
; COMPUTE_PGM_RSRC2:SCRATCH_EN: 0
; COMPUTE_PGM_RSRC2:USER_SGPR: 6
; COMPUTE_PGM_RSRC2:TRAP_HANDLER: 0
; COMPUTE_PGM_RSRC2:TGID_X_EN: 1
; COMPUTE_PGM_RSRC2:TGID_Y_EN: 0
; COMPUTE_PGM_RSRC2:TGID_Z_EN: 0
; COMPUTE_PGM_RSRC2:TIDIG_COMP_CNT: 0
; COMPUTE_PGM_RSRC3_GFX90A:ACCUM_OFFSET: 4
; COMPUTE_PGM_RSRC3_GFX90A:TG_SPLIT: 0
	.section	.text._ZN5aiter20topk_softplus_kernelI6__halfS1_Dv1_fLb1ELi0EEEvPKT_PKT0_PfPimiiif,"axG",@progbits,_ZN5aiter20topk_softplus_kernelI6__halfS1_Dv1_fLb1ELi0EEEvPKT_PKT0_PfPimiiif,comdat
	.protected	_ZN5aiter20topk_softplus_kernelI6__halfS1_Dv1_fLb1ELi0EEEvPKT_PKT0_PfPimiiif ; -- Begin function _ZN5aiter20topk_softplus_kernelI6__halfS1_Dv1_fLb1ELi0EEEvPKT_PKT0_PfPimiiif
	.globl	_ZN5aiter20topk_softplus_kernelI6__halfS1_Dv1_fLb1ELi0EEEvPKT_PKT0_PfPimiiif
	.p2align	8
	.type	_ZN5aiter20topk_softplus_kernelI6__halfS1_Dv1_fLb1ELi0EEEvPKT_PKT0_PfPimiiif,@function
_ZN5aiter20topk_softplus_kernelI6__halfS1_Dv1_fLb1ELi0EEEvPKT_PKT0_PfPimiiif: ; @_ZN5aiter20topk_softplus_kernelI6__halfS1_Dv1_fLb1ELi0EEEvPKT_PKT0_PfPimiiif
; %bb.0:
	s_load_dwordx2 s[20:21], s[4:5], 0x28
	s_load_dwordx8 s[12:19], s[4:5], 0x0
	v_lshl_add_u32 v1, v0, 2, 0
	s_waitcnt lgkmcnt(0)
	s_mul_i32 s2, s6, s20
	s_ashr_i32 s3, s2, 31
	s_lshl_b64 s[2:3], s[2:3], 1
	s_add_u32 s7, s12, s2
	v_cmp_gt_i32_e64 s[0:1], s20, v0
	s_addc_u32 s24, s13, s3
	s_and_saveexec_b64 s[12:13], s[0:1]
	s_cbranch_execz .LBB169_5
; %bb.1:
	s_load_dword s8, s[4:5], 0x44
	s_cmp_lg_u64 s[14:15], 0
	s_cselect_b64 s[2:3], -1, 0
	v_cndmask_b32_e64 v2, 0, 1, s[2:3]
	s_mov_b64 s[22:23], 0
	s_waitcnt lgkmcnt(0)
	s_and_b32 s25, s8, 0xffff
	v_lshl_add_u32 v6, v0, 2, 0
	s_lshl_b32 s26, s25, 2
	v_mov_b32_e32 v7, s24
	s_movk_i32 s27, 0x4d00
	s_mov_b32 s28, 0x3fb8aa3b
	s_mov_b32 s29, 0xc2fc0000
	v_mov_b32_e32 v8, 0x42800000
	v_mov_b32_e32 v9, 0x1f800000
	s_mov_b32 s30, 0x800000
	v_mov_b32_e32 v10, 0x4f800000
	v_mov_b32_e32 v11, 0x42000000
	s_mov_b32 s31, 0xf800000
	v_mov_b32_e32 v12, 0x260
	v_cmp_ne_u32_e64 s[2:3], 1, v2
	v_mov_b32_e32 v2, v0
	s_branch .LBB169_3
.LBB169_2:                              ;   in Loop: Header=BB169_3 Depth=1
	v_add_u32_e32 v2, s25, v2
	v_cmp_le_i32_e32 vcc, s20, v2
	ds_write_b32 v6, v3
	s_or_b64 s[22:23], vcc, s[22:23]
	v_add_u32_e32 v6, s26, v6
	s_andn2_b64 exec, exec, s[22:23]
	s_cbranch_execz .LBB169_5
.LBB169_3:                              ; =>This Inner Loop Header: Depth=1
	v_ashrrev_i32_e32 v3, 31, v2
	v_lshlrev_b64 v[4:5], 1, v[2:3]
	v_add_co_u32_e32 v14, vcc, s7, v4
	v_addc_co_u32_e32 v15, vcc, v7, v5, vcc
	global_load_ushort v3, v[14:15], off
	s_waitcnt vmcnt(0)
	v_cvt_f32_f16_e32 v13, v3
	v_mul_f32_e32 v14, 0x3fb8aa3b, v13
	v_cmp_gt_f32_e32 vcc, s29, v14
	v_cndmask_b32_e32 v14, 0, v8, vcc
	v_fma_mix_f32 v14, v3, s28, v14 op_sel_hi:[1,0,0]
	v_exp_f32_e32 v14, v14
	v_cndmask_b32_e32 v15, 1.0, v9, vcc
	v_fma_f32 v14, v14, v15, 1.0
	v_cmp_gt_f32_e32 vcc, s30, v14
	v_cndmask_b32_e32 v15, 1.0, v10, vcc
	v_mul_f32_e32 v14, v14, v15
	v_log_f32_e32 v14, v14
	v_cndmask_b32_e32 v15, 0, v11, vcc
	v_cmp_lt_f16_e32 vcc, s27, v3
	v_sub_f32_e32 v14, v14, v15
	v_mul_f32_e32 v14, 0x3f317218, v14
	v_cndmask_b32_e32 v3, v14, v13, vcc
	v_mul_f32_e32 v13, 0x4f800000, v3
	v_cmp_gt_f32_e64 s[8:9], s31, v3
	v_cndmask_b32_e64 v3, v3, v13, s[8:9]
	v_sqrt_f32_e32 v13, v3
	s_and_b64 vcc, exec, s[2:3]
	v_add_u32_e32 v14, -1, v13
	v_add_u32_e32 v15, 1, v13
	v_fma_f32 v16, -v14, v13, v3
	v_fma_f32 v17, -v15, v13, v3
	v_cmp_ge_f32_e64 s[10:11], 0, v16
	v_cndmask_b32_e64 v13, v13, v14, s[10:11]
	v_cmp_lt_f32_e64 s[10:11], 0, v17
	v_cndmask_b32_e64 v13, v13, v15, s[10:11]
	v_mul_f32_e32 v14, 0x37800000, v13
	v_cndmask_b32_e64 v13, v13, v14, s[8:9]
	v_cmp_class_f32_e64 s[8:9], v3, v12
	v_cndmask_b32_e64 v3, v13, v3, s[8:9]
	s_cbranch_vccnz .LBB169_2
; %bb.4:                                ;   in Loop: Header=BB169_3 Depth=1
	v_mov_b32_e32 v13, s15
	v_add_co_u32_e32 v4, vcc, s14, v4
	v_addc_co_u32_e32 v5, vcc, v13, v5, vcc
	global_load_ushort v4, v[4:5], off
	s_waitcnt vmcnt(0)
	v_cvt_f32_f16_e32 v4, v4
	v_add_f32_e32 v3, v3, v4
	s_branch .LBB169_2
.LBB169_5:
	s_or_b64 exec, exec, s[12:13]
	v_add_u32_e32 v2, s20, v0
	v_cmp_gt_i32_e32 vcc, s20, v2
	s_and_saveexec_b64 s[10:11], vcc
	s_cbranch_execz .LBB169_10
; %bb.6:
	s_load_dword s8, s[4:5], 0x44
	s_cmp_lg_u64 s[14:15], 0
	s_cselect_b64 s[2:3], -1, 0
	v_cndmask_b32_e64 v3, 0, 1, s[2:3]
	s_mov_b64 s[12:13], 0
	s_waitcnt lgkmcnt(0)
	s_and_b32 s22, s8, 0xffff
	v_lshl_add_u32 v6, v2, 2, 0
	s_lshl_b32 s23, s22, 2
	v_mov_b32_e32 v7, s24
	s_movk_i32 s24, 0x4d00
	s_mov_b32 s25, 0x3fb8aa3b
	s_mov_b32 s26, 0xc2fc0000
	v_mov_b32_e32 v8, 0x42800000
	v_mov_b32_e32 v9, 0x1f800000
	s_mov_b32 s27, 0x800000
	v_mov_b32_e32 v10, 0x4f800000
	v_mov_b32_e32 v11, 0x42000000
	s_mov_b32 s28, 0xf800000
	v_mov_b32_e32 v12, 0x260
	v_cmp_ne_u32_e64 s[2:3], 1, v3
	s_branch .LBB169_8
.LBB169_7:                              ;   in Loop: Header=BB169_8 Depth=1
	v_add_u32_e32 v2, s22, v2
	v_cmp_le_i32_e32 vcc, s20, v2
	s_or_b64 s[12:13], vcc, s[12:13]
	v_add_u32_e32 v6, s23, v6
	s_andn2_b64 exec, exec, s[12:13]
	s_cbranch_execz .LBB169_10
.LBB169_8:                              ; =>This Inner Loop Header: Depth=1
	v_ashrrev_i32_e32 v3, 31, v2
	v_lshlrev_b64 v[4:5], 1, v[2:3]
	v_add_co_u32_e32 v14, vcc, s7, v4
	v_addc_co_u32_e32 v15, vcc, v7, v5, vcc
	global_load_ushort v3, v[14:15], off
	s_waitcnt vmcnt(0)
	v_cvt_f32_f16_e32 v13, v3
	v_mul_f32_e32 v14, 0x3fb8aa3b, v13
	v_cmp_gt_f32_e32 vcc, s26, v14
	v_cndmask_b32_e32 v14, 0, v8, vcc
	v_fma_mix_f32 v14, v3, s25, v14 op_sel_hi:[1,0,0]
	v_exp_f32_e32 v14, v14
	v_cndmask_b32_e32 v15, 1.0, v9, vcc
	v_fma_f32 v14, v14, v15, 1.0
	v_cmp_gt_f32_e32 vcc, s27, v14
	v_cndmask_b32_e32 v15, 1.0, v10, vcc
	v_mul_f32_e32 v14, v14, v15
	v_log_f32_e32 v14, v14
	v_cndmask_b32_e32 v15, 0, v11, vcc
	v_cmp_lt_f16_e32 vcc, s24, v3
	v_sub_f32_e32 v14, v14, v15
	v_mul_f32_e32 v14, 0x3f317218, v14
	v_cndmask_b32_e32 v3, v14, v13, vcc
	v_mul_f32_e32 v13, 0x4f800000, v3
	v_cmp_gt_f32_e32 vcc, s28, v3
	v_cndmask_b32_e32 v3, v3, v13, vcc
	v_sqrt_f32_e32 v13, v3
	v_add_u32_e32 v14, -1, v13
	v_add_u32_e32 v15, 1, v13
	v_fma_f32 v16, -v14, v13, v3
	v_fma_f32 v17, -v15, v13, v3
	v_cmp_ge_f32_e64 s[8:9], 0, v16
	v_cndmask_b32_e64 v13, v13, v14, s[8:9]
	v_cmp_lt_f32_e64 s[8:9], 0, v17
	v_cndmask_b32_e64 v13, v13, v15, s[8:9]
	v_mul_f32_e32 v14, 0x37800000, v13
	v_cndmask_b32_e32 v13, v13, v14, vcc
	v_cmp_class_f32_e32 vcc, v3, v12
	v_cndmask_b32_e32 v3, v13, v3, vcc
	s_and_b64 vcc, exec, s[2:3]
	ds_write_b32 v6, v3
	s_cbranch_vccnz .LBB169_7
; %bb.9:                                ;   in Loop: Header=BB169_8 Depth=1
	v_mov_b32_e32 v13, s15
	v_add_co_u32_e32 v4, vcc, s14, v4
	v_addc_co_u32_e32 v5, vcc, v13, v5, vcc
	global_load_ushort v4, v[4:5], off
	s_waitcnt vmcnt(0)
	v_cvt_f32_f16_e32 v4, v4
	v_add_f32_e32 v3, v3, v4
	ds_write_b32 v6, v3
	s_branch .LBB169_7
.LBB169_10:
	s_or_b64 exec, exec, s[10:11]
	s_cmp_lt_i32 s21, 1
	v_mov_b32_e32 v3, 0
	s_waitcnt lgkmcnt(0)
	s_barrier
	s_cbranch_scc1 .LBB169_19
; %bb.11:
	s_add_u32 s2, s4, 56
	s_addc_u32 s3, s5, 0
	v_mbcnt_lo_u32_b32 v2, -1, 0
	s_cmp_lg_u64 s[14:15], 0
	v_mbcnt_hi_u32_b32 v2, -1, v2
	v_bfrev_b32_e32 v4, 0.5
	s_cselect_b64 s[8:9], -1, 0
	s_mov_b32 s7, 0
	v_mov_b32_e32 v3, 0
	v_lshl_or_b32 v5, v2, 2, v4
	v_mov_b32_e32 v6, 0
	v_mov_b32_e32 v7, 0xff800000
	;; [unrolled: 1-line block ×4, first 2 shown]
	s_branch .LBB169_13
.LBB169_12:                             ;   in Loop: Header=BB169_13 Depth=1
	s_lshl_b32 s11, s10, 2
	s_add_i32 s11, s11, 0
	v_mov_b32_e32 v8, s11
	ds_write_b32 v8, v7
	v_mov_b32_e32 v8, s10
	v_cmp_eq_u32_e32 vcc, s7, v0
	s_add_i32 s7, s7, 1
	v_cndmask_b32_e32 v2, v2, v8, vcc
	v_cndmask_b32_e32 v3, v3, v10, vcc
	s_cmp_eq_u32 s7, s21
	v_add_f32_e32 v4, v4, v10
	s_cbranch_scc1 .LBB169_20
.LBB169_13:                             ; =>This Loop Header: Depth=1
                                        ;     Child Loop BB169_15 Depth 2
	v_mov_b32_e32 v8, s7
	v_mov_b32_e32 v9, 0xff800000
	s_and_saveexec_b64 s[10:11], s[0:1]
	s_cbranch_execz .LBB169_17
; %bb.14:                               ;   in Loop: Header=BB169_13 Depth=1
	s_load_dword s22, s[2:3], 0xc
	s_mov_b64 s[12:13], 0
	v_mov_b32_e32 v8, s7
	v_mov_b32_e32 v9, 0xff800000
	;; [unrolled: 1-line block ×3, first 2 shown]
	s_waitcnt lgkmcnt(0)
	s_and_b32 s22, s22, 0xffff
	s_lshl_b32 s23, s22, 2
	v_mov_b32_e32 v11, v0
.LBB169_15:                             ;   Parent Loop BB169_13 Depth=1
                                        ; =>  This Inner Loop Header: Depth=2
	ds_read_b32 v12, v10
	v_add_u32_e32 v10, s23, v10
	s_waitcnt lgkmcnt(0)
	v_cmp_gt_f32_e32 vcc, v12, v9
	v_cndmask_b32_e32 v8, v8, v11, vcc
	v_add_u32_e32 v11, s22, v11
	v_cndmask_b32_e32 v9, v9, v12, vcc
	v_cmp_le_i32_e32 vcc, s20, v11
	s_or_b64 s[12:13], vcc, s[12:13]
	s_andn2_b64 exec, exec, s[12:13]
	s_cbranch_execnz .LBB169_15
; %bb.16:                               ;   in Loop: Header=BB169_13 Depth=1
	s_or_b64 exec, exec, s[12:13]
.LBB169_17:                             ;   in Loop: Header=BB169_13 Depth=1
	s_or_b64 exec, exec, s[10:11]
	;;#ASMSTART
	v_max_f32 v10, v9, v9 quad_perm:[1,0,3,2] row_mask:0xf bank_mask:0xf bound_ctrl:1
	;;#ASMEND
	;;#ASMSTART
	v_max_f32 v11, v10, v10 quad_perm:[2,3,0,1] row_mask:0xf bank_mask:0xf bound_ctrl:1
	;;#ASMEND
	;;#ASMSTART
	v_max_f32 v10, v11, v11 row_half_mirror row_mask:0xf bank_mask:0xf bound_ctrl:1
	;;#ASMEND
	;;#ASMSTART
	v_max_f32 v11, v10, v10 row_mirror row_mask:0xf bank_mask:0xf bound_ctrl:1
	;;#ASMEND
	;;#ASMSTART
	v_max_f32 v10, v11, v11 row_ror:4 row_mask:0xf bank_mask:0xf bound_ctrl:1
	;;#ASMEND
	;;#ASMSTART
	v_max_f32 v11, v10, v10 row_ror:8 row_mask:0xf bank_mask:0xf bound_ctrl:1
	;;#ASMEND
	;;#ASMSTART
	v_max_f32 v10, v11, v11 row_bcast:15 row_mask:0xf bank_mask:0xf bound_ctrl:1
	;;#ASMEND
	;;#ASMSTART
	v_max_f32 v11, v10, v10 row_bcast:31 row_mask:0xf bank_mask:0xf bound_ctrl:1
	;;#ASMEND
	ds_bpermute_b32 v10, v5, v11
	s_waitcnt lgkmcnt(0)
	v_cmp_eq_f32_e32 vcc, v9, v10
	s_ff1_i32_b64 s10, vcc
	s_cmp_lg_u64 vcc, 0
	s_cselect_b32 s10, s10, 0
	s_and_b64 vcc, exec, s[8:9]
	v_readlane_b32 s10, v8, s10
	s_cbranch_vccz .LBB169_12
; %bb.18:                               ;   in Loop: Header=BB169_13 Depth=1
	s_ashr_i32 s11, s10, 31
	s_lshl_b64 s[12:13], s[10:11], 1
	s_add_u32 s12, s14, s12
	s_addc_u32 s13, s15, s13
	global_load_ushort v8, v6, s[12:13]
	s_waitcnt vmcnt(0)
	v_cvt_f32_f16_e32 v8, v8
	v_sub_f32_e32 v10, v10, v8
	s_branch .LBB169_12
.LBB169_19:
	v_mov_b32_e32 v2, 0
	v_mov_b32_e32 v4, 0
.LBB169_20:
	v_cmp_gt_i32_e32 vcc, s21, v0
	s_and_saveexec_b64 s[0:1], vcc
	s_cbranch_execz .LBB169_23
; %bb.21:
	s_load_dword s2, s[4:5], 0x34
	v_max_f32_e32 v1, v4, v4
	v_max_f32_e32 v1, 0x1e3ce508, v1
	s_load_dword s3, s[4:5], 0x44
	s_waitcnt lgkmcnt(0)
	v_div_scale_f32 v4, s[0:1], v1, v1, s2
	s_load_dwordx2 s[0:1], s[4:5], 0x20
	v_rcp_f32_e32 v5, v4
	v_div_scale_f32 v6, vcc, s2, v1, s2
	s_and_b32 s3, s3, 0xffff
	v_fma_f32 v7, -v4, v5, 1.0
	v_fmac_f32_e32 v5, v7, v5
	v_mul_f32_e32 v7, v6, v5
	v_fma_f32 v8, -v4, v7, v6
	v_fmac_f32_e32 v7, v8, v5
	v_fma_f32 v4, -v4, v7, v6
	v_div_fmas_f32 v4, v4, v5, v7
	v_div_fixup_f32 v1, v4, v1, s2
	s_ashr_i32 s2, s6, 31
	s_waitcnt lgkmcnt(0)
	s_mul_i32 s1, s6, s1
	s_mul_hi_u32 s4, s6, s0
	s_add_i32 s1, s4, s1
	s_mul_i32 s2, s2, s0
	s_add_i32 s4, s1, s2
	v_mul_f32_e32 v1, v3, v1
	s_mul_i32 s2, s6, s0
	s_mov_b64 s[0:1], 0
	v_mov_b32_e32 v3, s4
	v_mov_b32_e32 v4, s17
	;; [unrolled: 1-line block ×3, first 2 shown]
.LBB169_22:                             ; =>This Inner Loop Header: Depth=1
	v_ashrrev_i32_e32 v7, 31, v0
	v_add_co_u32_e32 v6, vcc, s2, v0
	v_addc_co_u32_e32 v7, vcc, v3, v7, vcc
	v_add_u32_e32 v0, s3, v0
	v_cmp_le_i32_e32 vcc, s21, v0
	v_lshlrev_b64 v[6:7], 2, v[6:7]
	s_or_b64 s[0:1], vcc, s[0:1]
	v_add_co_u32_e32 v8, vcc, s16, v6
	v_addc_co_u32_e32 v9, vcc, v4, v7, vcc
	v_add_co_u32_e32 v6, vcc, s18, v6
	v_addc_co_u32_e32 v7, vcc, v5, v7, vcc
	global_store_dword v[8:9], v1, off
	global_store_dword v[6:7], v2, off
	s_andn2_b64 exec, exec, s[0:1]
	s_cbranch_execnz .LBB169_22
.LBB169_23:
	s_endpgm
	.section	.rodata,"a",@progbits
	.p2align	6, 0x0
	.amdhsa_kernel _ZN5aiter20topk_softplus_kernelI6__halfS1_Dv1_fLb1ELi0EEEvPKT_PKT0_PfPimiiif
		.amdhsa_group_segment_fixed_size 0
		.amdhsa_private_segment_fixed_size 0
		.amdhsa_kernarg_size 312
		.amdhsa_user_sgpr_count 6
		.amdhsa_user_sgpr_private_segment_buffer 1
		.amdhsa_user_sgpr_dispatch_ptr 0
		.amdhsa_user_sgpr_queue_ptr 0
		.amdhsa_user_sgpr_kernarg_segment_ptr 1
		.amdhsa_user_sgpr_dispatch_id 0
		.amdhsa_user_sgpr_flat_scratch_init 0
		.amdhsa_user_sgpr_kernarg_preload_length 0
		.amdhsa_user_sgpr_kernarg_preload_offset 0
		.amdhsa_user_sgpr_private_segment_size 0
		.amdhsa_uses_dynamic_stack 0
		.amdhsa_system_sgpr_private_segment_wavefront_offset 0
		.amdhsa_system_sgpr_workgroup_id_x 1
		.amdhsa_system_sgpr_workgroup_id_y 0
		.amdhsa_system_sgpr_workgroup_id_z 0
		.amdhsa_system_sgpr_workgroup_info 0
		.amdhsa_system_vgpr_workitem_id 0
		.amdhsa_next_free_vgpr 18
		.amdhsa_next_free_sgpr 32
		.amdhsa_accum_offset 20
		.amdhsa_reserve_vcc 1
		.amdhsa_reserve_flat_scratch 0
		.amdhsa_float_round_mode_32 0
		.amdhsa_float_round_mode_16_64 0
		.amdhsa_float_denorm_mode_32 3
		.amdhsa_float_denorm_mode_16_64 3
		.amdhsa_dx10_clamp 1
		.amdhsa_ieee_mode 1
		.amdhsa_fp16_overflow 0
		.amdhsa_tg_split 0
		.amdhsa_exception_fp_ieee_invalid_op 0
		.amdhsa_exception_fp_denorm_src 0
		.amdhsa_exception_fp_ieee_div_zero 0
		.amdhsa_exception_fp_ieee_overflow 0
		.amdhsa_exception_fp_ieee_underflow 0
		.amdhsa_exception_fp_ieee_inexact 0
		.amdhsa_exception_int_div_zero 0
	.end_amdhsa_kernel
	.section	.text._ZN5aiter20topk_softplus_kernelI6__halfS1_Dv1_fLb1ELi0EEEvPKT_PKT0_PfPimiiif,"axG",@progbits,_ZN5aiter20topk_softplus_kernelI6__halfS1_Dv1_fLb1ELi0EEEvPKT_PKT0_PfPimiiif,comdat
.Lfunc_end169:
	.size	_ZN5aiter20topk_softplus_kernelI6__halfS1_Dv1_fLb1ELi0EEEvPKT_PKT0_PfPimiiif, .Lfunc_end169-_ZN5aiter20topk_softplus_kernelI6__halfS1_Dv1_fLb1ELi0EEEvPKT_PKT0_PfPimiiif
                                        ; -- End function
	.section	.AMDGPU.csdata,"",@progbits
; Kernel info:
; codeLenInByte = 1672
; NumSgprs: 36
; NumVgprs: 18
; NumAgprs: 0
; TotalNumVgprs: 18
; ScratchSize: 0
; MemoryBound: 0
; FloatMode: 240
; IeeeMode: 1
; LDSByteSize: 0 bytes/workgroup (compile time only)
; SGPRBlocks: 4
; VGPRBlocks: 2
; NumSGPRsForWavesPerEU: 36
; NumVGPRsForWavesPerEU: 18
; AccumOffset: 20
; Occupancy: 8
; WaveLimiterHint : 0
; COMPUTE_PGM_RSRC2:SCRATCH_EN: 0
; COMPUTE_PGM_RSRC2:USER_SGPR: 6
; COMPUTE_PGM_RSRC2:TRAP_HANDLER: 0
; COMPUTE_PGM_RSRC2:TGID_X_EN: 1
; COMPUTE_PGM_RSRC2:TGID_Y_EN: 0
; COMPUTE_PGM_RSRC2:TGID_Z_EN: 0
; COMPUTE_PGM_RSRC2:TIDIG_COMP_CNT: 0
; COMPUTE_PGM_RSRC3_GFX90A:ACCUM_OFFSET: 4
; COMPUTE_PGM_RSRC3_GFX90A:TG_SPLIT: 0
	.section	.text._ZN5aiter20topk_softplus_kernelI6__halfS1_Dv1_fLb0ELi0EEEvPKT_PKT0_PfPimiiif,"axG",@progbits,_ZN5aiter20topk_softplus_kernelI6__halfS1_Dv1_fLb0ELi0EEEvPKT_PKT0_PfPimiiif,comdat
	.protected	_ZN5aiter20topk_softplus_kernelI6__halfS1_Dv1_fLb0ELi0EEEvPKT_PKT0_PfPimiiif ; -- Begin function _ZN5aiter20topk_softplus_kernelI6__halfS1_Dv1_fLb0ELi0EEEvPKT_PKT0_PfPimiiif
	.globl	_ZN5aiter20topk_softplus_kernelI6__halfS1_Dv1_fLb0ELi0EEEvPKT_PKT0_PfPimiiif
	.p2align	8
	.type	_ZN5aiter20topk_softplus_kernelI6__halfS1_Dv1_fLb0ELi0EEEvPKT_PKT0_PfPimiiif,@function
_ZN5aiter20topk_softplus_kernelI6__halfS1_Dv1_fLb0ELi0EEEvPKT_PKT0_PfPimiiif: ; @_ZN5aiter20topk_softplus_kernelI6__halfS1_Dv1_fLb0ELi0EEEvPKT_PKT0_PfPimiiif
; %bb.0:
	s_load_dwordx2 s[20:21], s[4:5], 0x28
	s_load_dwordx8 s[12:19], s[4:5], 0x0
	v_lshl_add_u32 v1, v0, 2, 0
	s_waitcnt lgkmcnt(0)
	s_mul_i32 s2, s6, s20
	s_ashr_i32 s3, s2, 31
	s_lshl_b64 s[2:3], s[2:3], 1
	s_add_u32 s7, s12, s2
	v_cmp_gt_i32_e64 s[0:1], s20, v0
	s_addc_u32 s24, s13, s3
	s_and_saveexec_b64 s[12:13], s[0:1]
	s_cbranch_execz .LBB170_5
; %bb.1:
	s_load_dword s8, s[4:5], 0x44
	s_cmp_lg_u64 s[14:15], 0
	s_cselect_b64 s[2:3], -1, 0
	v_cndmask_b32_e64 v2, 0, 1, s[2:3]
	s_mov_b64 s[22:23], 0
	s_waitcnt lgkmcnt(0)
	s_and_b32 s25, s8, 0xffff
	v_lshl_add_u32 v6, v0, 2, 0
	s_lshl_b32 s26, s25, 2
	v_mov_b32_e32 v7, s24
	s_movk_i32 s27, 0x4d00
	s_mov_b32 s28, 0x3fb8aa3b
	s_mov_b32 s29, 0xc2fc0000
	v_mov_b32_e32 v8, 0x42800000
	v_mov_b32_e32 v9, 0x1f800000
	s_mov_b32 s30, 0x800000
	v_mov_b32_e32 v10, 0x4f800000
	v_mov_b32_e32 v11, 0x42000000
	s_mov_b32 s31, 0xf800000
	v_mov_b32_e32 v12, 0x260
	v_cmp_ne_u32_e64 s[2:3], 1, v2
	v_mov_b32_e32 v2, v0
	s_branch .LBB170_3
.LBB170_2:                              ;   in Loop: Header=BB170_3 Depth=1
	v_add_u32_e32 v2, s25, v2
	v_cmp_le_i32_e32 vcc, s20, v2
	ds_write_b32 v6, v3
	s_or_b64 s[22:23], vcc, s[22:23]
	v_add_u32_e32 v6, s26, v6
	s_andn2_b64 exec, exec, s[22:23]
	s_cbranch_execz .LBB170_5
.LBB170_3:                              ; =>This Inner Loop Header: Depth=1
	v_ashrrev_i32_e32 v3, 31, v2
	v_lshlrev_b64 v[4:5], 1, v[2:3]
	v_add_co_u32_e32 v14, vcc, s7, v4
	v_addc_co_u32_e32 v15, vcc, v7, v5, vcc
	global_load_ushort v3, v[14:15], off
	s_waitcnt vmcnt(0)
	v_cvt_f32_f16_e32 v13, v3
	v_mul_f32_e32 v14, 0x3fb8aa3b, v13
	v_cmp_gt_f32_e32 vcc, s29, v14
	v_cndmask_b32_e32 v14, 0, v8, vcc
	v_fma_mix_f32 v14, v3, s28, v14 op_sel_hi:[1,0,0]
	v_exp_f32_e32 v14, v14
	v_cndmask_b32_e32 v15, 1.0, v9, vcc
	v_fma_f32 v14, v14, v15, 1.0
	v_cmp_gt_f32_e32 vcc, s30, v14
	v_cndmask_b32_e32 v15, 1.0, v10, vcc
	v_mul_f32_e32 v14, v14, v15
	v_log_f32_e32 v14, v14
	v_cndmask_b32_e32 v15, 0, v11, vcc
	v_cmp_lt_f16_e32 vcc, s27, v3
	v_sub_f32_e32 v14, v14, v15
	v_mul_f32_e32 v14, 0x3f317218, v14
	v_cndmask_b32_e32 v3, v14, v13, vcc
	v_mul_f32_e32 v13, 0x4f800000, v3
	v_cmp_gt_f32_e64 s[8:9], s31, v3
	v_cndmask_b32_e64 v3, v3, v13, s[8:9]
	v_sqrt_f32_e32 v13, v3
	s_and_b64 vcc, exec, s[2:3]
	v_add_u32_e32 v14, -1, v13
	v_add_u32_e32 v15, 1, v13
	v_fma_f32 v16, -v14, v13, v3
	v_fma_f32 v17, -v15, v13, v3
	v_cmp_ge_f32_e64 s[10:11], 0, v16
	v_cndmask_b32_e64 v13, v13, v14, s[10:11]
	v_cmp_lt_f32_e64 s[10:11], 0, v17
	v_cndmask_b32_e64 v13, v13, v15, s[10:11]
	v_mul_f32_e32 v14, 0x37800000, v13
	v_cndmask_b32_e64 v13, v13, v14, s[8:9]
	v_cmp_class_f32_e64 s[8:9], v3, v12
	v_cndmask_b32_e64 v3, v13, v3, s[8:9]
	s_cbranch_vccnz .LBB170_2
; %bb.4:                                ;   in Loop: Header=BB170_3 Depth=1
	v_mov_b32_e32 v13, s15
	v_add_co_u32_e32 v4, vcc, s14, v4
	v_addc_co_u32_e32 v5, vcc, v13, v5, vcc
	global_load_ushort v4, v[4:5], off
	s_waitcnt vmcnt(0)
	v_cvt_f32_f16_e32 v4, v4
	v_add_f32_e32 v3, v3, v4
	s_branch .LBB170_2
.LBB170_5:
	s_or_b64 exec, exec, s[12:13]
	v_add_u32_e32 v2, s20, v0
	v_cmp_gt_i32_e32 vcc, s20, v2
	s_and_saveexec_b64 s[10:11], vcc
	s_cbranch_execz .LBB170_10
; %bb.6:
	s_load_dword s8, s[4:5], 0x44
	s_cmp_lg_u64 s[14:15], 0
	s_cselect_b64 s[2:3], -1, 0
	v_cndmask_b32_e64 v3, 0, 1, s[2:3]
	s_mov_b64 s[12:13], 0
	s_waitcnt lgkmcnt(0)
	s_and_b32 s22, s8, 0xffff
	v_lshl_add_u32 v6, v2, 2, 0
	s_lshl_b32 s23, s22, 2
	v_mov_b32_e32 v7, s24
	s_movk_i32 s24, 0x4d00
	s_mov_b32 s25, 0x3fb8aa3b
	s_mov_b32 s26, 0xc2fc0000
	v_mov_b32_e32 v8, 0x42800000
	v_mov_b32_e32 v9, 0x1f800000
	s_mov_b32 s27, 0x800000
	v_mov_b32_e32 v10, 0x4f800000
	v_mov_b32_e32 v11, 0x42000000
	s_mov_b32 s28, 0xf800000
	v_mov_b32_e32 v12, 0x260
	v_cmp_ne_u32_e64 s[2:3], 1, v3
	s_branch .LBB170_8
.LBB170_7:                              ;   in Loop: Header=BB170_8 Depth=1
	v_add_u32_e32 v2, s22, v2
	v_cmp_le_i32_e32 vcc, s20, v2
	s_or_b64 s[12:13], vcc, s[12:13]
	v_add_u32_e32 v6, s23, v6
	s_andn2_b64 exec, exec, s[12:13]
	s_cbranch_execz .LBB170_10
.LBB170_8:                              ; =>This Inner Loop Header: Depth=1
	v_ashrrev_i32_e32 v3, 31, v2
	v_lshlrev_b64 v[4:5], 1, v[2:3]
	v_add_co_u32_e32 v14, vcc, s7, v4
	v_addc_co_u32_e32 v15, vcc, v7, v5, vcc
	global_load_ushort v3, v[14:15], off
	s_waitcnt vmcnt(0)
	v_cvt_f32_f16_e32 v13, v3
	v_mul_f32_e32 v14, 0x3fb8aa3b, v13
	v_cmp_gt_f32_e32 vcc, s26, v14
	v_cndmask_b32_e32 v14, 0, v8, vcc
	v_fma_mix_f32 v14, v3, s25, v14 op_sel_hi:[1,0,0]
	v_exp_f32_e32 v14, v14
	v_cndmask_b32_e32 v15, 1.0, v9, vcc
	v_fma_f32 v14, v14, v15, 1.0
	v_cmp_gt_f32_e32 vcc, s27, v14
	v_cndmask_b32_e32 v15, 1.0, v10, vcc
	v_mul_f32_e32 v14, v14, v15
	v_log_f32_e32 v14, v14
	v_cndmask_b32_e32 v15, 0, v11, vcc
	v_cmp_lt_f16_e32 vcc, s24, v3
	v_sub_f32_e32 v14, v14, v15
	v_mul_f32_e32 v14, 0x3f317218, v14
	v_cndmask_b32_e32 v3, v14, v13, vcc
	v_mul_f32_e32 v13, 0x4f800000, v3
	v_cmp_gt_f32_e32 vcc, s28, v3
	v_cndmask_b32_e32 v3, v3, v13, vcc
	v_sqrt_f32_e32 v13, v3
	v_add_u32_e32 v14, -1, v13
	v_add_u32_e32 v15, 1, v13
	v_fma_f32 v16, -v14, v13, v3
	v_fma_f32 v17, -v15, v13, v3
	v_cmp_ge_f32_e64 s[8:9], 0, v16
	v_cndmask_b32_e64 v13, v13, v14, s[8:9]
	v_cmp_lt_f32_e64 s[8:9], 0, v17
	v_cndmask_b32_e64 v13, v13, v15, s[8:9]
	v_mul_f32_e32 v14, 0x37800000, v13
	v_cndmask_b32_e32 v13, v13, v14, vcc
	v_cmp_class_f32_e32 vcc, v3, v12
	v_cndmask_b32_e32 v3, v13, v3, vcc
	s_and_b64 vcc, exec, s[2:3]
	ds_write_b32 v6, v3
	s_cbranch_vccnz .LBB170_7
; %bb.9:                                ;   in Loop: Header=BB170_8 Depth=1
	v_mov_b32_e32 v13, s15
	v_add_co_u32_e32 v4, vcc, s14, v4
	v_addc_co_u32_e32 v5, vcc, v13, v5, vcc
	global_load_ushort v4, v[4:5], off
	s_waitcnt vmcnt(0)
	v_cvt_f32_f16_e32 v4, v4
	v_add_f32_e32 v3, v3, v4
	ds_write_b32 v6, v3
	s_branch .LBB170_7
.LBB170_10:
	s_or_b64 exec, exec, s[10:11]
	s_cmp_lt_i32 s21, 1
	s_waitcnt lgkmcnt(0)
	s_barrier
	s_cbranch_scc1 .LBB170_19
; %bb.11:
	s_add_u32 s2, s4, 56
	s_addc_u32 s3, s5, 0
	v_mbcnt_lo_u32_b32 v3, -1, 0
	s_cmp_lg_u64 s[14:15], 0
	v_mbcnt_hi_u32_b32 v3, -1, v3
	v_bfrev_b32_e32 v5, 0.5
	s_cselect_b64 s[8:9], -1, 0
	s_mov_b32 s7, 0
	v_mov_b32_e32 v2, 0
	v_mov_b32_e32 v4, 0
	v_lshl_or_b32 v5, v3, 2, v5
	v_mov_b32_e32 v6, 0xff800000
	v_mov_b32_e32 v3, 0
	s_branch .LBB170_13
.LBB170_12:                             ;   in Loop: Header=BB170_13 Depth=1
	s_lshl_b32 s11, s10, 2
	s_add_i32 s11, s11, 0
	v_mov_b32_e32 v7, s11
	ds_write_b32 v7, v6
	v_mov_b32_e32 v7, s10
	v_cmp_eq_u32_e32 vcc, s7, v0
	s_add_i32 s7, s7, 1
	v_cndmask_b32_e32 v2, v2, v7, vcc
	s_cmp_eq_u32 s7, s21
	v_cndmask_b32_e32 v3, v3, v9, vcc
	s_cbranch_scc1 .LBB170_20
.LBB170_13:                             ; =>This Loop Header: Depth=1
                                        ;     Child Loop BB170_15 Depth 2
	v_mov_b32_e32 v7, s7
	v_mov_b32_e32 v8, 0xff800000
	s_and_saveexec_b64 s[10:11], s[0:1]
	s_cbranch_execz .LBB170_17
; %bb.14:                               ;   in Loop: Header=BB170_13 Depth=1
	s_load_dword s22, s[2:3], 0xc
	s_mov_b64 s[12:13], 0
	v_mov_b32_e32 v7, s7
	v_mov_b32_e32 v8, 0xff800000
	;; [unrolled: 1-line block ×3, first 2 shown]
	s_waitcnt lgkmcnt(0)
	s_and_b32 s22, s22, 0xffff
	s_lshl_b32 s23, s22, 2
	v_mov_b32_e32 v10, v0
.LBB170_15:                             ;   Parent Loop BB170_13 Depth=1
                                        ; =>  This Inner Loop Header: Depth=2
	ds_read_b32 v11, v9
	v_add_u32_e32 v9, s23, v9
	s_waitcnt lgkmcnt(0)
	v_cmp_gt_f32_e32 vcc, v11, v8
	v_cndmask_b32_e32 v7, v7, v10, vcc
	v_add_u32_e32 v10, s22, v10
	v_cndmask_b32_e32 v8, v8, v11, vcc
	v_cmp_le_i32_e32 vcc, s20, v10
	s_or_b64 s[12:13], vcc, s[12:13]
	s_andn2_b64 exec, exec, s[12:13]
	s_cbranch_execnz .LBB170_15
; %bb.16:                               ;   in Loop: Header=BB170_13 Depth=1
	s_or_b64 exec, exec, s[12:13]
.LBB170_17:                             ;   in Loop: Header=BB170_13 Depth=1
	s_or_b64 exec, exec, s[10:11]
	;;#ASMSTART
	v_max_f32 v9, v8, v8 quad_perm:[1,0,3,2] row_mask:0xf bank_mask:0xf bound_ctrl:1
	;;#ASMEND
	;;#ASMSTART
	v_max_f32 v10, v9, v9 quad_perm:[2,3,0,1] row_mask:0xf bank_mask:0xf bound_ctrl:1
	;;#ASMEND
	;;#ASMSTART
	v_max_f32 v9, v10, v10 row_half_mirror row_mask:0xf bank_mask:0xf bound_ctrl:1
	;;#ASMEND
	;;#ASMSTART
	v_max_f32 v10, v9, v9 row_mirror row_mask:0xf bank_mask:0xf bound_ctrl:1
	;;#ASMEND
	;;#ASMSTART
	v_max_f32 v9, v10, v10 row_ror:4 row_mask:0xf bank_mask:0xf bound_ctrl:1
	;;#ASMEND
	;;#ASMSTART
	v_max_f32 v10, v9, v9 row_ror:8 row_mask:0xf bank_mask:0xf bound_ctrl:1
	;;#ASMEND
	;;#ASMSTART
	v_max_f32 v9, v10, v10 row_bcast:15 row_mask:0xf bank_mask:0xf bound_ctrl:1
	;;#ASMEND
	;;#ASMSTART
	v_max_f32 v10, v9, v9 row_bcast:31 row_mask:0xf bank_mask:0xf bound_ctrl:1
	;;#ASMEND
	ds_bpermute_b32 v9, v5, v10
	s_waitcnt lgkmcnt(0)
	v_cmp_eq_f32_e32 vcc, v8, v9
	s_ff1_i32_b64 s10, vcc
	s_cmp_lg_u64 vcc, 0
	s_cselect_b32 s10, s10, 0
	s_and_b64 vcc, exec, s[8:9]
	v_readlane_b32 s10, v7, s10
	s_cbranch_vccz .LBB170_12
; %bb.18:                               ;   in Loop: Header=BB170_13 Depth=1
	s_ashr_i32 s11, s10, 31
	s_lshl_b64 s[12:13], s[10:11], 1
	s_add_u32 s12, s14, s12
	s_addc_u32 s13, s15, s13
	global_load_ushort v7, v4, s[12:13]
	s_waitcnt vmcnt(0)
	v_cvt_f32_f16_e32 v7, v7
	v_sub_f32_e32 v9, v9, v7
	s_branch .LBB170_12
.LBB170_19:
	v_mov_b32_e32 v3, 0
	v_mov_b32_e32 v2, 0
.LBB170_20:
	v_cmp_gt_i32_e32 vcc, s21, v0
	s_and_saveexec_b64 s[0:1], vcc
	s_cbranch_execz .LBB170_23
; %bb.21:
	s_load_dword s2, s[4:5], 0x34
	s_load_dwordx2 s[0:1], s[4:5], 0x20
	s_ashr_i32 s3, s6, 31
	s_load_dword s4, s[4:5], 0x44
	v_mov_b32_e32 v4, s17
	s_waitcnt lgkmcnt(0)
	v_mul_f32_e32 v1, s2, v3
	s_mul_i32 s1, s6, s1
	s_mul_hi_u32 s2, s6, s0
	s_add_i32 s1, s2, s1
	s_mul_i32 s3, s3, s0
	s_add_i32 s5, s1, s3
	s_mul_i32 s2, s6, s0
	s_and_b32 s3, s4, 0xffff
	s_mov_b64 s[0:1], 0
	v_mov_b32_e32 v3, s5
	v_mov_b32_e32 v5, s19
.LBB170_22:                             ; =>This Inner Loop Header: Depth=1
	v_ashrrev_i32_e32 v7, 31, v0
	v_add_co_u32_e32 v6, vcc, s2, v0
	v_addc_co_u32_e32 v7, vcc, v3, v7, vcc
	v_add_u32_e32 v0, s3, v0
	v_cmp_le_i32_e32 vcc, s21, v0
	v_lshlrev_b64 v[6:7], 2, v[6:7]
	s_or_b64 s[0:1], vcc, s[0:1]
	v_add_co_u32_e32 v8, vcc, s16, v6
	v_addc_co_u32_e32 v9, vcc, v4, v7, vcc
	v_add_co_u32_e32 v6, vcc, s18, v6
	v_addc_co_u32_e32 v7, vcc, v5, v7, vcc
	global_store_dword v[8:9], v1, off
	global_store_dword v[6:7], v2, off
	s_andn2_b64 exec, exec, s[0:1]
	s_cbranch_execnz .LBB170_22
.LBB170_23:
	s_endpgm
	.section	.rodata,"a",@progbits
	.p2align	6, 0x0
	.amdhsa_kernel _ZN5aiter20topk_softplus_kernelI6__halfS1_Dv1_fLb0ELi0EEEvPKT_PKT0_PfPimiiif
		.amdhsa_group_segment_fixed_size 0
		.amdhsa_private_segment_fixed_size 0
		.amdhsa_kernarg_size 312
		.amdhsa_user_sgpr_count 6
		.amdhsa_user_sgpr_private_segment_buffer 1
		.amdhsa_user_sgpr_dispatch_ptr 0
		.amdhsa_user_sgpr_queue_ptr 0
		.amdhsa_user_sgpr_kernarg_segment_ptr 1
		.amdhsa_user_sgpr_dispatch_id 0
		.amdhsa_user_sgpr_flat_scratch_init 0
		.amdhsa_user_sgpr_kernarg_preload_length 0
		.amdhsa_user_sgpr_kernarg_preload_offset 0
		.amdhsa_user_sgpr_private_segment_size 0
		.amdhsa_uses_dynamic_stack 0
		.amdhsa_system_sgpr_private_segment_wavefront_offset 0
		.amdhsa_system_sgpr_workgroup_id_x 1
		.amdhsa_system_sgpr_workgroup_id_y 0
		.amdhsa_system_sgpr_workgroup_id_z 0
		.amdhsa_system_sgpr_workgroup_info 0
		.amdhsa_system_vgpr_workitem_id 0
		.amdhsa_next_free_vgpr 18
		.amdhsa_next_free_sgpr 32
		.amdhsa_accum_offset 20
		.amdhsa_reserve_vcc 1
		.amdhsa_reserve_flat_scratch 0
		.amdhsa_float_round_mode_32 0
		.amdhsa_float_round_mode_16_64 0
		.amdhsa_float_denorm_mode_32 3
		.amdhsa_float_denorm_mode_16_64 3
		.amdhsa_dx10_clamp 1
		.amdhsa_ieee_mode 1
		.amdhsa_fp16_overflow 0
		.amdhsa_tg_split 0
		.amdhsa_exception_fp_ieee_invalid_op 0
		.amdhsa_exception_fp_denorm_src 0
		.amdhsa_exception_fp_ieee_div_zero 0
		.amdhsa_exception_fp_ieee_overflow 0
		.amdhsa_exception_fp_ieee_underflow 0
		.amdhsa_exception_fp_ieee_inexact 0
		.amdhsa_exception_int_div_zero 0
	.end_amdhsa_kernel
	.section	.text._ZN5aiter20topk_softplus_kernelI6__halfS1_Dv1_fLb0ELi0EEEvPKT_PKT0_PfPimiiif,"axG",@progbits,_ZN5aiter20topk_softplus_kernelI6__halfS1_Dv1_fLb0ELi0EEEvPKT_PKT0_PfPimiiif,comdat
.Lfunc_end170:
	.size	_ZN5aiter20topk_softplus_kernelI6__halfS1_Dv1_fLb0ELi0EEEvPKT_PKT0_PfPimiiif, .Lfunc_end170-_ZN5aiter20topk_softplus_kernelI6__halfS1_Dv1_fLb0ELi0EEEvPKT_PKT0_PfPimiiif
                                        ; -- End function
	.section	.AMDGPU.csdata,"",@progbits
; Kernel info:
; codeLenInByte = 1572
; NumSgprs: 36
; NumVgprs: 18
; NumAgprs: 0
; TotalNumVgprs: 18
; ScratchSize: 0
; MemoryBound: 0
; FloatMode: 240
; IeeeMode: 1
; LDSByteSize: 0 bytes/workgroup (compile time only)
; SGPRBlocks: 4
; VGPRBlocks: 2
; NumSGPRsForWavesPerEU: 36
; NumVGPRsForWavesPerEU: 18
; AccumOffset: 20
; Occupancy: 8
; WaveLimiterHint : 0
; COMPUTE_PGM_RSRC2:SCRATCH_EN: 0
; COMPUTE_PGM_RSRC2:USER_SGPR: 6
; COMPUTE_PGM_RSRC2:TRAP_HANDLER: 0
; COMPUTE_PGM_RSRC2:TGID_X_EN: 1
; COMPUTE_PGM_RSRC2:TGID_Y_EN: 0
; COMPUTE_PGM_RSRC2:TGID_Z_EN: 0
; COMPUTE_PGM_RSRC2:TIDIG_COMP_CNT: 0
; COMPUTE_PGM_RSRC3_GFX90A:ACCUM_OFFSET: 4
; COMPUTE_PGM_RSRC3_GFX90A:TG_SPLIT: 0
	.section	.text._ZN5aiter24topk_softplus_kernel_optI6__half12hip_bfloat16Li64ELb1ELi1EEEvPKT_PKT0_PfPimiif,"axG",@progbits,_ZN5aiter24topk_softplus_kernel_optI6__half12hip_bfloat16Li64ELb1ELi1EEEvPKT_PKT0_PfPimiif,comdat
	.protected	_ZN5aiter24topk_softplus_kernel_optI6__half12hip_bfloat16Li64ELb1ELi1EEEvPKT_PKT0_PfPimiif ; -- Begin function _ZN5aiter24topk_softplus_kernel_optI6__half12hip_bfloat16Li64ELb1ELi1EEEvPKT_PKT0_PfPimiif
	.globl	_ZN5aiter24topk_softplus_kernel_optI6__half12hip_bfloat16Li64ELb1ELi1EEEvPKT_PKT0_PfPimiif
	.p2align	8
	.type	_ZN5aiter24topk_softplus_kernel_optI6__half12hip_bfloat16Li64ELb1ELi1EEEvPKT_PKT0_PfPimiif,@function
_ZN5aiter24topk_softplus_kernel_optI6__half12hip_bfloat16Li64ELb1ELi1EEEvPKT_PKT0_PfPimiif: ; @_ZN5aiter24topk_softplus_kernel_optI6__half12hip_bfloat16Li64ELb1ELi1EEEvPKT_PKT0_PfPimiif
; %bb.0:
	s_load_dwordx4 s[0:3], s[4:5], 0x0
	s_lshl_b32 s8, s6, 6
	s_ashr_i32 s9, s8, 31
	s_lshl_b64 s[8:9], s[8:9], 1
	v_lshlrev_b32_e32 v2, 1, v0
	s_waitcnt lgkmcnt(0)
	s_add_u32 s0, s0, s8
	s_addc_u32 s1, s1, s9
	global_load_ushort v1, v2, s[0:1]
	s_mov_b32 s1, 0xc2fc0000
	v_mov_b32_e32 v4, 0x42800000
	s_mov_b32 s0, 0xbfb8aa3b
	s_cmp_eq_u64 s[2:3], 0
	s_waitcnt vmcnt(0)
	v_cvt_f32_f16_e32 v3, v1
	v_mul_f32_e32 v3, 0xbfb8aa3b, v3
	v_cmp_gt_f32_e32 vcc, s1, v3
	v_cndmask_b32_e32 v3, 0, v4, vcc
	v_fma_mix_f32 v1, v1, s0, v3 op_sel_hi:[1,0,0]
	v_exp_f32_e32 v1, v1
	v_mov_b32_e32 v3, 0x1f800000
	v_cndmask_b32_e32 v3, 1.0, v3, vcc
	v_fma_f32 v1, v1, v3, 1.0
	v_rcp_f32_e32 v3, v1
	v_mov_b32_e32 v1, 0
	v_mov_b32_e32 v4, v3
	s_cbranch_scc1 .LBB171_2
; %bb.1:
	global_load_ushort v2, v2, s[2:3]
	s_waitcnt vmcnt(0)
	v_lshlrev_b32_e32 v2, 16, v2
	v_add_f32_e32 v4, v3, v2
.LBB171_2:
	s_load_dword s2, s[4:5], 0x28
	s_load_dwordx4 s[8:11], s[4:5], 0x10
	s_mov_b32 s3, 0
	v_mov_b32_e32 v5, 0
	v_mov_b32_e32 v2, 0
	s_waitcnt lgkmcnt(0)
	s_cmp_lt_i32 s2, 1
	s_cbranch_scc1 .LBB171_5
; %bb.3:
	v_mbcnt_lo_u32_b32 v1, -1, 0
	v_mbcnt_hi_u32_b32 v1, -1, v1
	v_bfrev_b32_e32 v2, 0.5
	v_mov_b32_e32 v6, 0
	v_mov_b32_e32 v7, 0xff800000
	v_lshl_or_b32 v8, v1, 2, v2
	v_mov_b32_e32 v5, 0
	v_mov_b32_e32 v1, 0
	;; [unrolled: 1-line block ×3, first 2 shown]
.LBB171_4:                              ; =>This Inner Loop Header: Depth=1
	v_cmp_eq_u32_e32 vcc, 0, v6
	v_cndmask_b32_e32 v9, v7, v4, vcc
	;;#ASMSTART
	v_max_f32 v11, v9, v9 quad_perm:[1,0,3,2] row_mask:0xf bank_mask:0xf bound_ctrl:1
	;;#ASMEND
	;;#ASMSTART
	v_max_f32 v12, v11, v11 quad_perm:[2,3,0,1] row_mask:0xf bank_mask:0xf bound_ctrl:1
	;;#ASMEND
	;;#ASMSTART
	v_max_f32 v11, v12, v12 row_half_mirror row_mask:0xf bank_mask:0xf bound_ctrl:1
	;;#ASMEND
	;;#ASMSTART
	v_max_f32 v12, v11, v11 row_mirror row_mask:0xf bank_mask:0xf bound_ctrl:1
	;;#ASMEND
	;;#ASMSTART
	v_max_f32 v11, v12, v12 row_ror:4 row_mask:0xf bank_mask:0xf bound_ctrl:1
	;;#ASMEND
	;;#ASMSTART
	v_max_f32 v12, v11, v11 row_ror:8 row_mask:0xf bank_mask:0xf bound_ctrl:1
	;;#ASMEND
	;;#ASMSTART
	v_max_f32 v11, v12, v12 row_bcast:15 row_mask:0xf bank_mask:0xf bound_ctrl:1
	;;#ASMEND
	;;#ASMSTART
	v_max_f32 v12, v11, v11 row_bcast:31 row_mask:0xf bank_mask:0xf bound_ctrl:1
	;;#ASMEND
	ds_bpermute_b32 v11, v8, v12
	v_cndmask_b32_e32 v10, 0, v0, vcc
	s_waitcnt lgkmcnt(0)
	v_cmp_eq_f32_e64 s[0:1], v9, v11
	s_ff1_i32_b64 s7, s[0:1]
	s_cmp_lg_u64 s[0:1], 0
	s_cselect_b32 s0, s7, 0
	s_nop 0
	v_readlane_b32 s7, v10, s0
	v_cmp_eq_u32_e64 s[0:1], s7, v0
	s_and_b64 vcc, vcc, s[0:1]
	s_and_b32 s12, s7, 63
	v_cndmask_b32_e32 v10, 0, v3, vcc
	v_addc_co_u32_e32 v6, vcc, 0, v6, vcc
	v_readlane_b32 s0, v10, s12
	v_mov_b32_e32 v9, s7
	v_mov_b32_e32 v10, s0
	v_cmp_eq_u32_e32 vcc, s3, v0
	s_add_i32 s3, s3, 1
	v_add_f32_e32 v5, s0, v5
	v_cndmask_b32_e32 v2, v2, v10, vcc
	s_cmp_eq_u32 s2, s3
	v_cndmask_b32_e32 v1, v1, v9, vcc
	s_cbranch_scc0 .LBB171_4
.LBB171_5:
	v_cmp_gt_i32_e32 vcc, s2, v0
	s_and_saveexec_b64 s[0:1], vcc
	s_cbranch_execz .LBB171_7
; %bb.6:
	s_load_dword s2, s[4:5], 0x30
	v_max_f32_e32 v3, v5, v5
	v_max_f32_e32 v3, 0x1e3ce508, v3
	v_lshlrev_b32_e32 v0, 2, v0
	s_waitcnt lgkmcnt(0)
	v_div_scale_f32 v4, s[0:1], v3, v3, s2
	v_rcp_f32_e32 v5, v4
	v_div_scale_f32 v6, vcc, s2, v3, s2
	s_load_dwordx2 s[0:1], s[4:5], 0x20
	v_fma_f32 v7, -v4, v5, 1.0
	v_fmac_f32_e32 v5, v7, v5
	v_mul_f32_e32 v7, v6, v5
	v_fma_f32 v8, -v4, v7, v6
	v_fmac_f32_e32 v7, v8, v5
	v_fma_f32 v4, -v4, v7, v6
	v_div_fmas_f32 v4, v4, v5, v7
	v_div_fixup_f32 v3, v4, v3, s2
	s_ashr_i32 s2, s6, 31
	s_waitcnt lgkmcnt(0)
	s_mul_i32 s1, s6, s1
	s_mul_hi_u32 s3, s6, s0
	s_add_i32 s1, s3, s1
	s_mul_i32 s2, s2, s0
	s_add_i32 s1, s1, s2
	s_mul_i32 s0, s6, s0
	s_lshl_b64 s[0:1], s[0:1], 2
	s_add_u32 s2, s8, s0
	s_addc_u32 s3, s9, s1
	s_add_u32 s0, s10, s0
	v_mul_f32_e32 v2, v2, v3
	s_addc_u32 s1, s11, s1
	global_store_dword v0, v2, s[2:3]
	global_store_dword v0, v1, s[0:1]
.LBB171_7:
	s_endpgm
	.section	.rodata,"a",@progbits
	.p2align	6, 0x0
	.amdhsa_kernel _ZN5aiter24topk_softplus_kernel_optI6__half12hip_bfloat16Li64ELb1ELi1EEEvPKT_PKT0_PfPimiif
		.amdhsa_group_segment_fixed_size 0
		.amdhsa_private_segment_fixed_size 0
		.amdhsa_kernarg_size 52
		.amdhsa_user_sgpr_count 6
		.amdhsa_user_sgpr_private_segment_buffer 1
		.amdhsa_user_sgpr_dispatch_ptr 0
		.amdhsa_user_sgpr_queue_ptr 0
		.amdhsa_user_sgpr_kernarg_segment_ptr 1
		.amdhsa_user_sgpr_dispatch_id 0
		.amdhsa_user_sgpr_flat_scratch_init 0
		.amdhsa_user_sgpr_kernarg_preload_length 0
		.amdhsa_user_sgpr_kernarg_preload_offset 0
		.amdhsa_user_sgpr_private_segment_size 0
		.amdhsa_uses_dynamic_stack 0
		.amdhsa_system_sgpr_private_segment_wavefront_offset 0
		.amdhsa_system_sgpr_workgroup_id_x 1
		.amdhsa_system_sgpr_workgroup_id_y 0
		.amdhsa_system_sgpr_workgroup_id_z 0
		.amdhsa_system_sgpr_workgroup_info 0
		.amdhsa_system_vgpr_workitem_id 0
		.amdhsa_next_free_vgpr 13
		.amdhsa_next_free_sgpr 13
		.amdhsa_accum_offset 16
		.amdhsa_reserve_vcc 1
		.amdhsa_reserve_flat_scratch 0
		.amdhsa_float_round_mode_32 0
		.amdhsa_float_round_mode_16_64 0
		.amdhsa_float_denorm_mode_32 3
		.amdhsa_float_denorm_mode_16_64 3
		.amdhsa_dx10_clamp 1
		.amdhsa_ieee_mode 1
		.amdhsa_fp16_overflow 0
		.amdhsa_tg_split 0
		.amdhsa_exception_fp_ieee_invalid_op 0
		.amdhsa_exception_fp_denorm_src 0
		.amdhsa_exception_fp_ieee_div_zero 0
		.amdhsa_exception_fp_ieee_overflow 0
		.amdhsa_exception_fp_ieee_underflow 0
		.amdhsa_exception_fp_ieee_inexact 0
		.amdhsa_exception_int_div_zero 0
	.end_amdhsa_kernel
	.section	.text._ZN5aiter24topk_softplus_kernel_optI6__half12hip_bfloat16Li64ELb1ELi1EEEvPKT_PKT0_PfPimiif,"axG",@progbits,_ZN5aiter24topk_softplus_kernel_optI6__half12hip_bfloat16Li64ELb1ELi1EEEvPKT_PKT0_PfPimiif,comdat
.Lfunc_end171:
	.size	_ZN5aiter24topk_softplus_kernel_optI6__half12hip_bfloat16Li64ELb1ELi1EEEvPKT_PKT0_PfPimiif, .Lfunc_end171-_ZN5aiter24topk_softplus_kernel_optI6__half12hip_bfloat16Li64ELb1ELi1EEEvPKT_PKT0_PfPimiif
                                        ; -- End function
	.section	.AMDGPU.csdata,"",@progbits
; Kernel info:
; codeLenInByte = 640
; NumSgprs: 17
; NumVgprs: 13
; NumAgprs: 0
; TotalNumVgprs: 13
; ScratchSize: 0
; MemoryBound: 0
; FloatMode: 240
; IeeeMode: 1
; LDSByteSize: 0 bytes/workgroup (compile time only)
; SGPRBlocks: 2
; VGPRBlocks: 1
; NumSGPRsForWavesPerEU: 17
; NumVGPRsForWavesPerEU: 13
; AccumOffset: 16
; Occupancy: 8
; WaveLimiterHint : 0
; COMPUTE_PGM_RSRC2:SCRATCH_EN: 0
; COMPUTE_PGM_RSRC2:USER_SGPR: 6
; COMPUTE_PGM_RSRC2:TRAP_HANDLER: 0
; COMPUTE_PGM_RSRC2:TGID_X_EN: 1
; COMPUTE_PGM_RSRC2:TGID_Y_EN: 0
; COMPUTE_PGM_RSRC2:TGID_Z_EN: 0
; COMPUTE_PGM_RSRC2:TIDIG_COMP_CNT: 0
; COMPUTE_PGM_RSRC3_GFX90A:ACCUM_OFFSET: 3
; COMPUTE_PGM_RSRC3_GFX90A:TG_SPLIT: 0
	.section	.text._ZN5aiter24topk_softplus_kernel_optI6__half12hip_bfloat16Li64ELb0ELi1EEEvPKT_PKT0_PfPimiif,"axG",@progbits,_ZN5aiter24topk_softplus_kernel_optI6__half12hip_bfloat16Li64ELb0ELi1EEEvPKT_PKT0_PfPimiif,comdat
	.protected	_ZN5aiter24topk_softplus_kernel_optI6__half12hip_bfloat16Li64ELb0ELi1EEEvPKT_PKT0_PfPimiif ; -- Begin function _ZN5aiter24topk_softplus_kernel_optI6__half12hip_bfloat16Li64ELb0ELi1EEEvPKT_PKT0_PfPimiif
	.globl	_ZN5aiter24topk_softplus_kernel_optI6__half12hip_bfloat16Li64ELb0ELi1EEEvPKT_PKT0_PfPimiif
	.p2align	8
	.type	_ZN5aiter24topk_softplus_kernel_optI6__half12hip_bfloat16Li64ELb0ELi1EEEvPKT_PKT0_PfPimiif,@function
_ZN5aiter24topk_softplus_kernel_optI6__half12hip_bfloat16Li64ELb0ELi1EEEvPKT_PKT0_PfPimiif: ; @_ZN5aiter24topk_softplus_kernel_optI6__half12hip_bfloat16Li64ELb0ELi1EEEvPKT_PKT0_PfPimiif
; %bb.0:
	s_load_dwordx4 s[0:3], s[4:5], 0x0
	s_lshl_b32 s8, s6, 6
	s_ashr_i32 s9, s8, 31
	s_lshl_b64 s[8:9], s[8:9], 1
	v_lshlrev_b32_e32 v2, 1, v0
	s_waitcnt lgkmcnt(0)
	s_add_u32 s0, s0, s8
	s_addc_u32 s1, s1, s9
	global_load_ushort v1, v2, s[0:1]
	s_mov_b32 s1, 0xc2fc0000
	v_mov_b32_e32 v4, 0x42800000
	s_mov_b32 s0, 0xbfb8aa3b
	s_cmp_eq_u64 s[2:3], 0
	s_waitcnt vmcnt(0)
	v_cvt_f32_f16_e32 v3, v1
	v_mul_f32_e32 v3, 0xbfb8aa3b, v3
	v_cmp_gt_f32_e32 vcc, s1, v3
	v_cndmask_b32_e32 v3, 0, v4, vcc
	v_fma_mix_f32 v1, v1, s0, v3 op_sel_hi:[1,0,0]
	v_exp_f32_e32 v1, v1
	v_mov_b32_e32 v3, 0x1f800000
	v_cndmask_b32_e32 v3, 1.0, v3, vcc
	v_fma_f32 v1, v1, v3, 1.0
	v_rcp_f32_e32 v3, v1
	v_mov_b32_e32 v1, 0
	v_mov_b32_e32 v4, v3
	s_cbranch_scc1 .LBB172_2
; %bb.1:
	global_load_ushort v2, v2, s[2:3]
	s_waitcnt vmcnt(0)
	v_lshlrev_b32_e32 v2, 16, v2
	v_add_f32_e32 v4, v3, v2
.LBB172_2:
	s_load_dword s2, s[4:5], 0x28
	s_load_dwordx4 s[8:11], s[4:5], 0x10
	s_waitcnt lgkmcnt(0)
	s_cmp_lt_i32 s2, 1
	s_cbranch_scc1 .LBB172_8
; %bb.3:
	v_mbcnt_lo_u32_b32 v1, -1, 0
	v_mbcnt_hi_u32_b32 v1, -1, v1
	v_bfrev_b32_e32 v7, 0.5
	s_mov_b32 s3, 0
	v_mov_b32_e32 v5, 0
	v_mov_b32_e32 v2, 0
	;; [unrolled: 1-line block ×3, first 2 shown]
	v_lshl_or_b32 v7, v1, 2, v7
	v_mov_b32_e32 v1, 0
.LBB172_4:                              ; =>This Inner Loop Header: Depth=1
	v_cmp_eq_u32_e32 vcc, 0, v5
	v_cndmask_b32_e32 v8, v6, v4, vcc
	;;#ASMSTART
	v_max_f32 v10, v8, v8 quad_perm:[1,0,3,2] row_mask:0xf bank_mask:0xf bound_ctrl:1
	;;#ASMEND
	;;#ASMSTART
	v_max_f32 v11, v10, v10 quad_perm:[2,3,0,1] row_mask:0xf bank_mask:0xf bound_ctrl:1
	;;#ASMEND
	;;#ASMSTART
	v_max_f32 v10, v11, v11 row_half_mirror row_mask:0xf bank_mask:0xf bound_ctrl:1
	;;#ASMEND
	;;#ASMSTART
	v_max_f32 v11, v10, v10 row_mirror row_mask:0xf bank_mask:0xf bound_ctrl:1
	;;#ASMEND
	;;#ASMSTART
	v_max_f32 v10, v11, v11 row_ror:4 row_mask:0xf bank_mask:0xf bound_ctrl:1
	;;#ASMEND
	;;#ASMSTART
	v_max_f32 v11, v10, v10 row_ror:8 row_mask:0xf bank_mask:0xf bound_ctrl:1
	;;#ASMEND
	;;#ASMSTART
	v_max_f32 v10, v11, v11 row_bcast:15 row_mask:0xf bank_mask:0xf bound_ctrl:1
	;;#ASMEND
	;;#ASMSTART
	v_max_f32 v11, v10, v10 row_bcast:31 row_mask:0xf bank_mask:0xf bound_ctrl:1
	;;#ASMEND
	ds_bpermute_b32 v10, v7, v11
	v_cndmask_b32_e32 v9, 0, v0, vcc
	s_waitcnt lgkmcnt(0)
	v_cmp_eq_f32_e64 s[0:1], v8, v10
	s_ff1_i32_b64 s7, s[0:1]
	s_cmp_lg_u64 s[0:1], 0
	s_cselect_b32 s0, s7, 0
	s_nop 0
	v_readlane_b32 s7, v9, s0
	v_cmp_eq_u32_e64 s[0:1], s7, v0
	s_and_b64 vcc, vcc, s[0:1]
	s_and_b32 s12, s7, 63
	v_cndmask_b32_e32 v9, 0, v3, vcc
	v_addc_co_u32_e32 v5, vcc, 0, v5, vcc
	v_readlane_b32 s0, v9, s12
	v_mov_b32_e32 v8, s7
	v_mov_b32_e32 v9, s0
	v_cmp_eq_u32_e32 vcc, s3, v0
	s_add_i32 s3, s3, 1
	v_cndmask_b32_e32 v2, v2, v9, vcc
	s_cmp_eq_u32 s2, s3
	v_cndmask_b32_e32 v1, v1, v8, vcc
	s_cbranch_scc0 .LBB172_4
; %bb.5:
	v_cmp_gt_i32_e32 vcc, s2, v0
	s_and_saveexec_b64 s[0:1], vcc
	s_cbranch_execz .LBB172_7
.LBB172_6:
	s_load_dword s2, s[4:5], 0x30
	s_load_dwordx2 s[0:1], s[4:5], 0x20
	s_ashr_i32 s3, s6, 31
	v_lshlrev_b32_e32 v0, 2, v0
	s_waitcnt lgkmcnt(0)
	v_mul_f32_e32 v2, s2, v2
	s_mul_i32 s1, s6, s1
	s_mul_hi_u32 s2, s6, s0
	s_add_i32 s1, s2, s1
	s_mul_i32 s3, s3, s0
	s_add_i32 s1, s1, s3
	s_mul_i32 s0, s6, s0
	s_lshl_b64 s[0:1], s[0:1], 2
	s_add_u32 s2, s8, s0
	s_addc_u32 s3, s9, s1
	s_add_u32 s0, s10, s0
	s_addc_u32 s1, s11, s1
	global_store_dword v0, v2, s[2:3]
	global_store_dword v0, v1, s[0:1]
.LBB172_7:
	s_endpgm
.LBB172_8:
	v_mov_b32_e32 v2, 0
	v_cmp_gt_i32_e32 vcc, s2, v0
	s_and_saveexec_b64 s[0:1], vcc
	s_cbranch_execnz .LBB172_6
	s_branch .LBB172_7
	.section	.rodata,"a",@progbits
	.p2align	6, 0x0
	.amdhsa_kernel _ZN5aiter24topk_softplus_kernel_optI6__half12hip_bfloat16Li64ELb0ELi1EEEvPKT_PKT0_PfPimiif
		.amdhsa_group_segment_fixed_size 0
		.amdhsa_private_segment_fixed_size 0
		.amdhsa_kernarg_size 52
		.amdhsa_user_sgpr_count 6
		.amdhsa_user_sgpr_private_segment_buffer 1
		.amdhsa_user_sgpr_dispatch_ptr 0
		.amdhsa_user_sgpr_queue_ptr 0
		.amdhsa_user_sgpr_kernarg_segment_ptr 1
		.amdhsa_user_sgpr_dispatch_id 0
		.amdhsa_user_sgpr_flat_scratch_init 0
		.amdhsa_user_sgpr_kernarg_preload_length 0
		.amdhsa_user_sgpr_kernarg_preload_offset 0
		.amdhsa_user_sgpr_private_segment_size 0
		.amdhsa_uses_dynamic_stack 0
		.amdhsa_system_sgpr_private_segment_wavefront_offset 0
		.amdhsa_system_sgpr_workgroup_id_x 1
		.amdhsa_system_sgpr_workgroup_id_y 0
		.amdhsa_system_sgpr_workgroup_id_z 0
		.amdhsa_system_sgpr_workgroup_info 0
		.amdhsa_system_vgpr_workitem_id 0
		.amdhsa_next_free_vgpr 12
		.amdhsa_next_free_sgpr 13
		.amdhsa_accum_offset 12
		.amdhsa_reserve_vcc 1
		.amdhsa_reserve_flat_scratch 0
		.amdhsa_float_round_mode_32 0
		.amdhsa_float_round_mode_16_64 0
		.amdhsa_float_denorm_mode_32 3
		.amdhsa_float_denorm_mode_16_64 3
		.amdhsa_dx10_clamp 1
		.amdhsa_ieee_mode 1
		.amdhsa_fp16_overflow 0
		.amdhsa_tg_split 0
		.amdhsa_exception_fp_ieee_invalid_op 0
		.amdhsa_exception_fp_denorm_src 0
		.amdhsa_exception_fp_ieee_div_zero 0
		.amdhsa_exception_fp_ieee_overflow 0
		.amdhsa_exception_fp_ieee_underflow 0
		.amdhsa_exception_fp_ieee_inexact 0
		.amdhsa_exception_int_div_zero 0
	.end_amdhsa_kernel
	.section	.text._ZN5aiter24topk_softplus_kernel_optI6__half12hip_bfloat16Li64ELb0ELi1EEEvPKT_PKT0_PfPimiif,"axG",@progbits,_ZN5aiter24topk_softplus_kernel_optI6__half12hip_bfloat16Li64ELb0ELi1EEEvPKT_PKT0_PfPimiif,comdat
.Lfunc_end172:
	.size	_ZN5aiter24topk_softplus_kernel_optI6__half12hip_bfloat16Li64ELb0ELi1EEEvPKT_PKT0_PfPimiif, .Lfunc_end172-_ZN5aiter24topk_softplus_kernel_optI6__half12hip_bfloat16Li64ELb0ELi1EEEvPKT_PKT0_PfPimiif
                                        ; -- End function
	.section	.AMDGPU.csdata,"",@progbits
; Kernel info:
; codeLenInByte = 556
; NumSgprs: 17
; NumVgprs: 12
; NumAgprs: 0
; TotalNumVgprs: 12
; ScratchSize: 0
; MemoryBound: 0
; FloatMode: 240
; IeeeMode: 1
; LDSByteSize: 0 bytes/workgroup (compile time only)
; SGPRBlocks: 2
; VGPRBlocks: 1
; NumSGPRsForWavesPerEU: 17
; NumVGPRsForWavesPerEU: 12
; AccumOffset: 12
; Occupancy: 8
; WaveLimiterHint : 0
; COMPUTE_PGM_RSRC2:SCRATCH_EN: 0
; COMPUTE_PGM_RSRC2:USER_SGPR: 6
; COMPUTE_PGM_RSRC2:TRAP_HANDLER: 0
; COMPUTE_PGM_RSRC2:TGID_X_EN: 1
; COMPUTE_PGM_RSRC2:TGID_Y_EN: 0
; COMPUTE_PGM_RSRC2:TGID_Z_EN: 0
; COMPUTE_PGM_RSRC2:TIDIG_COMP_CNT: 0
; COMPUTE_PGM_RSRC3_GFX90A:ACCUM_OFFSET: 2
; COMPUTE_PGM_RSRC3_GFX90A:TG_SPLIT: 0
	.section	.text._ZN5aiter24topk_softplus_kernel_optI6__half12hip_bfloat16Li128ELb1ELi1EEEvPKT_PKT0_PfPimiif,"axG",@progbits,_ZN5aiter24topk_softplus_kernel_optI6__half12hip_bfloat16Li128ELb1ELi1EEEvPKT_PKT0_PfPimiif,comdat
	.protected	_ZN5aiter24topk_softplus_kernel_optI6__half12hip_bfloat16Li128ELb1ELi1EEEvPKT_PKT0_PfPimiif ; -- Begin function _ZN5aiter24topk_softplus_kernel_optI6__half12hip_bfloat16Li128ELb1ELi1EEEvPKT_PKT0_PfPimiif
	.globl	_ZN5aiter24topk_softplus_kernel_optI6__half12hip_bfloat16Li128ELb1ELi1EEEvPKT_PKT0_PfPimiif
	.p2align	8
	.type	_ZN5aiter24topk_softplus_kernel_optI6__half12hip_bfloat16Li128ELb1ELi1EEEvPKT_PKT0_PfPimiif,@function
_ZN5aiter24topk_softplus_kernel_optI6__half12hip_bfloat16Li128ELb1ELi1EEEvPKT_PKT0_PfPimiif: ; @_ZN5aiter24topk_softplus_kernel_optI6__half12hip_bfloat16Li128ELb1ELi1EEEvPKT_PKT0_PfPimiif
; %bb.0:
	s_load_dwordx4 s[0:3], s[4:5], 0x0
	s_lshl_b32 s8, s6, 7
	s_ashr_i32 s9, s8, 31
	s_lshl_b64 s[8:9], s[8:9], 1
	v_lshlrev_b32_e32 v1, 1, v0
	s_waitcnt lgkmcnt(0)
	s_add_u32 s10, s0, s8
	s_addc_u32 s11, s1, s9
	global_load_ushort v2, v1, s[10:11]
	s_mov_b32 s8, 0xc2fc0000
	v_mov_b32_e32 v5, 0x42800000
	s_mov_b32 s7, 0xbfb8aa3b
	v_mov_b32_e32 v7, 0x1f800000
	s_cmp_lg_u64 s[2:3], 0
	s_cselect_b64 s[0:1], -1, 0
	s_waitcnt vmcnt(0)
	v_cvt_f32_f16_e32 v3, v2
	v_mul_f32_e32 v3, 0xbfb8aa3b, v3
	v_cmp_gt_f32_e32 vcc, s8, v3
	v_cndmask_b32_e32 v3, 0, v5, vcc
	v_fma_mix_f32 v2, v2, s7, v3 op_sel_hi:[1,0,0]
	v_exp_f32_e32 v2, v2
	v_cndmask_b32_e32 v4, 1.0, v7, vcc
	v_mov_b32_e32 v3, s11
	v_fma_f32 v2, v2, v4, 1.0
	v_rcp_f32_e32 v6, v2
	v_add_co_u32_e32 v2, vcc, s10, v1
	v_addc_co_u32_e32 v3, vcc, 0, v3, vcc
	s_and_b64 vcc, exec, s[0:1]
	v_mov_b32_e32 v4, v6
	s_cbranch_vccz .LBB173_2
; %bb.1:
	global_load_ushort v4, v1, s[2:3]
	s_waitcnt vmcnt(0)
	v_lshlrev_b32_e32 v4, 16, v4
	v_add_f32_e32 v4, v6, v4
.LBB173_2:
	global_load_ushort v2, v[2:3], off offset:128
	s_waitcnt vmcnt(0)
	v_cvt_f32_f16_e32 v3, v2
	v_mul_f32_e32 v3, 0xbfb8aa3b, v3
	v_cmp_gt_f32_e32 vcc, s8, v3
	v_cndmask_b32_e32 v5, 0, v5, vcc
	v_fma_mix_f32 v2, v2, s7, v5 op_sel_hi:[1,0,0]
	v_exp_f32_e32 v2, v2
	v_cndmask_b32_e32 v3, 1.0, v7, vcc
	s_andn2_b64 vcc, exec, s[0:1]
	v_fma_f32 v2, v2, v3, 1.0
	v_rcp_f32_e32 v10, v2
	v_mov_b32_e32 v5, v10
	s_cbranch_vccnz .LBB173_4
; %bb.3:
	global_load_ushort v1, v1, s[2:3] offset:128
	s_waitcnt vmcnt(0)
	v_lshlrev_b32_e32 v1, 16, v1
	v_add_f32_e32 v5, v10, v1
.LBB173_4:
	s_load_dword s2, s[4:5], 0x28
	s_load_dwordx4 s[8:11], s[4:5], 0x10
	v_mov_b32_e32 v9, 0
	v_mov_b32_e32 v7, 0
	;; [unrolled: 1-line block ×3, first 2 shown]
	s_waitcnt lgkmcnt(0)
	s_cmp_gt_i32 s2, 0
	s_cbranch_scc0 .LBB173_7
; %bb.5:
	v_mbcnt_lo_u32_b32 v7, -1, 0
	v_add_u32_e32 v2, 64, v0
	v_cmp_lt_f32_e32 vcc, v4, v5
	v_mbcnt_hi_u32_b32 v7, -1, v7
	v_bfrev_b32_e32 v8, 0.5
	v_cndmask_b32_e32 v1, v2, v0, vcc
	v_cndmask_b32_e32 v2, v0, v2, vcc
	;; [unrolled: 1-line block ×6, first 2 shown]
	v_mov_b32_e32 v9, 0
	v_mov_b32_e32 v10, 0
	;; [unrolled: 1-line block ×3, first 2 shown]
	v_lshl_or_b32 v12, v7, 2, v8
	v_mov_b32_e32 v13, v0
	s_mov_b32 s3, s2
	v_mov_b32_e32 v7, 0
	v_mov_b32_e32 v8, 0
.LBB173_6:                              ; =>This Inner Loop Header: Depth=1
	v_cmp_eq_u32_e32 vcc, 1, v10
	v_cndmask_b32_e32 v14, v4, v3, vcc
	v_cmp_gt_u32_e64 s[0:1], 2, v10
	v_cndmask_b32_e64 v14, v11, v14, s[0:1]
	;;#ASMSTART
	v_max_f32 v18, v14, v14 quad_perm:[1,0,3,2] row_mask:0xf bank_mask:0xf bound_ctrl:1
	;;#ASMEND
	;;#ASMSTART
	v_max_f32 v19, v18, v18 quad_perm:[2,3,0,1] row_mask:0xf bank_mask:0xf bound_ctrl:1
	;;#ASMEND
	;;#ASMSTART
	v_max_f32 v18, v19, v19 row_half_mirror row_mask:0xf bank_mask:0xf bound_ctrl:1
	;;#ASMEND
	;;#ASMSTART
	v_max_f32 v19, v18, v18 row_mirror row_mask:0xf bank_mask:0xf bound_ctrl:1
	;;#ASMEND
	;;#ASMSTART
	v_max_f32 v18, v19, v19 row_ror:4 row_mask:0xf bank_mask:0xf bound_ctrl:1
	;;#ASMEND
	;;#ASMSTART
	v_max_f32 v19, v18, v18 row_ror:8 row_mask:0xf bank_mask:0xf bound_ctrl:1
	;;#ASMEND
	;;#ASMSTART
	v_max_f32 v18, v19, v19 row_bcast:15 row_mask:0xf bank_mask:0xf bound_ctrl:1
	;;#ASMEND
	;;#ASMSTART
	v_max_f32 v19, v18, v18 row_bcast:31 row_mask:0xf bank_mask:0xf bound_ctrl:1
	;;#ASMEND
	ds_bpermute_b32 v18, v12, v19
	v_cndmask_b32_e32 v15, v2, v1, vcc
	v_cndmask_b32_e32 v16, v6, v5, vcc
	v_cndmask_b32_e64 v17, 0, v15, s[0:1]
	s_waitcnt lgkmcnt(0)
	v_cmp_eq_f32_e32 vcc, v14, v18
	s_ff1_i32_b64 s7, vcc
	s_cmp_lg_u64 vcc, 0
	s_cselect_b32 s7, s7, 0
	v_readlane_b32 s7, v17, s7
	v_cmp_eq_u32_e32 vcc, s7, v15
	s_and_b64 vcc, s[0:1], vcc
	s_and_b32 s12, s7, 63
	v_cndmask_b32_e32 v15, 0, v16, vcc
	v_addc_co_u32_e32 v10, vcc, 0, v10, vcc
	v_readlane_b32 s0, v15, s12
	s_add_i32 s3, s3, -1
	v_mov_b32_e32 v14, s7
	v_mov_b32_e32 v15, s0
	v_cmp_eq_u32_e32 vcc, 0, v13
	s_cmp_eq_u32 s3, 0
	v_add_f32_e32 v9, s0, v9
	v_add_u32_e32 v13, -1, v13
	v_cndmask_b32_e32 v8, v8, v15, vcc
	v_cndmask_b32_e32 v7, v7, v14, vcc
	s_cbranch_scc0 .LBB173_6
.LBB173_7:
	v_cmp_gt_i32_e32 vcc, s2, v0
	s_and_saveexec_b64 s[0:1], vcc
	s_cbranch_execz .LBB173_9
; %bb.8:
	s_load_dword s2, s[4:5], 0x30
	v_max_f32_e32 v1, v9, v9
	v_max_f32_e32 v1, 0x1e3ce508, v1
	v_lshlrev_b32_e32 v0, 2, v0
	s_waitcnt lgkmcnt(0)
	v_div_scale_f32 v2, s[0:1], v1, v1, s2
	v_rcp_f32_e32 v3, v2
	v_div_scale_f32 v4, vcc, s2, v1, s2
	s_load_dwordx2 s[0:1], s[4:5], 0x20
	v_fma_f32 v5, -v2, v3, 1.0
	v_fmac_f32_e32 v3, v5, v3
	v_mul_f32_e32 v5, v4, v3
	v_fma_f32 v6, -v2, v5, v4
	v_fmac_f32_e32 v5, v6, v3
	v_fma_f32 v2, -v2, v5, v4
	v_div_fmas_f32 v2, v2, v3, v5
	v_div_fixup_f32 v1, v2, v1, s2
	s_ashr_i32 s2, s6, 31
	s_waitcnt lgkmcnt(0)
	s_mul_i32 s1, s6, s1
	s_mul_hi_u32 s3, s6, s0
	s_add_i32 s1, s3, s1
	s_mul_i32 s2, s2, s0
	s_add_i32 s1, s1, s2
	s_mul_i32 s0, s6, s0
	s_lshl_b64 s[0:1], s[0:1], 2
	s_add_u32 s2, s8, s0
	s_addc_u32 s3, s9, s1
	s_add_u32 s0, s10, s0
	v_mul_f32_e32 v1, v8, v1
	s_addc_u32 s1, s11, s1
	global_store_dword v0, v1, s[2:3]
	global_store_dword v0, v7, s[0:1]
.LBB173_9:
	s_endpgm
	.section	.rodata,"a",@progbits
	.p2align	6, 0x0
	.amdhsa_kernel _ZN5aiter24topk_softplus_kernel_optI6__half12hip_bfloat16Li128ELb1ELi1EEEvPKT_PKT0_PfPimiif
		.amdhsa_group_segment_fixed_size 0
		.amdhsa_private_segment_fixed_size 0
		.amdhsa_kernarg_size 52
		.amdhsa_user_sgpr_count 6
		.amdhsa_user_sgpr_private_segment_buffer 1
		.amdhsa_user_sgpr_dispatch_ptr 0
		.amdhsa_user_sgpr_queue_ptr 0
		.amdhsa_user_sgpr_kernarg_segment_ptr 1
		.amdhsa_user_sgpr_dispatch_id 0
		.amdhsa_user_sgpr_flat_scratch_init 0
		.amdhsa_user_sgpr_kernarg_preload_length 0
		.amdhsa_user_sgpr_kernarg_preload_offset 0
		.amdhsa_user_sgpr_private_segment_size 0
		.amdhsa_uses_dynamic_stack 0
		.amdhsa_system_sgpr_private_segment_wavefront_offset 0
		.amdhsa_system_sgpr_workgroup_id_x 1
		.amdhsa_system_sgpr_workgroup_id_y 0
		.amdhsa_system_sgpr_workgroup_id_z 0
		.amdhsa_system_sgpr_workgroup_info 0
		.amdhsa_system_vgpr_workitem_id 0
		.amdhsa_next_free_vgpr 20
		.amdhsa_next_free_sgpr 13
		.amdhsa_accum_offset 20
		.amdhsa_reserve_vcc 1
		.amdhsa_reserve_flat_scratch 0
		.amdhsa_float_round_mode_32 0
		.amdhsa_float_round_mode_16_64 0
		.amdhsa_float_denorm_mode_32 3
		.amdhsa_float_denorm_mode_16_64 3
		.amdhsa_dx10_clamp 1
		.amdhsa_ieee_mode 1
		.amdhsa_fp16_overflow 0
		.amdhsa_tg_split 0
		.amdhsa_exception_fp_ieee_invalid_op 0
		.amdhsa_exception_fp_denorm_src 0
		.amdhsa_exception_fp_ieee_div_zero 0
		.amdhsa_exception_fp_ieee_overflow 0
		.amdhsa_exception_fp_ieee_underflow 0
		.amdhsa_exception_fp_ieee_inexact 0
		.amdhsa_exception_int_div_zero 0
	.end_amdhsa_kernel
	.section	.text._ZN5aiter24topk_softplus_kernel_optI6__half12hip_bfloat16Li128ELb1ELi1EEEvPKT_PKT0_PfPimiif,"axG",@progbits,_ZN5aiter24topk_softplus_kernel_optI6__half12hip_bfloat16Li128ELb1ELi1EEEvPKT_PKT0_PfPimiif,comdat
.Lfunc_end173:
	.size	_ZN5aiter24topk_softplus_kernel_optI6__half12hip_bfloat16Li128ELb1ELi1EEEvPKT_PKT0_PfPimiif, .Lfunc_end173-_ZN5aiter24topk_softplus_kernel_optI6__half12hip_bfloat16Li128ELb1ELi1EEEvPKT_PKT0_PfPimiif
                                        ; -- End function
	.section	.AMDGPU.csdata,"",@progbits
; Kernel info:
; codeLenInByte = 808
; NumSgprs: 17
; NumVgprs: 20
; NumAgprs: 0
; TotalNumVgprs: 20
; ScratchSize: 0
; MemoryBound: 0
; FloatMode: 240
; IeeeMode: 1
; LDSByteSize: 0 bytes/workgroup (compile time only)
; SGPRBlocks: 2
; VGPRBlocks: 2
; NumSGPRsForWavesPerEU: 17
; NumVGPRsForWavesPerEU: 20
; AccumOffset: 20
; Occupancy: 8
; WaveLimiterHint : 0
; COMPUTE_PGM_RSRC2:SCRATCH_EN: 0
; COMPUTE_PGM_RSRC2:USER_SGPR: 6
; COMPUTE_PGM_RSRC2:TRAP_HANDLER: 0
; COMPUTE_PGM_RSRC2:TGID_X_EN: 1
; COMPUTE_PGM_RSRC2:TGID_Y_EN: 0
; COMPUTE_PGM_RSRC2:TGID_Z_EN: 0
; COMPUTE_PGM_RSRC2:TIDIG_COMP_CNT: 0
; COMPUTE_PGM_RSRC3_GFX90A:ACCUM_OFFSET: 4
; COMPUTE_PGM_RSRC3_GFX90A:TG_SPLIT: 0
	.section	.text._ZN5aiter24topk_softplus_kernel_optI6__half12hip_bfloat16Li128ELb0ELi1EEEvPKT_PKT0_PfPimiif,"axG",@progbits,_ZN5aiter24topk_softplus_kernel_optI6__half12hip_bfloat16Li128ELb0ELi1EEEvPKT_PKT0_PfPimiif,comdat
	.protected	_ZN5aiter24topk_softplus_kernel_optI6__half12hip_bfloat16Li128ELb0ELi1EEEvPKT_PKT0_PfPimiif ; -- Begin function _ZN5aiter24topk_softplus_kernel_optI6__half12hip_bfloat16Li128ELb0ELi1EEEvPKT_PKT0_PfPimiif
	.globl	_ZN5aiter24topk_softplus_kernel_optI6__half12hip_bfloat16Li128ELb0ELi1EEEvPKT_PKT0_PfPimiif
	.p2align	8
	.type	_ZN5aiter24topk_softplus_kernel_optI6__half12hip_bfloat16Li128ELb0ELi1EEEvPKT_PKT0_PfPimiif,@function
_ZN5aiter24topk_softplus_kernel_optI6__half12hip_bfloat16Li128ELb0ELi1EEEvPKT_PKT0_PfPimiif: ; @_ZN5aiter24topk_softplus_kernel_optI6__half12hip_bfloat16Li128ELb0ELi1EEEvPKT_PKT0_PfPimiif
; %bb.0:
	s_load_dwordx4 s[0:3], s[4:5], 0x0
	s_lshl_b32 s8, s6, 7
	s_ashr_i32 s9, s8, 31
	s_lshl_b64 s[8:9], s[8:9], 1
	v_lshlrev_b32_e32 v1, 1, v0
	s_waitcnt lgkmcnt(0)
	s_add_u32 s10, s0, s8
	s_addc_u32 s11, s1, s9
	global_load_ushort v2, v1, s[10:11]
	s_mov_b32 s8, 0xc2fc0000
	v_mov_b32_e32 v5, 0x42800000
	s_mov_b32 s7, 0xbfb8aa3b
	v_mov_b32_e32 v7, 0x1f800000
	s_cmp_lg_u64 s[2:3], 0
	s_cselect_b64 s[0:1], -1, 0
	s_waitcnt vmcnt(0)
	v_cvt_f32_f16_e32 v3, v2
	v_mul_f32_e32 v3, 0xbfb8aa3b, v3
	v_cmp_gt_f32_e32 vcc, s8, v3
	v_cndmask_b32_e32 v3, 0, v5, vcc
	v_fma_mix_f32 v2, v2, s7, v3 op_sel_hi:[1,0,0]
	v_exp_f32_e32 v2, v2
	v_cndmask_b32_e32 v4, 1.0, v7, vcc
	v_mov_b32_e32 v3, s11
	v_fma_f32 v2, v2, v4, 1.0
	v_rcp_f32_e32 v6, v2
	v_add_co_u32_e32 v2, vcc, s10, v1
	v_addc_co_u32_e32 v3, vcc, 0, v3, vcc
	s_and_b64 vcc, exec, s[0:1]
	v_mov_b32_e32 v4, v6
	s_cbranch_vccz .LBB174_2
; %bb.1:
	global_load_ushort v4, v1, s[2:3]
	s_waitcnt vmcnt(0)
	v_lshlrev_b32_e32 v4, 16, v4
	v_add_f32_e32 v4, v6, v4
.LBB174_2:
	global_load_ushort v2, v[2:3], off offset:128
	s_waitcnt vmcnt(0)
	v_cvt_f32_f16_e32 v3, v2
	v_mul_f32_e32 v3, 0xbfb8aa3b, v3
	v_cmp_gt_f32_e32 vcc, s8, v3
	v_cndmask_b32_e32 v5, 0, v5, vcc
	v_fma_mix_f32 v2, v2, s7, v5 op_sel_hi:[1,0,0]
	v_exp_f32_e32 v2, v2
	v_cndmask_b32_e32 v3, 1.0, v7, vcc
	s_andn2_b64 vcc, exec, s[0:1]
	v_fma_f32 v2, v2, v3, 1.0
	v_rcp_f32_e32 v8, v2
	v_mov_b32_e32 v5, v8
	s_cbranch_vccnz .LBB174_4
; %bb.3:
	global_load_ushort v1, v1, s[2:3] offset:128
	s_waitcnt vmcnt(0)
	v_lshlrev_b32_e32 v1, 16, v1
	v_add_f32_e32 v5, v8, v1
.LBB174_4:
	s_load_dword s2, s[4:5], 0x28
	s_load_dwordx4 s[8:11], s[4:5], 0x10
	v_mov_b32_e32 v7, 0
	s_waitcnt lgkmcnt(0)
	s_cmp_gt_i32 s2, 0
	s_cbranch_scc0 .LBB174_10
; %bb.5:
	v_mbcnt_lo_u32_b32 v7, -1, 0
	v_add_u32_e32 v2, 64, v0
	v_cmp_lt_f32_e32 vcc, v4, v5
	v_mbcnt_hi_u32_b32 v7, -1, v7
	v_bfrev_b32_e32 v11, 0.5
	v_cndmask_b32_e32 v1, v2, v0, vcc
	v_cndmask_b32_e32 v2, v0, v2, vcc
	;; [unrolled: 1-line block ×6, first 2 shown]
	v_mov_b32_e32 v9, 0
	v_mov_b32_e32 v8, 0
	;; [unrolled: 1-line block ×3, first 2 shown]
	v_lshl_or_b32 v11, v7, 2, v11
	v_mov_b32_e32 v12, v0
	s_mov_b32 s3, s2
	v_mov_b32_e32 v7, 0
.LBB174_6:                              ; =>This Inner Loop Header: Depth=1
	v_cmp_eq_u32_e32 vcc, 1, v9
	v_cndmask_b32_e32 v13, v4, v3, vcc
	v_cmp_gt_u32_e64 s[0:1], 2, v9
	v_cndmask_b32_e64 v13, v10, v13, s[0:1]
	;;#ASMSTART
	v_max_f32 v17, v13, v13 quad_perm:[1,0,3,2] row_mask:0xf bank_mask:0xf bound_ctrl:1
	;;#ASMEND
	;;#ASMSTART
	v_max_f32 v18, v17, v17 quad_perm:[2,3,0,1] row_mask:0xf bank_mask:0xf bound_ctrl:1
	;;#ASMEND
	;;#ASMSTART
	v_max_f32 v17, v18, v18 row_half_mirror row_mask:0xf bank_mask:0xf bound_ctrl:1
	;;#ASMEND
	;;#ASMSTART
	v_max_f32 v18, v17, v17 row_mirror row_mask:0xf bank_mask:0xf bound_ctrl:1
	;;#ASMEND
	;;#ASMSTART
	v_max_f32 v17, v18, v18 row_ror:4 row_mask:0xf bank_mask:0xf bound_ctrl:1
	;;#ASMEND
	;;#ASMSTART
	v_max_f32 v18, v17, v17 row_ror:8 row_mask:0xf bank_mask:0xf bound_ctrl:1
	;;#ASMEND
	;;#ASMSTART
	v_max_f32 v17, v18, v18 row_bcast:15 row_mask:0xf bank_mask:0xf bound_ctrl:1
	;;#ASMEND
	;;#ASMSTART
	v_max_f32 v18, v17, v17 row_bcast:31 row_mask:0xf bank_mask:0xf bound_ctrl:1
	;;#ASMEND
	ds_bpermute_b32 v17, v11, v18
	v_cndmask_b32_e32 v14, v2, v1, vcc
	v_cndmask_b32_e32 v15, v6, v5, vcc
	v_cndmask_b32_e64 v16, 0, v14, s[0:1]
	s_waitcnt lgkmcnt(0)
	v_cmp_eq_f32_e32 vcc, v13, v17
	s_ff1_i32_b64 s7, vcc
	s_cmp_lg_u64 vcc, 0
	s_cselect_b32 s7, s7, 0
	v_readlane_b32 s7, v16, s7
	v_cmp_eq_u32_e32 vcc, s7, v14
	s_and_b64 vcc, s[0:1], vcc
	s_and_b32 s12, s7, 63
	v_cndmask_b32_e32 v14, 0, v15, vcc
	v_addc_co_u32_e32 v9, vcc, 0, v9, vcc
	v_readlane_b32 s0, v14, s12
	s_add_i32 s3, s3, -1
	v_mov_b32_e32 v13, s7
	v_mov_b32_e32 v14, s0
	v_cmp_eq_u32_e32 vcc, 0, v12
	s_cmp_eq_u32 s3, 0
	v_add_u32_e32 v12, -1, v12
	v_cndmask_b32_e32 v8, v8, v14, vcc
	v_cndmask_b32_e32 v7, v7, v13, vcc
	s_cbranch_scc0 .LBB174_6
; %bb.7:
	v_cmp_gt_i32_e32 vcc, s2, v0
	s_and_saveexec_b64 s[0:1], vcc
	s_cbranch_execz .LBB174_9
.LBB174_8:
	s_load_dword s2, s[4:5], 0x30
	s_load_dwordx2 s[0:1], s[4:5], 0x20
	s_ashr_i32 s3, s6, 31
	v_lshlrev_b32_e32 v0, 2, v0
	s_waitcnt lgkmcnt(0)
	v_mul_f32_e32 v1, s2, v8
	s_mul_i32 s1, s6, s1
	s_mul_hi_u32 s2, s6, s0
	s_add_i32 s1, s2, s1
	s_mul_i32 s3, s3, s0
	s_add_i32 s1, s1, s3
	s_mul_i32 s0, s6, s0
	s_lshl_b64 s[0:1], s[0:1], 2
	s_add_u32 s2, s8, s0
	s_addc_u32 s3, s9, s1
	s_add_u32 s0, s10, s0
	s_addc_u32 s1, s11, s1
	global_store_dword v0, v1, s[2:3]
	global_store_dword v0, v7, s[0:1]
.LBB174_9:
	s_endpgm
.LBB174_10:
	v_mov_b32_e32 v8, 0
	v_cmp_gt_i32_e32 vcc, s2, v0
	s_and_saveexec_b64 s[0:1], vcc
	s_cbranch_execnz .LBB174_8
	s_branch .LBB174_9
	.section	.rodata,"a",@progbits
	.p2align	6, 0x0
	.amdhsa_kernel _ZN5aiter24topk_softplus_kernel_optI6__half12hip_bfloat16Li128ELb0ELi1EEEvPKT_PKT0_PfPimiif
		.amdhsa_group_segment_fixed_size 0
		.amdhsa_private_segment_fixed_size 0
		.amdhsa_kernarg_size 52
		.amdhsa_user_sgpr_count 6
		.amdhsa_user_sgpr_private_segment_buffer 1
		.amdhsa_user_sgpr_dispatch_ptr 0
		.amdhsa_user_sgpr_queue_ptr 0
		.amdhsa_user_sgpr_kernarg_segment_ptr 1
		.amdhsa_user_sgpr_dispatch_id 0
		.amdhsa_user_sgpr_flat_scratch_init 0
		.amdhsa_user_sgpr_kernarg_preload_length 0
		.amdhsa_user_sgpr_kernarg_preload_offset 0
		.amdhsa_user_sgpr_private_segment_size 0
		.amdhsa_uses_dynamic_stack 0
		.amdhsa_system_sgpr_private_segment_wavefront_offset 0
		.amdhsa_system_sgpr_workgroup_id_x 1
		.amdhsa_system_sgpr_workgroup_id_y 0
		.amdhsa_system_sgpr_workgroup_id_z 0
		.amdhsa_system_sgpr_workgroup_info 0
		.amdhsa_system_vgpr_workitem_id 0
		.amdhsa_next_free_vgpr 19
		.amdhsa_next_free_sgpr 13
		.amdhsa_accum_offset 20
		.amdhsa_reserve_vcc 1
		.amdhsa_reserve_flat_scratch 0
		.amdhsa_float_round_mode_32 0
		.amdhsa_float_round_mode_16_64 0
		.amdhsa_float_denorm_mode_32 3
		.amdhsa_float_denorm_mode_16_64 3
		.amdhsa_dx10_clamp 1
		.amdhsa_ieee_mode 1
		.amdhsa_fp16_overflow 0
		.amdhsa_tg_split 0
		.amdhsa_exception_fp_ieee_invalid_op 0
		.amdhsa_exception_fp_denorm_src 0
		.amdhsa_exception_fp_ieee_div_zero 0
		.amdhsa_exception_fp_ieee_overflow 0
		.amdhsa_exception_fp_ieee_underflow 0
		.amdhsa_exception_fp_ieee_inexact 0
		.amdhsa_exception_int_div_zero 0
	.end_amdhsa_kernel
	.section	.text._ZN5aiter24topk_softplus_kernel_optI6__half12hip_bfloat16Li128ELb0ELi1EEEvPKT_PKT0_PfPimiif,"axG",@progbits,_ZN5aiter24topk_softplus_kernel_optI6__half12hip_bfloat16Li128ELb0ELi1EEEvPKT_PKT0_PfPimiif,comdat
.Lfunc_end174:
	.size	_ZN5aiter24topk_softplus_kernel_optI6__half12hip_bfloat16Li128ELb0ELi1EEEvPKT_PKT0_PfPimiif, .Lfunc_end174-_ZN5aiter24topk_softplus_kernel_optI6__half12hip_bfloat16Li128ELb0ELi1EEEvPKT_PKT0_PfPimiif
                                        ; -- End function
	.section	.AMDGPU.csdata,"",@progbits
; Kernel info:
; codeLenInByte = 724
; NumSgprs: 17
; NumVgprs: 19
; NumAgprs: 0
; TotalNumVgprs: 19
; ScratchSize: 0
; MemoryBound: 0
; FloatMode: 240
; IeeeMode: 1
; LDSByteSize: 0 bytes/workgroup (compile time only)
; SGPRBlocks: 2
; VGPRBlocks: 2
; NumSGPRsForWavesPerEU: 17
; NumVGPRsForWavesPerEU: 19
; AccumOffset: 20
; Occupancy: 8
; WaveLimiterHint : 0
; COMPUTE_PGM_RSRC2:SCRATCH_EN: 0
; COMPUTE_PGM_RSRC2:USER_SGPR: 6
; COMPUTE_PGM_RSRC2:TRAP_HANDLER: 0
; COMPUTE_PGM_RSRC2:TGID_X_EN: 1
; COMPUTE_PGM_RSRC2:TGID_Y_EN: 0
; COMPUTE_PGM_RSRC2:TGID_Z_EN: 0
; COMPUTE_PGM_RSRC2:TIDIG_COMP_CNT: 0
; COMPUTE_PGM_RSRC3_GFX90A:ACCUM_OFFSET: 4
; COMPUTE_PGM_RSRC3_GFX90A:TG_SPLIT: 0
	.section	.text._ZN5aiter24topk_softplus_kernel_optI6__half12hip_bfloat16Li256ELb1ELi1EEEvPKT_PKT0_PfPimiif,"axG",@progbits,_ZN5aiter24topk_softplus_kernel_optI6__half12hip_bfloat16Li256ELb1ELi1EEEvPKT_PKT0_PfPimiif,comdat
	.protected	_ZN5aiter24topk_softplus_kernel_optI6__half12hip_bfloat16Li256ELb1ELi1EEEvPKT_PKT0_PfPimiif ; -- Begin function _ZN5aiter24topk_softplus_kernel_optI6__half12hip_bfloat16Li256ELb1ELi1EEEvPKT_PKT0_PfPimiif
	.globl	_ZN5aiter24topk_softplus_kernel_optI6__half12hip_bfloat16Li256ELb1ELi1EEEvPKT_PKT0_PfPimiif
	.p2align	8
	.type	_ZN5aiter24topk_softplus_kernel_optI6__half12hip_bfloat16Li256ELb1ELi1EEEvPKT_PKT0_PfPimiif,@function
_ZN5aiter24topk_softplus_kernel_optI6__half12hip_bfloat16Li256ELb1ELi1EEEvPKT_PKT0_PfPimiif: ; @_ZN5aiter24topk_softplus_kernel_optI6__half12hip_bfloat16Li256ELb1ELi1EEEvPKT_PKT0_PfPimiif
; %bb.0:
	s_load_dwordx4 s[0:3], s[4:5], 0x0
	s_lshl_b32 s8, s6, 8
	s_ashr_i32 s9, s8, 31
	s_lshl_b64 s[8:9], s[8:9], 1
	v_lshlrev_b32_e32 v1, 1, v0
	s_waitcnt lgkmcnt(0)
	s_add_u32 s10, s0, s8
	s_addc_u32 s11, s1, s9
	global_load_ushort v2, v1, s[10:11]
	s_mov_b32 s1, 0xc2fc0000
	v_mov_b32_e32 v3, 0x42800000
	s_mov_b32 s0, 0xbfb8aa3b
	v_mov_b32_e32 v6, 0x1f800000
	s_cmp_lg_u64 s[2:3], 0
	v_mov_b32_e32 v5, s11
	s_cselect_b64 s[8:9], -1, 0
	s_waitcnt vmcnt(0)
	v_cvt_f32_f16_e32 v4, v2
	v_mul_f32_e32 v4, 0xbfb8aa3b, v4
	v_cmp_gt_f32_e32 vcc, s1, v4
	v_cndmask_b32_e32 v4, 0, v3, vcc
	v_fma_mix_f32 v2, v2, s0, v4 op_sel_hi:[1,0,0]
	v_exp_f32_e32 v2, v2
	v_cndmask_b32_e32 v4, 1.0, v6, vcc
	v_fma_f32 v2, v2, v4, 1.0
	v_rcp_f32_e32 v2, v2
	v_add_co_u32_e32 v4, vcc, s10, v1
	v_addc_co_u32_e32 v5, vcc, 0, v5, vcc
	s_and_b64 vcc, exec, s[8:9]
	v_mov_b32_e32 v10, v2
	s_cbranch_vccz .LBB175_2
; %bb.1:
	global_load_ushort v7, v1, s[2:3]
	s_waitcnt vmcnt(0)
	v_lshlrev_b32_e32 v7, 16, v7
	v_add_f32_e32 v10, v2, v7
.LBB175_2:
	global_load_ushort v7, v[4:5], off offset:128
	s_waitcnt vmcnt(0)
	v_cvt_f32_f16_e32 v8, v7
	v_mul_f32_e32 v8, 0xbfb8aa3b, v8
	v_cmp_gt_f32_e32 vcc, s1, v8
	v_cndmask_b32_e32 v3, 0, v3, vcc
	v_fma_mix_f32 v3, v7, s0, v3 op_sel_hi:[1,0,0]
	v_exp_f32_e32 v3, v3
	v_cndmask_b32_e32 v6, 1.0, v6, vcc
	s_andn2_b64 vcc, exec, s[8:9]
	v_fma_f32 v3, v3, v6, 1.0
	v_rcp_f32_e32 v9, v3
	v_cndmask_b32_e64 v3, 0, 1, s[8:9]
	v_cmp_ne_u32_e64 s[0:1], 1, v3
	v_mov_b32_e32 v12, v9
	s_cbranch_vccnz .LBB175_4
; %bb.3:
	global_load_ushort v3, v1, s[2:3] offset:128
	s_waitcnt vmcnt(0)
	v_lshlrev_b32_e32 v3, 16, v3
	v_add_f32_e32 v12, v9, v3
.LBB175_4:
	global_load_ushort v6, v[4:5], off offset:256
	s_mov_b32 s8, 0xc2fc0000
	s_mov_b32 s7, 0xbfb8aa3b
	v_mov_b32_e32 v3, 0x1f800000
	s_waitcnt vmcnt(0)
	v_cvt_f32_f16_e32 v7, v6
	v_mul_f32_e32 v7, 0xbfb8aa3b, v7
	v_cmp_gt_f32_e32 vcc, s8, v7
	v_mov_b32_e32 v7, 0x42800000
	v_cndmask_b32_e32 v11, 0, v7, vcc
	v_fma_mix_f32 v6, v6, s7, v11 op_sel_hi:[1,0,0]
	v_exp_f32_e32 v6, v6
	v_cndmask_b32_e32 v8, 1.0, v3, vcc
	s_and_b64 vcc, exec, s[0:1]
	v_fma_f32 v6, v6, v8, 1.0
	v_rcp_f32_e32 v8, v6
	v_mov_b32_e32 v6, v8
	s_cbranch_vccnz .LBB175_6
; %bb.5:
	global_load_ushort v6, v1, s[2:3] offset:256
	s_waitcnt vmcnt(0)
	v_lshlrev_b32_e32 v6, 16, v6
	v_add_f32_e32 v6, v8, v6
.LBB175_6:
	global_load_ushort v4, v[4:5], off offset:384
	s_waitcnt vmcnt(0)
	v_cvt_f32_f16_e32 v5, v4
	v_mul_f32_e32 v5, 0xbfb8aa3b, v5
	v_cmp_gt_f32_e32 vcc, s8, v5
	v_cndmask_b32_e32 v5, 0, v7, vcc
	v_fma_mix_f32 v4, v4, s7, v5 op_sel_hi:[1,0,0]
	v_exp_f32_e32 v4, v4
	v_cndmask_b32_e32 v3, 1.0, v3, vcc
	s_and_b64 vcc, exec, s[0:1]
	v_fma_f32 v3, v4, v3, 1.0
	v_rcp_f32_e32 v3, v3
	v_mov_b32_e32 v5, v3
	s_cbranch_vccnz .LBB175_8
; %bb.7:
	global_load_ushort v1, v1, s[2:3] offset:384
	s_waitcnt vmcnt(0)
	v_lshlrev_b32_e32 v1, 16, v1
	v_add_f32_e32 v5, v3, v1
.LBB175_8:
	v_add_u32_e32 v4, 64, v0
	v_cmp_lt_f32_e32 vcc, v10, v12
	v_add_u32_e32 v15, 0x80, v0
	v_add_u32_e32 v7, 0xc0, v0
	v_cndmask_b32_e32 v11, v9, v2, vcc
	v_cndmask_b32_e32 v2, v2, v9, vcc
	;; [unrolled: 1-line block ×6, first 2 shown]
	v_cmp_lt_f32_e32 vcc, v6, v5
	v_mov_b32_e32 v12, v6
	s_and_saveexec_b64 s[0:1], vcc
	s_xor_b64 s[0:1], exec, s[0:1]
; %bb.9:
	v_mov_b32_e32 v12, v15
	v_mov_b32_e32 v13, v6
	;; [unrolled: 1-line block ×4, first 2 shown]
	v_swap_b32 v8, v3
	v_swap_b32 v15, v7
	v_mov_b32_e32 v12, v5
	v_mov_b32_e32 v5, v13
; %bb.10:
	s_or_b64 exec, exec, s[0:1]
	v_cmp_lt_f32_e32 vcc, v14, v6
	v_cndmask_b32_e32 v13, v8, v2, vcc
	v_cndmask_b32_e32 v2, v2, v8, vcc
	;; [unrolled: 1-line block ×6, first 2 shown]
	v_cmp_lt_f32_e32 vcc, v9, v5
	v_mov_b32_e32 v14, v9
	s_and_saveexec_b64 s[0:1], vcc
; %bb.11:
	v_mov_b32_e32 v14, v1
	v_mov_b32_e32 v15, v9
	;; [unrolled: 1-line block ×4, first 2 shown]
	v_swap_b32 v11, v3
	v_swap_b32 v1, v7
	v_mov_b32_e32 v14, v5
	v_mov_b32_e32 v5, v15
; %bb.12:
	s_or_b64 exec, exec, s[0:1]
	s_load_dword s2, s[4:5], 0x28
	s_load_dwordx4 s[8:11], s[4:5], 0x10
	v_mov_b32_e32 v15, 0
	s_waitcnt lgkmcnt(0)
	s_cmp_lt_i32 s2, 1
	s_cbranch_scc1 .LBB175_18
; %bb.13:
	v_cmp_lt_f32_e32 vcc, v9, v12
	v_cndmask_b32_e32 v8, v10, v1, vcc
	v_cndmask_b32_e32 v1, v1, v10, vcc
	;; [unrolled: 1-line block ×6, first 2 shown]
	v_mbcnt_lo_u32_b32 v13, -1, 0
	v_mbcnt_hi_u32_b32 v13, -1, v13
	v_bfrev_b32_e32 v14, 0.5
	v_mov_b32_e32 v15, 0
	v_mov_b32_e32 v16, 0
	;; [unrolled: 1-line block ×3, first 2 shown]
	v_lshl_or_b32 v18, v13, 2, v14
	v_mov_b32_e32 v19, v0
	s_mov_b32 s3, s2
	v_mov_b32_e32 v13, 0
	v_mov_b32_e32 v14, 0
.LBB175_14:                             ; =>This Inner Loop Header: Depth=1
	v_cmp_eq_u32_e32 vcc, 1, v16
	v_cndmask_b32_e32 v20, v6, v9, vcc
	v_cmp_eq_u32_e64 s[0:1], 2, v16
	v_cndmask_b32_e64 v20, v20, v10, s[0:1]
	v_cndmask_b32_e32 v21, v4, v1, vcc
	v_cndmask_b32_e32 v22, v2, v11, vcc
	v_cmp_eq_u32_e32 vcc, 3, v16
	v_cndmask_b32_e32 v20, v20, v5, vcc
	v_cndmask_b32_e64 v21, v21, v8, s[0:1]
	v_cndmask_b32_e64 v22, v22, v12, s[0:1]
	v_cmp_gt_u32_e64 s[0:1], 4, v16
	v_cndmask_b32_e64 v20, v17, v20, s[0:1]
	;;#ASMSTART
	v_max_f32 v24, v20, v20 quad_perm:[1,0,3,2] row_mask:0xf bank_mask:0xf bound_ctrl:1
	;;#ASMEND
	;;#ASMSTART
	v_max_f32 v25, v24, v24 quad_perm:[2,3,0,1] row_mask:0xf bank_mask:0xf bound_ctrl:1
	;;#ASMEND
	;;#ASMSTART
	v_max_f32 v24, v25, v25 row_half_mirror row_mask:0xf bank_mask:0xf bound_ctrl:1
	;;#ASMEND
	;;#ASMSTART
	v_max_f32 v25, v24, v24 row_mirror row_mask:0xf bank_mask:0xf bound_ctrl:1
	;;#ASMEND
	;;#ASMSTART
	v_max_f32 v24, v25, v25 row_ror:4 row_mask:0xf bank_mask:0xf bound_ctrl:1
	;;#ASMEND
	;;#ASMSTART
	v_max_f32 v25, v24, v24 row_ror:8 row_mask:0xf bank_mask:0xf bound_ctrl:1
	;;#ASMEND
	;;#ASMSTART
	v_max_f32 v24, v25, v25 row_bcast:15 row_mask:0xf bank_mask:0xf bound_ctrl:1
	;;#ASMEND
	;;#ASMSTART
	v_max_f32 v25, v24, v24 row_bcast:31 row_mask:0xf bank_mask:0xf bound_ctrl:1
	;;#ASMEND
	ds_bpermute_b32 v24, v18, v25
	v_cndmask_b32_e32 v21, v21, v7, vcc
	v_cndmask_b32_e32 v22, v22, v3, vcc
	v_cndmask_b32_e64 v23, 0, v21, s[0:1]
	s_waitcnt lgkmcnt(0)
	v_cmp_eq_f32_e32 vcc, v20, v24
	s_ff1_i32_b64 s7, vcc
	s_cmp_lg_u64 vcc, 0
	s_cselect_b32 s7, s7, 0
	v_readlane_b32 s7, v23, s7
	v_cmp_eq_u32_e32 vcc, s7, v21
	s_and_b64 vcc, s[0:1], vcc
	s_and_b32 s12, s7, 63
	v_cndmask_b32_e32 v21, 0, v22, vcc
	v_addc_co_u32_e32 v16, vcc, 0, v16, vcc
	v_readlane_b32 s0, v21, s12
	s_add_i32 s3, s3, -1
	v_mov_b32_e32 v20, s7
	v_mov_b32_e32 v21, s0
	v_cmp_eq_u32_e32 vcc, 0, v19
	s_cmp_eq_u32 s3, 0
	v_add_f32_e32 v15, s0, v15
	v_add_u32_e32 v19, -1, v19
	v_cndmask_b32_e32 v14, v14, v21, vcc
	v_cndmask_b32_e32 v13, v13, v20, vcc
	s_cbranch_scc0 .LBB175_14
; %bb.15:
	v_cmp_gt_i32_e32 vcc, s2, v0
	s_and_saveexec_b64 s[0:1], vcc
	s_cbranch_execz .LBB175_17
.LBB175_16:
	s_load_dword s2, s[4:5], 0x30
	v_max_f32_e32 v1, v15, v15
	v_max_f32_e32 v1, 0x1e3ce508, v1
	v_lshlrev_b32_e32 v0, 2, v0
	s_waitcnt lgkmcnt(0)
	v_div_scale_f32 v2, s[0:1], v1, v1, s2
	v_rcp_f32_e32 v3, v2
	v_div_scale_f32 v4, vcc, s2, v1, s2
	s_load_dwordx2 s[0:1], s[4:5], 0x20
	v_fma_f32 v5, -v2, v3, 1.0
	v_fmac_f32_e32 v3, v5, v3
	v_mul_f32_e32 v5, v4, v3
	v_fma_f32 v6, -v2, v5, v4
	v_fmac_f32_e32 v5, v6, v3
	v_fma_f32 v2, -v2, v5, v4
	v_div_fmas_f32 v2, v2, v3, v5
	v_div_fixup_f32 v1, v2, v1, s2
	s_ashr_i32 s2, s6, 31
	s_waitcnt lgkmcnt(0)
	s_mul_i32 s1, s6, s1
	s_mul_hi_u32 s3, s6, s0
	s_add_i32 s1, s3, s1
	s_mul_i32 s2, s2, s0
	s_add_i32 s1, s1, s2
	s_mul_i32 s0, s6, s0
	s_lshl_b64 s[0:1], s[0:1], 2
	s_add_u32 s2, s8, s0
	s_addc_u32 s3, s9, s1
	s_add_u32 s0, s10, s0
	v_mul_f32_e32 v1, v14, v1
	s_addc_u32 s1, s11, s1
	global_store_dword v0, v1, s[2:3]
	global_store_dword v0, v13, s[0:1]
.LBB175_17:
	s_endpgm
.LBB175_18:
	v_mov_b32_e32 v13, 0
	v_mov_b32_e32 v14, 0
	v_cmp_gt_i32_e32 vcc, s2, v0
	s_and_saveexec_b64 s[0:1], vcc
	s_cbranch_execnz .LBB175_16
	s_branch .LBB175_17
	.section	.rodata,"a",@progbits
	.p2align	6, 0x0
	.amdhsa_kernel _ZN5aiter24topk_softplus_kernel_optI6__half12hip_bfloat16Li256ELb1ELi1EEEvPKT_PKT0_PfPimiif
		.amdhsa_group_segment_fixed_size 0
		.amdhsa_private_segment_fixed_size 0
		.amdhsa_kernarg_size 52
		.amdhsa_user_sgpr_count 6
		.amdhsa_user_sgpr_private_segment_buffer 1
		.amdhsa_user_sgpr_dispatch_ptr 0
		.amdhsa_user_sgpr_queue_ptr 0
		.amdhsa_user_sgpr_kernarg_segment_ptr 1
		.amdhsa_user_sgpr_dispatch_id 0
		.amdhsa_user_sgpr_flat_scratch_init 0
		.amdhsa_user_sgpr_kernarg_preload_length 0
		.amdhsa_user_sgpr_kernarg_preload_offset 0
		.amdhsa_user_sgpr_private_segment_size 0
		.amdhsa_uses_dynamic_stack 0
		.amdhsa_system_sgpr_private_segment_wavefront_offset 0
		.amdhsa_system_sgpr_workgroup_id_x 1
		.amdhsa_system_sgpr_workgroup_id_y 0
		.amdhsa_system_sgpr_workgroup_id_z 0
		.amdhsa_system_sgpr_workgroup_info 0
		.amdhsa_system_vgpr_workitem_id 0
		.amdhsa_next_free_vgpr 26
		.amdhsa_next_free_sgpr 13
		.amdhsa_accum_offset 28
		.amdhsa_reserve_vcc 1
		.amdhsa_reserve_flat_scratch 0
		.amdhsa_float_round_mode_32 0
		.amdhsa_float_round_mode_16_64 0
		.amdhsa_float_denorm_mode_32 3
		.amdhsa_float_denorm_mode_16_64 3
		.amdhsa_dx10_clamp 1
		.amdhsa_ieee_mode 1
		.amdhsa_fp16_overflow 0
		.amdhsa_tg_split 0
		.amdhsa_exception_fp_ieee_invalid_op 0
		.amdhsa_exception_fp_denorm_src 0
		.amdhsa_exception_fp_ieee_div_zero 0
		.amdhsa_exception_fp_ieee_overflow 0
		.amdhsa_exception_fp_ieee_underflow 0
		.amdhsa_exception_fp_ieee_inexact 0
		.amdhsa_exception_int_div_zero 0
	.end_amdhsa_kernel
	.section	.text._ZN5aiter24topk_softplus_kernel_optI6__half12hip_bfloat16Li256ELb1ELi1EEEvPKT_PKT0_PfPimiif,"axG",@progbits,_ZN5aiter24topk_softplus_kernel_optI6__half12hip_bfloat16Li256ELb1ELi1EEEvPKT_PKT0_PfPimiif,comdat
.Lfunc_end175:
	.size	_ZN5aiter24topk_softplus_kernel_optI6__half12hip_bfloat16Li256ELb1ELi1EEEvPKT_PKT0_PfPimiif, .Lfunc_end175-_ZN5aiter24topk_softplus_kernel_optI6__half12hip_bfloat16Li256ELb1ELi1EEEvPKT_PKT0_PfPimiif
                                        ; -- End function
	.section	.AMDGPU.csdata,"",@progbits
; Kernel info:
; codeLenInByte = 1276
; NumSgprs: 17
; NumVgprs: 26
; NumAgprs: 0
; TotalNumVgprs: 26
; ScratchSize: 0
; MemoryBound: 0
; FloatMode: 240
; IeeeMode: 1
; LDSByteSize: 0 bytes/workgroup (compile time only)
; SGPRBlocks: 2
; VGPRBlocks: 3
; NumSGPRsForWavesPerEU: 17
; NumVGPRsForWavesPerEU: 26
; AccumOffset: 28
; Occupancy: 8
; WaveLimiterHint : 0
; COMPUTE_PGM_RSRC2:SCRATCH_EN: 0
; COMPUTE_PGM_RSRC2:USER_SGPR: 6
; COMPUTE_PGM_RSRC2:TRAP_HANDLER: 0
; COMPUTE_PGM_RSRC2:TGID_X_EN: 1
; COMPUTE_PGM_RSRC2:TGID_Y_EN: 0
; COMPUTE_PGM_RSRC2:TGID_Z_EN: 0
; COMPUTE_PGM_RSRC2:TIDIG_COMP_CNT: 0
; COMPUTE_PGM_RSRC3_GFX90A:ACCUM_OFFSET: 6
; COMPUTE_PGM_RSRC3_GFX90A:TG_SPLIT: 0
	.section	.text._ZN5aiter24topk_softplus_kernel_optI6__half12hip_bfloat16Li256ELb0ELi1EEEvPKT_PKT0_PfPimiif,"axG",@progbits,_ZN5aiter24topk_softplus_kernel_optI6__half12hip_bfloat16Li256ELb0ELi1EEEvPKT_PKT0_PfPimiif,comdat
	.protected	_ZN5aiter24topk_softplus_kernel_optI6__half12hip_bfloat16Li256ELb0ELi1EEEvPKT_PKT0_PfPimiif ; -- Begin function _ZN5aiter24topk_softplus_kernel_optI6__half12hip_bfloat16Li256ELb0ELi1EEEvPKT_PKT0_PfPimiif
	.globl	_ZN5aiter24topk_softplus_kernel_optI6__half12hip_bfloat16Li256ELb0ELi1EEEvPKT_PKT0_PfPimiif
	.p2align	8
	.type	_ZN5aiter24topk_softplus_kernel_optI6__half12hip_bfloat16Li256ELb0ELi1EEEvPKT_PKT0_PfPimiif,@function
_ZN5aiter24topk_softplus_kernel_optI6__half12hip_bfloat16Li256ELb0ELi1EEEvPKT_PKT0_PfPimiif: ; @_ZN5aiter24topk_softplus_kernel_optI6__half12hip_bfloat16Li256ELb0ELi1EEEvPKT_PKT0_PfPimiif
; %bb.0:
	s_load_dwordx4 s[0:3], s[4:5], 0x0
	s_lshl_b32 s8, s6, 8
	s_ashr_i32 s9, s8, 31
	s_lshl_b64 s[8:9], s[8:9], 1
	v_lshlrev_b32_e32 v1, 1, v0
	s_waitcnt lgkmcnt(0)
	s_add_u32 s10, s0, s8
	s_addc_u32 s11, s1, s9
	global_load_ushort v2, v1, s[10:11]
	s_mov_b32 s1, 0xc2fc0000
	v_mov_b32_e32 v3, 0x42800000
	s_mov_b32 s0, 0xbfb8aa3b
	v_mov_b32_e32 v6, 0x1f800000
	s_cmp_lg_u64 s[2:3], 0
	v_mov_b32_e32 v5, s11
	s_cselect_b64 s[8:9], -1, 0
	s_waitcnt vmcnt(0)
	v_cvt_f32_f16_e32 v4, v2
	v_mul_f32_e32 v4, 0xbfb8aa3b, v4
	v_cmp_gt_f32_e32 vcc, s1, v4
	v_cndmask_b32_e32 v4, 0, v3, vcc
	v_fma_mix_f32 v2, v2, s0, v4 op_sel_hi:[1,0,0]
	v_exp_f32_e32 v2, v2
	v_cndmask_b32_e32 v4, 1.0, v6, vcc
	v_fma_f32 v2, v2, v4, 1.0
	v_rcp_f32_e32 v2, v2
	v_add_co_u32_e32 v4, vcc, s10, v1
	v_addc_co_u32_e32 v5, vcc, 0, v5, vcc
	s_and_b64 vcc, exec, s[8:9]
	v_mov_b32_e32 v10, v2
	s_cbranch_vccz .LBB176_2
; %bb.1:
	global_load_ushort v7, v1, s[2:3]
	s_waitcnt vmcnt(0)
	v_lshlrev_b32_e32 v7, 16, v7
	v_add_f32_e32 v10, v2, v7
.LBB176_2:
	global_load_ushort v7, v[4:5], off offset:128
	s_waitcnt vmcnt(0)
	v_cvt_f32_f16_e32 v8, v7
	v_mul_f32_e32 v8, 0xbfb8aa3b, v8
	v_cmp_gt_f32_e32 vcc, s1, v8
	v_cndmask_b32_e32 v3, 0, v3, vcc
	v_fma_mix_f32 v3, v7, s0, v3 op_sel_hi:[1,0,0]
	v_exp_f32_e32 v3, v3
	v_cndmask_b32_e32 v6, 1.0, v6, vcc
	s_andn2_b64 vcc, exec, s[8:9]
	v_fma_f32 v3, v3, v6, 1.0
	v_rcp_f32_e32 v9, v3
	v_cndmask_b32_e64 v3, 0, 1, s[8:9]
	v_cmp_ne_u32_e64 s[0:1], 1, v3
	v_mov_b32_e32 v12, v9
	s_cbranch_vccnz .LBB176_4
; %bb.3:
	global_load_ushort v3, v1, s[2:3] offset:128
	s_waitcnt vmcnt(0)
	v_lshlrev_b32_e32 v3, 16, v3
	v_add_f32_e32 v12, v9, v3
.LBB176_4:
	global_load_ushort v6, v[4:5], off offset:256
	s_mov_b32 s8, 0xc2fc0000
	s_mov_b32 s7, 0xbfb8aa3b
	v_mov_b32_e32 v3, 0x1f800000
	s_waitcnt vmcnt(0)
	v_cvt_f32_f16_e32 v7, v6
	v_mul_f32_e32 v7, 0xbfb8aa3b, v7
	v_cmp_gt_f32_e32 vcc, s8, v7
	v_mov_b32_e32 v7, 0x42800000
	v_cndmask_b32_e32 v11, 0, v7, vcc
	v_fma_mix_f32 v6, v6, s7, v11 op_sel_hi:[1,0,0]
	v_exp_f32_e32 v6, v6
	v_cndmask_b32_e32 v8, 1.0, v3, vcc
	s_and_b64 vcc, exec, s[0:1]
	v_fma_f32 v6, v6, v8, 1.0
	v_rcp_f32_e32 v8, v6
	v_mov_b32_e32 v6, v8
	s_cbranch_vccnz .LBB176_6
; %bb.5:
	global_load_ushort v6, v1, s[2:3] offset:256
	s_waitcnt vmcnt(0)
	v_lshlrev_b32_e32 v6, 16, v6
	v_add_f32_e32 v6, v8, v6
.LBB176_6:
	global_load_ushort v4, v[4:5], off offset:384
	s_waitcnt vmcnt(0)
	v_cvt_f32_f16_e32 v5, v4
	v_mul_f32_e32 v5, 0xbfb8aa3b, v5
	v_cmp_gt_f32_e32 vcc, s8, v5
	v_cndmask_b32_e32 v5, 0, v7, vcc
	v_fma_mix_f32 v4, v4, s7, v5 op_sel_hi:[1,0,0]
	v_exp_f32_e32 v4, v4
	v_cndmask_b32_e32 v3, 1.0, v3, vcc
	s_and_b64 vcc, exec, s[0:1]
	v_fma_f32 v3, v4, v3, 1.0
	v_rcp_f32_e32 v3, v3
	v_mov_b32_e32 v5, v3
	s_cbranch_vccnz .LBB176_8
; %bb.7:
	global_load_ushort v1, v1, s[2:3] offset:384
	s_waitcnt vmcnt(0)
	v_lshlrev_b32_e32 v1, 16, v1
	v_add_f32_e32 v5, v3, v1
.LBB176_8:
	v_add_u32_e32 v4, 64, v0
	v_cmp_lt_f32_e32 vcc, v10, v12
	v_add_u32_e32 v15, 0x80, v0
	v_add_u32_e32 v7, 0xc0, v0
	v_cndmask_b32_e32 v11, v9, v2, vcc
	v_cndmask_b32_e32 v2, v2, v9, vcc
	;; [unrolled: 1-line block ×6, first 2 shown]
	v_cmp_lt_f32_e32 vcc, v6, v5
	v_mov_b32_e32 v12, v6
	s_and_saveexec_b64 s[0:1], vcc
	s_xor_b64 s[0:1], exec, s[0:1]
; %bb.9:
	v_mov_b32_e32 v12, v15
	v_mov_b32_e32 v13, v6
	;; [unrolled: 1-line block ×4, first 2 shown]
	v_swap_b32 v8, v3
	v_swap_b32 v15, v7
	v_mov_b32_e32 v12, v5
	v_mov_b32_e32 v5, v13
; %bb.10:
	s_or_b64 exec, exec, s[0:1]
	v_cmp_lt_f32_e32 vcc, v14, v6
	v_cndmask_b32_e32 v13, v8, v2, vcc
	v_cndmask_b32_e32 v2, v2, v8, vcc
	;; [unrolled: 1-line block ×6, first 2 shown]
	v_cmp_lt_f32_e32 vcc, v9, v5
	v_mov_b32_e32 v14, v9
	s_and_saveexec_b64 s[0:1], vcc
; %bb.11:
	v_mov_b32_e32 v14, v1
	v_mov_b32_e32 v15, v9
	;; [unrolled: 1-line block ×4, first 2 shown]
	v_swap_b32 v11, v3
	v_swap_b32 v1, v7
	v_mov_b32_e32 v14, v5
	v_mov_b32_e32 v5, v15
; %bb.12:
	s_or_b64 exec, exec, s[0:1]
	s_load_dword s2, s[4:5], 0x28
	s_load_dwordx4 s[8:11], s[4:5], 0x10
	s_waitcnt lgkmcnt(0)
	s_cmp_lt_i32 s2, 1
	s_cbranch_scc1 .LBB176_18
; %bb.13:
	v_cmp_lt_f32_e32 vcc, v9, v12
	v_cndmask_b32_e32 v8, v10, v1, vcc
	v_cndmask_b32_e32 v1, v1, v10, vcc
	;; [unrolled: 1-line block ×6, first 2 shown]
	v_mbcnt_lo_u32_b32 v13, -1, 0
	v_mbcnt_hi_u32_b32 v13, -1, v13
	v_bfrev_b32_e32 v17, 0.5
	v_mov_b32_e32 v15, 0
	v_mov_b32_e32 v14, 0
	;; [unrolled: 1-line block ×3, first 2 shown]
	v_lshl_or_b32 v17, v13, 2, v17
	v_mov_b32_e32 v18, v0
	s_mov_b32 s3, s2
	v_mov_b32_e32 v13, 0
.LBB176_14:                             ; =>This Inner Loop Header: Depth=1
	v_cmp_eq_u32_e32 vcc, 1, v15
	v_cndmask_b32_e32 v19, v6, v9, vcc
	v_cmp_eq_u32_e64 s[0:1], 2, v15
	v_cndmask_b32_e64 v19, v19, v10, s[0:1]
	v_cndmask_b32_e32 v20, v4, v1, vcc
	v_cndmask_b32_e32 v21, v2, v11, vcc
	v_cmp_eq_u32_e32 vcc, 3, v15
	v_cndmask_b32_e32 v19, v19, v5, vcc
	v_cndmask_b32_e64 v20, v20, v8, s[0:1]
	v_cndmask_b32_e64 v21, v21, v12, s[0:1]
	v_cmp_gt_u32_e64 s[0:1], 4, v15
	v_cndmask_b32_e64 v19, v16, v19, s[0:1]
	;;#ASMSTART
	v_max_f32 v23, v19, v19 quad_perm:[1,0,3,2] row_mask:0xf bank_mask:0xf bound_ctrl:1
	;;#ASMEND
	;;#ASMSTART
	v_max_f32 v24, v23, v23 quad_perm:[2,3,0,1] row_mask:0xf bank_mask:0xf bound_ctrl:1
	;;#ASMEND
	;;#ASMSTART
	v_max_f32 v23, v24, v24 row_half_mirror row_mask:0xf bank_mask:0xf bound_ctrl:1
	;;#ASMEND
	;;#ASMSTART
	v_max_f32 v24, v23, v23 row_mirror row_mask:0xf bank_mask:0xf bound_ctrl:1
	;;#ASMEND
	;;#ASMSTART
	v_max_f32 v23, v24, v24 row_ror:4 row_mask:0xf bank_mask:0xf bound_ctrl:1
	;;#ASMEND
	;;#ASMSTART
	v_max_f32 v24, v23, v23 row_ror:8 row_mask:0xf bank_mask:0xf bound_ctrl:1
	;;#ASMEND
	;;#ASMSTART
	v_max_f32 v23, v24, v24 row_bcast:15 row_mask:0xf bank_mask:0xf bound_ctrl:1
	;;#ASMEND
	;;#ASMSTART
	v_max_f32 v24, v23, v23 row_bcast:31 row_mask:0xf bank_mask:0xf bound_ctrl:1
	;;#ASMEND
	ds_bpermute_b32 v23, v17, v24
	v_cndmask_b32_e32 v20, v20, v7, vcc
	v_cndmask_b32_e32 v21, v21, v3, vcc
	v_cndmask_b32_e64 v22, 0, v20, s[0:1]
	s_waitcnt lgkmcnt(0)
	v_cmp_eq_f32_e32 vcc, v19, v23
	s_ff1_i32_b64 s7, vcc
	s_cmp_lg_u64 vcc, 0
	s_cselect_b32 s7, s7, 0
	v_readlane_b32 s7, v22, s7
	v_cmp_eq_u32_e32 vcc, s7, v20
	s_and_b64 vcc, s[0:1], vcc
	s_and_b32 s12, s7, 63
	v_cndmask_b32_e32 v20, 0, v21, vcc
	v_addc_co_u32_e32 v15, vcc, 0, v15, vcc
	v_readlane_b32 s0, v20, s12
	s_add_i32 s3, s3, -1
	v_mov_b32_e32 v19, s7
	v_mov_b32_e32 v20, s0
	v_cmp_eq_u32_e32 vcc, 0, v18
	s_cmp_eq_u32 s3, 0
	v_add_u32_e32 v18, -1, v18
	v_cndmask_b32_e32 v14, v14, v20, vcc
	v_cndmask_b32_e32 v13, v13, v19, vcc
	s_cbranch_scc0 .LBB176_14
; %bb.15:
	v_cmp_gt_i32_e32 vcc, s2, v0
	s_and_saveexec_b64 s[0:1], vcc
	s_cbranch_execz .LBB176_17
.LBB176_16:
	s_load_dword s2, s[4:5], 0x30
	s_load_dwordx2 s[0:1], s[4:5], 0x20
	s_ashr_i32 s3, s6, 31
	v_lshlrev_b32_e32 v0, 2, v0
	s_waitcnt lgkmcnt(0)
	v_mul_f32_e32 v1, s2, v14
	s_mul_i32 s1, s6, s1
	s_mul_hi_u32 s2, s6, s0
	s_add_i32 s1, s2, s1
	s_mul_i32 s3, s3, s0
	s_add_i32 s1, s1, s3
	s_mul_i32 s0, s6, s0
	s_lshl_b64 s[0:1], s[0:1], 2
	s_add_u32 s2, s8, s0
	s_addc_u32 s3, s9, s1
	s_add_u32 s0, s10, s0
	s_addc_u32 s1, s11, s1
	global_store_dword v0, v1, s[2:3]
	global_store_dword v0, v13, s[0:1]
.LBB176_17:
	s_endpgm
.LBB176_18:
	v_mov_b32_e32 v13, 0
	v_mov_b32_e32 v14, 0
	v_cmp_gt_i32_e32 vcc, s2, v0
	s_and_saveexec_b64 s[0:1], vcc
	s_cbranch_execnz .LBB176_16
	s_branch .LBB176_17
	.section	.rodata,"a",@progbits
	.p2align	6, 0x0
	.amdhsa_kernel _ZN5aiter24topk_softplus_kernel_optI6__half12hip_bfloat16Li256ELb0ELi1EEEvPKT_PKT0_PfPimiif
		.amdhsa_group_segment_fixed_size 0
		.amdhsa_private_segment_fixed_size 0
		.amdhsa_kernarg_size 52
		.amdhsa_user_sgpr_count 6
		.amdhsa_user_sgpr_private_segment_buffer 1
		.amdhsa_user_sgpr_dispatch_ptr 0
		.amdhsa_user_sgpr_queue_ptr 0
		.amdhsa_user_sgpr_kernarg_segment_ptr 1
		.amdhsa_user_sgpr_dispatch_id 0
		.amdhsa_user_sgpr_flat_scratch_init 0
		.amdhsa_user_sgpr_kernarg_preload_length 0
		.amdhsa_user_sgpr_kernarg_preload_offset 0
		.amdhsa_user_sgpr_private_segment_size 0
		.amdhsa_uses_dynamic_stack 0
		.amdhsa_system_sgpr_private_segment_wavefront_offset 0
		.amdhsa_system_sgpr_workgroup_id_x 1
		.amdhsa_system_sgpr_workgroup_id_y 0
		.amdhsa_system_sgpr_workgroup_id_z 0
		.amdhsa_system_sgpr_workgroup_info 0
		.amdhsa_system_vgpr_workitem_id 0
		.amdhsa_next_free_vgpr 25
		.amdhsa_next_free_sgpr 13
		.amdhsa_accum_offset 28
		.amdhsa_reserve_vcc 1
		.amdhsa_reserve_flat_scratch 0
		.amdhsa_float_round_mode_32 0
		.amdhsa_float_round_mode_16_64 0
		.amdhsa_float_denorm_mode_32 3
		.amdhsa_float_denorm_mode_16_64 3
		.amdhsa_dx10_clamp 1
		.amdhsa_ieee_mode 1
		.amdhsa_fp16_overflow 0
		.amdhsa_tg_split 0
		.amdhsa_exception_fp_ieee_invalid_op 0
		.amdhsa_exception_fp_denorm_src 0
		.amdhsa_exception_fp_ieee_div_zero 0
		.amdhsa_exception_fp_ieee_overflow 0
		.amdhsa_exception_fp_ieee_underflow 0
		.amdhsa_exception_fp_ieee_inexact 0
		.amdhsa_exception_int_div_zero 0
	.end_amdhsa_kernel
	.section	.text._ZN5aiter24topk_softplus_kernel_optI6__half12hip_bfloat16Li256ELb0ELi1EEEvPKT_PKT0_PfPimiif,"axG",@progbits,_ZN5aiter24topk_softplus_kernel_optI6__half12hip_bfloat16Li256ELb0ELi1EEEvPKT_PKT0_PfPimiif,comdat
.Lfunc_end176:
	.size	_ZN5aiter24topk_softplus_kernel_optI6__half12hip_bfloat16Li256ELb0ELi1EEEvPKT_PKT0_PfPimiif, .Lfunc_end176-_ZN5aiter24topk_softplus_kernel_optI6__half12hip_bfloat16Li256ELb0ELi1EEEvPKT_PKT0_PfPimiif
                                        ; -- End function
	.section	.AMDGPU.csdata,"",@progbits
; Kernel info:
; codeLenInByte = 1176
; NumSgprs: 17
; NumVgprs: 25
; NumAgprs: 0
; TotalNumVgprs: 25
; ScratchSize: 0
; MemoryBound: 0
; FloatMode: 240
; IeeeMode: 1
; LDSByteSize: 0 bytes/workgroup (compile time only)
; SGPRBlocks: 2
; VGPRBlocks: 3
; NumSGPRsForWavesPerEU: 17
; NumVGPRsForWavesPerEU: 25
; AccumOffset: 28
; Occupancy: 8
; WaveLimiterHint : 0
; COMPUTE_PGM_RSRC2:SCRATCH_EN: 0
; COMPUTE_PGM_RSRC2:USER_SGPR: 6
; COMPUTE_PGM_RSRC2:TRAP_HANDLER: 0
; COMPUTE_PGM_RSRC2:TGID_X_EN: 1
; COMPUTE_PGM_RSRC2:TGID_Y_EN: 0
; COMPUTE_PGM_RSRC2:TGID_Z_EN: 0
; COMPUTE_PGM_RSRC2:TIDIG_COMP_CNT: 0
; COMPUTE_PGM_RSRC3_GFX90A:ACCUM_OFFSET: 6
; COMPUTE_PGM_RSRC3_GFX90A:TG_SPLIT: 0
	.section	.text._ZN5aiter24topk_softplus_kernel_optI6__half12hip_bfloat16Li384ELb1ELi1EEEvPKT_PKT0_PfPimiif,"axG",@progbits,_ZN5aiter24topk_softplus_kernel_optI6__half12hip_bfloat16Li384ELb1ELi1EEEvPKT_PKT0_PfPimiif,comdat
	.protected	_ZN5aiter24topk_softplus_kernel_optI6__half12hip_bfloat16Li384ELb1ELi1EEEvPKT_PKT0_PfPimiif ; -- Begin function _ZN5aiter24topk_softplus_kernel_optI6__half12hip_bfloat16Li384ELb1ELi1EEEvPKT_PKT0_PfPimiif
	.globl	_ZN5aiter24topk_softplus_kernel_optI6__half12hip_bfloat16Li384ELb1ELi1EEEvPKT_PKT0_PfPimiif
	.p2align	8
	.type	_ZN5aiter24topk_softplus_kernel_optI6__half12hip_bfloat16Li384ELb1ELi1EEEvPKT_PKT0_PfPimiif,@function
_ZN5aiter24topk_softplus_kernel_optI6__half12hip_bfloat16Li384ELb1ELi1EEEvPKT_PKT0_PfPimiif: ; @_ZN5aiter24topk_softplus_kernel_optI6__half12hip_bfloat16Li384ELb1ELi1EEEvPKT_PKT0_PfPimiif
; %bb.0:
	s_load_dwordx4 s[0:3], s[4:5], 0x0
	s_mul_i32 s8, s6, 0x180
	s_ashr_i32 s9, s8, 31
	s_lshl_b64 s[8:9], s[8:9], 1
	v_lshlrev_b32_e32 v1, 1, v0
	s_waitcnt lgkmcnt(0)
	s_add_u32 s10, s0, s8
	s_addc_u32 s11, s1, s9
	global_load_ushort v2, v1, s[10:11]
	s_mov_b32 s1, 0xc2fc0000
	v_mov_b32_e32 v6, 0x42800000
	s_mov_b32 s0, 0xbfb8aa3b
	v_mov_b32_e32 v7, 0x1f800000
	s_cmp_lg_u64 s[2:3], 0
	s_cselect_b64 s[8:9], -1, 0
	s_waitcnt vmcnt(0)
	v_cvt_f32_f16_e32 v3, v2
	v_mul_f32_e32 v3, 0xbfb8aa3b, v3
	v_cmp_gt_f32_e32 vcc, s1, v3
	v_cndmask_b32_e32 v3, 0, v6, vcc
	v_fma_mix_f32 v2, v2, s0, v3 op_sel_hi:[1,0,0]
	v_exp_f32_e32 v2, v2
	v_cndmask_b32_e32 v4, 1.0, v7, vcc
	v_mov_b32_e32 v3, s11
	v_fma_f32 v2, v2, v4, 1.0
	v_rcp_f32_e32 v4, v2
	v_add_co_u32_e32 v2, vcc, s10, v1
	v_addc_co_u32_e32 v3, vcc, 0, v3, vcc
	s_and_b64 vcc, exec, s[8:9]
	v_mov_b32_e32 v5, v4
	s_cbranch_vccz .LBB177_2
; %bb.1:
	global_load_ushort v5, v1, s[2:3]
	s_waitcnt vmcnt(0)
	v_lshlrev_b32_e32 v5, 16, v5
	v_add_f32_e32 v5, v4, v5
.LBB177_2:
	global_load_ushort v8, v[2:3], off offset:128
	s_waitcnt vmcnt(0)
	v_cvt_f32_f16_e32 v9, v8
	v_mul_f32_e32 v9, 0xbfb8aa3b, v9
	v_cmp_gt_f32_e32 vcc, s1, v9
	v_cndmask_b32_e32 v6, 0, v6, vcc
	v_fma_mix_f32 v6, v8, s0, v6 op_sel_hi:[1,0,0]
	v_exp_f32_e32 v6, v6
	v_cndmask_b32_e32 v7, 1.0, v7, vcc
	s_andn2_b64 vcc, exec, s[8:9]
	v_fma_f32 v6, v6, v7, 1.0
	v_rcp_f32_e32 v6, v6
	v_cndmask_b32_e64 v7, 0, 1, s[8:9]
	v_cmp_ne_u32_e64 s[0:1], 1, v7
	v_mov_b32_e32 v7, v6
	s_cbranch_vccnz .LBB177_4
; %bb.3:
	global_load_ushort v7, v1, s[2:3] offset:128
	s_waitcnt vmcnt(0)
	v_lshlrev_b32_e32 v7, 16, v7
	v_add_f32_e32 v7, v6, v7
.LBB177_4:
	global_load_ushort v8, v[2:3], off offset:256
	s_mov_b32 s8, 0xc2fc0000
	v_mov_b32_e32 v11, 0x42800000
	s_mov_b32 s7, 0xbfb8aa3b
	v_mov_b32_e32 v10, 0x1f800000
	s_waitcnt vmcnt(0)
	v_cvt_f32_f16_e32 v9, v8
	v_mul_f32_e32 v9, 0xbfb8aa3b, v9
	v_cmp_gt_f32_e32 vcc, s8, v9
	v_cndmask_b32_e32 v12, 0, v11, vcc
	v_fma_mix_f32 v8, v8, s7, v12 op_sel_hi:[1,0,0]
	v_exp_f32_e32 v8, v8
	v_cndmask_b32_e32 v9, 1.0, v10, vcc
	s_and_b64 vcc, exec, s[0:1]
	v_fma_f32 v8, v8, v9, 1.0
	v_rcp_f32_e32 v8, v8
	v_mov_b32_e32 v9, v8
	s_cbranch_vccnz .LBB177_6
; %bb.5:
	global_load_ushort v9, v1, s[2:3] offset:256
	s_waitcnt vmcnt(0)
	v_lshlrev_b32_e32 v9, 16, v9
	v_add_f32_e32 v9, v8, v9
.LBB177_6:
	global_load_ushort v12, v[2:3], off offset:384
	s_waitcnt vmcnt(0)
	v_cvt_f32_f16_e32 v13, v12
	v_mul_f32_e32 v13, 0xbfb8aa3b, v13
	v_cmp_gt_f32_e32 vcc, s8, v13
	v_cndmask_b32_e32 v11, 0, v11, vcc
	v_fma_mix_f32 v11, v12, s7, v11 op_sel_hi:[1,0,0]
	v_exp_f32_e32 v11, v11
	v_cndmask_b32_e32 v10, 1.0, v10, vcc
	s_and_b64 vcc, exec, s[0:1]
	v_fma_f32 v10, v11, v10, 1.0
	v_rcp_f32_e32 v10, v10
	v_mov_b32_e32 v11, v10
	s_cbranch_vccnz .LBB177_8
; %bb.7:
	global_load_ushort v11, v1, s[2:3] offset:384
	s_waitcnt vmcnt(0)
	v_lshlrev_b32_e32 v11, 16, v11
	v_add_f32_e32 v11, v10, v11
.LBB177_8:
	global_load_ushort v12, v[2:3], off offset:512
	v_mov_b32_e32 v15, 0x42800000
	v_mov_b32_e32 v14, 0x1f800000
	s_waitcnt vmcnt(0)
	v_cvt_f32_f16_e32 v13, v12
	v_mul_f32_e32 v13, 0xbfb8aa3b, v13
	v_cmp_gt_f32_e32 vcc, s8, v13
	v_cndmask_b32_e32 v16, 0, v15, vcc
	v_fma_mix_f32 v12, v12, s7, v16 op_sel_hi:[1,0,0]
	v_exp_f32_e32 v12, v12
	v_cndmask_b32_e32 v13, 1.0, v14, vcc
	s_and_b64 vcc, exec, s[0:1]
	v_fma_f32 v12, v12, v13, 1.0
	v_rcp_f32_e32 v12, v12
	v_mov_b32_e32 v13, v12
	s_cbranch_vccnz .LBB177_10
; %bb.9:
	global_load_ushort v13, v1, s[2:3] offset:512
	s_waitcnt vmcnt(0)
	v_lshlrev_b32_e32 v13, 16, v13
	v_add_f32_e32 v13, v12, v13
.LBB177_10:
	global_load_ushort v2, v[2:3], off offset:640
	s_waitcnt vmcnt(0)
	v_cvt_f32_f16_e32 v3, v2
	v_mul_f32_e32 v3, 0xbfb8aa3b, v3
	v_cmp_gt_f32_e32 vcc, s8, v3
	v_cndmask_b32_e32 v3, 1.0, v14, vcc
	v_cndmask_b32_e32 v14, 0, v15, vcc
	v_fma_mix_f32 v2, v2, s7, v14 op_sel_hi:[1,0,0]
	v_exp_f32_e32 v2, v2
	s_and_b64 vcc, exec, s[0:1]
	v_fma_f32 v2, v2, v3, 1.0
	v_rcp_f32_e32 v2, v2
	v_mov_b32_e32 v3, v2
	s_cbranch_vccnz .LBB177_12
; %bb.11:
	global_load_ushort v1, v1, s[2:3] offset:640
	s_waitcnt vmcnt(0)
	v_lshlrev_b32_e32 v1, 16, v1
	v_add_f32_e32 v3, v2, v1
.LBB177_12:
	v_add_u32_e32 v1, 64, v0
	v_cmp_lt_f32_e32 vcc, v5, v7
	v_add_u32_e32 v14, 0x80, v0
	v_add_u32_e32 v15, 0xc0, v0
	v_cndmask_b32_e32 v18, v6, v4, vcc
	v_cndmask_b32_e32 v4, v4, v6, vcc
	;; [unrolled: 1-line block ×6, first 2 shown]
	v_cmp_lt_f32_e32 vcc, v9, v11
	v_add_u32_e32 v16, 0x100, v0
	v_add_u32_e32 v17, 0x140, v0
	v_cndmask_b32_e32 v7, v10, v8, vcc
	v_cndmask_b32_e32 v8, v8, v10, vcc
	v_cndmask_b32_e32 v10, v15, v14, vcc
	v_cndmask_b32_e32 v14, v14, v15, vcc
	v_cndmask_b32_e32 v15, v11, v9, vcc
	v_cndmask_b32_e32 v9, v9, v11, vcc
	v_cmp_lt_f32_e32 vcc, v13, v3
	v_cndmask_b32_e32 v11, v2, v12, vcc
	v_cndmask_b32_e32 v2, v12, v2, vcc
	v_cndmask_b32_e32 v12, v17, v16, vcc
	v_cndmask_b32_e32 v16, v16, v17, vcc
	v_cndmask_b32_e32 v17, v3, v13, vcc
	v_cndmask_b32_e32 v3, v13, v3, vcc
	v_cmp_lt_f32_e32 vcc, v5, v9
	;; [unrolled: 7-line block ×7, first 2 shown]
	v_cndmask_b32_e32 v12, v21, v23, vcc
	v_cmp_lt_f32_e64 s[0:1], v26, v13
	v_cndmask_b32_e32 v5, v22, v9, vcc
	v_cndmask_b32_e32 v8, v9, v22, vcc
	;; [unrolled: 1-line block ×3, first 2 shown]
	v_cndmask_b32_e64 v18, v1, v24, s[0:1]
	v_cndmask_b32_e64 v14, v3, v25, s[0:1]
	;; [unrolled: 1-line block ×3, first 2 shown]
	v_cmp_lt_f32_e64 s[2:3], v16, v12
	v_cndmask_b32_e32 v10, v20, v11, vcc
	v_cndmask_b32_e32 v9, v23, v21, vcc
	v_cndmask_b32_e64 v1, v24, v1, s[0:1]
	v_cndmask_b32_e64 v3, v25, v3, s[0:1]
	v_cndmask_b32_e64 v11, v26, v13, s[0:1]
	s_and_saveexec_b64 s[0:1], s[2:3]
	s_xor_b64 s[0:1], exec, s[0:1]
; %bb.13:
	v_mov_b32_e32 v13, v19
	v_mov_b32_e32 v20, v15
	v_mov_b32_e32 v21, v16
	v_swap_b32 v16, v12
	v_swap_b32 v19, v8
	;; [unrolled: 1-line block ×3, first 2 shown]
; %bb.14:
	s_or_b64 exec, exec, s[0:1]
	s_load_dword s7, s[4:5], 0x28
	s_load_dwordx4 s[16:19], s[4:5], 0x10
	v_mov_b32_e32 v21, 0
	s_waitcnt lgkmcnt(0)
	s_cmp_lt_i32 s7, 1
	s_cbranch_scc1 .LBB177_20
; %bb.15:
	v_cmp_lt_f32_e32 vcc, v17, v16
	v_cndmask_b32_e32 v13, v15, v14, vcc
	v_cndmask_b32_e32 v14, v14, v15, vcc
	;; [unrolled: 1-line block ×6, first 2 shown]
	v_mbcnt_lo_u32_b32 v19, -1, 0
	v_mbcnt_hi_u32_b32 v19, -1, v19
	v_bfrev_b32_e32 v20, 0.5
	v_mov_b32_e32 v21, 0
	v_mov_b32_e32 v22, 0
	v_mov_b32_e32 v23, 0xff800000
	v_lshl_or_b32 v24, v19, 2, v20
	v_mov_b32_e32 v25, v0
	s_mov_b32 s20, s7
	v_mov_b32_e32 v19, 0
	v_mov_b32_e32 v20, 0
.LBB177_16:                             ; =>This Inner Loop Header: Depth=1
	v_cmp_eq_u32_e32 vcc, 1, v22
	v_cndmask_b32_e32 v26, v6, v11, vcc
	v_cmp_eq_u32_e64 s[0:1], 2, v22
	v_cndmask_b32_e64 v26, v26, v16, s[0:1]
	v_cmp_eq_u32_e64 s[2:3], 3, v22
	v_cndmask_b32_e64 v26, v26, v15, s[2:3]
	;; [unrolled: 2-line block ×4, first 2 shown]
	v_cmp_gt_u32_e64 s[12:13], 6, v22
	v_cndmask_b32_e64 v26, v23, v26, s[12:13]
	;;#ASMSTART
	v_max_f32 v27, v26, v26 quad_perm:[1,0,3,2] row_mask:0xf bank_mask:0xf bound_ctrl:1
	;;#ASMEND
	;;#ASMSTART
	v_max_f32 v28, v27, v27 quad_perm:[2,3,0,1] row_mask:0xf bank_mask:0xf bound_ctrl:1
	;;#ASMEND
	;;#ASMSTART
	v_max_f32 v27, v28, v28 row_half_mirror row_mask:0xf bank_mask:0xf bound_ctrl:1
	;;#ASMEND
	;;#ASMSTART
	v_max_f32 v28, v27, v27 row_mirror row_mask:0xf bank_mask:0xf bound_ctrl:1
	;;#ASMEND
	;;#ASMSTART
	v_max_f32 v27, v28, v28 row_ror:4 row_mask:0xf bank_mask:0xf bound_ctrl:1
	;;#ASMEND
	;;#ASMSTART
	v_max_f32 v28, v27, v27 row_ror:8 row_mask:0xf bank_mask:0xf bound_ctrl:1
	;;#ASMEND
	;;#ASMSTART
	v_max_f32 v27, v28, v28 row_bcast:15 row_mask:0xf bank_mask:0xf bound_ctrl:1
	;;#ASMEND
	;;#ASMSTART
	v_max_f32 v28, v27, v27 row_bcast:31 row_mask:0xf bank_mask:0xf bound_ctrl:1
	;;#ASMEND
	ds_bpermute_b32 v27, v24, v28
	s_waitcnt lgkmcnt(0)
	v_cmp_eq_f32_e64 s[14:15], v26, v27
	v_cndmask_b32_e32 v26, v4, v3, vcc
	v_cndmask_b32_e64 v26, v26, v14, s[0:1]
	v_cndmask_b32_e64 v26, v26, v13, s[2:3]
	;; [unrolled: 1-line block ×4, first 2 shown]
	s_ff1_i32_b64 s21, s[14:15]
	s_cmp_lg_u64 s[14:15], 0
	s_cselect_b32 s14, s21, 0
	v_cndmask_b32_e64 v27, 0, v26, s[12:13]
	v_readlane_b32 s21, v27, s14
	v_cmp_eq_u32_e64 s[14:15], s21, v26
	v_cndmask_b32_e32 v26, v2, v1, vcc
	v_cndmask_b32_e64 v26, v26, v18, s[0:1]
	v_cndmask_b32_e64 v26, v26, v17, s[2:3]
	v_cndmask_b32_e64 v26, v26, v8, s[8:9]
	v_cndmask_b32_e64 v26, v26, v5, s[10:11]
	s_and_b64 vcc, s[12:13], s[14:15]
	s_and_b32 s0, s21, 63
	v_cndmask_b32_e32 v26, 0, v26, vcc
	v_readlane_b32 s2, v26, s0
	v_mov_b32_e32 v26, s2
	v_cmp_eq_u32_e64 s[0:1], 0, v25
	v_cndmask_b32_e64 v20, v20, v26, s[0:1]
	v_mov_b32_e32 v26, s21
	s_add_i32 s20, s20, -1
	v_cndmask_b32_e64 v19, v19, v26, s[0:1]
	v_addc_co_u32_e32 v22, vcc, 0, v22, vcc
	s_cmp_eq_u32 s20, 0
	v_add_f32_e32 v21, s2, v21
	v_add_u32_e32 v25, -1, v25
	s_cbranch_scc0 .LBB177_16
; %bb.17:
	v_cmp_gt_i32_e32 vcc, s7, v0
	s_and_saveexec_b64 s[0:1], vcc
	s_cbranch_execz .LBB177_19
.LBB177_18:
	s_load_dword s2, s[4:5], 0x30
	v_max_f32_e32 v1, v21, v21
	v_max_f32_e32 v1, 0x1e3ce508, v1
	v_lshlrev_b32_e32 v0, 2, v0
	s_waitcnt lgkmcnt(0)
	v_div_scale_f32 v2, s[0:1], v1, v1, s2
	v_rcp_f32_e32 v3, v2
	v_div_scale_f32 v4, vcc, s2, v1, s2
	s_load_dwordx2 s[0:1], s[4:5], 0x20
	v_fma_f32 v5, -v2, v3, 1.0
	v_fmac_f32_e32 v3, v5, v3
	v_mul_f32_e32 v5, v4, v3
	v_fma_f32 v6, -v2, v5, v4
	v_fmac_f32_e32 v5, v6, v3
	v_fma_f32 v2, -v2, v5, v4
	v_div_fmas_f32 v2, v2, v3, v5
	v_div_fixup_f32 v1, v2, v1, s2
	s_ashr_i32 s2, s6, 31
	s_waitcnt lgkmcnt(0)
	s_mul_i32 s1, s6, s1
	s_mul_hi_u32 s3, s6, s0
	s_add_i32 s1, s3, s1
	s_mul_i32 s2, s2, s0
	s_add_i32 s1, s1, s2
	s_mul_i32 s0, s6, s0
	s_lshl_b64 s[0:1], s[0:1], 2
	s_add_u32 s2, s16, s0
	s_addc_u32 s3, s17, s1
	s_add_u32 s0, s18, s0
	v_mul_f32_e32 v1, v20, v1
	s_addc_u32 s1, s19, s1
	global_store_dword v0, v1, s[2:3]
	global_store_dword v0, v19, s[0:1]
.LBB177_19:
	s_endpgm
.LBB177_20:
	v_mov_b32_e32 v19, 0
	v_mov_b32_e32 v20, 0
	v_cmp_gt_i32_e32 vcc, s7, v0
	s_and_saveexec_b64 s[0:1], vcc
	s_cbranch_execnz .LBB177_18
	s_branch .LBB177_19
	.section	.rodata,"a",@progbits
	.p2align	6, 0x0
	.amdhsa_kernel _ZN5aiter24topk_softplus_kernel_optI6__half12hip_bfloat16Li384ELb1ELi1EEEvPKT_PKT0_PfPimiif
		.amdhsa_group_segment_fixed_size 0
		.amdhsa_private_segment_fixed_size 0
		.amdhsa_kernarg_size 52
		.amdhsa_user_sgpr_count 6
		.amdhsa_user_sgpr_private_segment_buffer 1
		.amdhsa_user_sgpr_dispatch_ptr 0
		.amdhsa_user_sgpr_queue_ptr 0
		.amdhsa_user_sgpr_kernarg_segment_ptr 1
		.amdhsa_user_sgpr_dispatch_id 0
		.amdhsa_user_sgpr_flat_scratch_init 0
		.amdhsa_user_sgpr_kernarg_preload_length 0
		.amdhsa_user_sgpr_kernarg_preload_offset 0
		.amdhsa_user_sgpr_private_segment_size 0
		.amdhsa_uses_dynamic_stack 0
		.amdhsa_system_sgpr_private_segment_wavefront_offset 0
		.amdhsa_system_sgpr_workgroup_id_x 1
		.amdhsa_system_sgpr_workgroup_id_y 0
		.amdhsa_system_sgpr_workgroup_id_z 0
		.amdhsa_system_sgpr_workgroup_info 0
		.amdhsa_system_vgpr_workitem_id 0
		.amdhsa_next_free_vgpr 29
		.amdhsa_next_free_sgpr 22
		.amdhsa_accum_offset 32
		.amdhsa_reserve_vcc 1
		.amdhsa_reserve_flat_scratch 0
		.amdhsa_float_round_mode_32 0
		.amdhsa_float_round_mode_16_64 0
		.amdhsa_float_denorm_mode_32 3
		.amdhsa_float_denorm_mode_16_64 3
		.amdhsa_dx10_clamp 1
		.amdhsa_ieee_mode 1
		.amdhsa_fp16_overflow 0
		.amdhsa_tg_split 0
		.amdhsa_exception_fp_ieee_invalid_op 0
		.amdhsa_exception_fp_denorm_src 0
		.amdhsa_exception_fp_ieee_div_zero 0
		.amdhsa_exception_fp_ieee_overflow 0
		.amdhsa_exception_fp_ieee_underflow 0
		.amdhsa_exception_fp_ieee_inexact 0
		.amdhsa_exception_int_div_zero 0
	.end_amdhsa_kernel
	.section	.text._ZN5aiter24topk_softplus_kernel_optI6__half12hip_bfloat16Li384ELb1ELi1EEEvPKT_PKT0_PfPimiif,"axG",@progbits,_ZN5aiter24topk_softplus_kernel_optI6__half12hip_bfloat16Li384ELb1ELi1EEEvPKT_PKT0_PfPimiif,comdat
.Lfunc_end177:
	.size	_ZN5aiter24topk_softplus_kernel_optI6__half12hip_bfloat16Li384ELb1ELi1EEEvPKT_PKT0_PfPimiif, .Lfunc_end177-_ZN5aiter24topk_softplus_kernel_optI6__half12hip_bfloat16Li384ELb1ELi1EEEvPKT_PKT0_PfPimiif
                                        ; -- End function
	.section	.AMDGPU.csdata,"",@progbits
; Kernel info:
; codeLenInByte = 1792
; NumSgprs: 26
; NumVgprs: 29
; NumAgprs: 0
; TotalNumVgprs: 29
; ScratchSize: 0
; MemoryBound: 0
; FloatMode: 240
; IeeeMode: 1
; LDSByteSize: 0 bytes/workgroup (compile time only)
; SGPRBlocks: 3
; VGPRBlocks: 3
; NumSGPRsForWavesPerEU: 26
; NumVGPRsForWavesPerEU: 29
; AccumOffset: 32
; Occupancy: 8
; WaveLimiterHint : 0
; COMPUTE_PGM_RSRC2:SCRATCH_EN: 0
; COMPUTE_PGM_RSRC2:USER_SGPR: 6
; COMPUTE_PGM_RSRC2:TRAP_HANDLER: 0
; COMPUTE_PGM_RSRC2:TGID_X_EN: 1
; COMPUTE_PGM_RSRC2:TGID_Y_EN: 0
; COMPUTE_PGM_RSRC2:TGID_Z_EN: 0
; COMPUTE_PGM_RSRC2:TIDIG_COMP_CNT: 0
; COMPUTE_PGM_RSRC3_GFX90A:ACCUM_OFFSET: 7
; COMPUTE_PGM_RSRC3_GFX90A:TG_SPLIT: 0
	.section	.text._ZN5aiter24topk_softplus_kernel_optI6__half12hip_bfloat16Li384ELb0ELi1EEEvPKT_PKT0_PfPimiif,"axG",@progbits,_ZN5aiter24topk_softplus_kernel_optI6__half12hip_bfloat16Li384ELb0ELi1EEEvPKT_PKT0_PfPimiif,comdat
	.protected	_ZN5aiter24topk_softplus_kernel_optI6__half12hip_bfloat16Li384ELb0ELi1EEEvPKT_PKT0_PfPimiif ; -- Begin function _ZN5aiter24topk_softplus_kernel_optI6__half12hip_bfloat16Li384ELb0ELi1EEEvPKT_PKT0_PfPimiif
	.globl	_ZN5aiter24topk_softplus_kernel_optI6__half12hip_bfloat16Li384ELb0ELi1EEEvPKT_PKT0_PfPimiif
	.p2align	8
	.type	_ZN5aiter24topk_softplus_kernel_optI6__half12hip_bfloat16Li384ELb0ELi1EEEvPKT_PKT0_PfPimiif,@function
_ZN5aiter24topk_softplus_kernel_optI6__half12hip_bfloat16Li384ELb0ELi1EEEvPKT_PKT0_PfPimiif: ; @_ZN5aiter24topk_softplus_kernel_optI6__half12hip_bfloat16Li384ELb0ELi1EEEvPKT_PKT0_PfPimiif
; %bb.0:
	s_load_dwordx4 s[0:3], s[4:5], 0x0
	s_mul_i32 s8, s6, 0x180
	s_ashr_i32 s9, s8, 31
	s_lshl_b64 s[8:9], s[8:9], 1
	v_lshlrev_b32_e32 v1, 1, v0
	s_waitcnt lgkmcnt(0)
	s_add_u32 s10, s0, s8
	s_addc_u32 s11, s1, s9
	global_load_ushort v2, v1, s[10:11]
	s_mov_b32 s1, 0xc2fc0000
	v_mov_b32_e32 v6, 0x42800000
	s_mov_b32 s0, 0xbfb8aa3b
	v_mov_b32_e32 v7, 0x1f800000
	s_cmp_lg_u64 s[2:3], 0
	s_cselect_b64 s[8:9], -1, 0
	s_waitcnt vmcnt(0)
	v_cvt_f32_f16_e32 v3, v2
	v_mul_f32_e32 v3, 0xbfb8aa3b, v3
	v_cmp_gt_f32_e32 vcc, s1, v3
	v_cndmask_b32_e32 v3, 0, v6, vcc
	v_fma_mix_f32 v2, v2, s0, v3 op_sel_hi:[1,0,0]
	v_exp_f32_e32 v2, v2
	v_cndmask_b32_e32 v4, 1.0, v7, vcc
	v_mov_b32_e32 v3, s11
	v_fma_f32 v2, v2, v4, 1.0
	v_rcp_f32_e32 v4, v2
	v_add_co_u32_e32 v2, vcc, s10, v1
	v_addc_co_u32_e32 v3, vcc, 0, v3, vcc
	s_and_b64 vcc, exec, s[8:9]
	v_mov_b32_e32 v5, v4
	s_cbranch_vccz .LBB178_2
; %bb.1:
	global_load_ushort v5, v1, s[2:3]
	s_waitcnt vmcnt(0)
	v_lshlrev_b32_e32 v5, 16, v5
	v_add_f32_e32 v5, v4, v5
.LBB178_2:
	global_load_ushort v8, v[2:3], off offset:128
	s_waitcnt vmcnt(0)
	v_cvt_f32_f16_e32 v9, v8
	v_mul_f32_e32 v9, 0xbfb8aa3b, v9
	v_cmp_gt_f32_e32 vcc, s1, v9
	v_cndmask_b32_e32 v6, 0, v6, vcc
	v_fma_mix_f32 v6, v8, s0, v6 op_sel_hi:[1,0,0]
	v_exp_f32_e32 v6, v6
	v_cndmask_b32_e32 v7, 1.0, v7, vcc
	s_andn2_b64 vcc, exec, s[8:9]
	v_fma_f32 v6, v6, v7, 1.0
	v_rcp_f32_e32 v6, v6
	v_cndmask_b32_e64 v7, 0, 1, s[8:9]
	v_cmp_ne_u32_e64 s[0:1], 1, v7
	v_mov_b32_e32 v7, v6
	s_cbranch_vccnz .LBB178_4
; %bb.3:
	global_load_ushort v7, v1, s[2:3] offset:128
	s_waitcnt vmcnt(0)
	v_lshlrev_b32_e32 v7, 16, v7
	v_add_f32_e32 v7, v6, v7
.LBB178_4:
	global_load_ushort v8, v[2:3], off offset:256
	s_mov_b32 s8, 0xc2fc0000
	v_mov_b32_e32 v11, 0x42800000
	s_mov_b32 s7, 0xbfb8aa3b
	v_mov_b32_e32 v10, 0x1f800000
	s_waitcnt vmcnt(0)
	v_cvt_f32_f16_e32 v9, v8
	v_mul_f32_e32 v9, 0xbfb8aa3b, v9
	v_cmp_gt_f32_e32 vcc, s8, v9
	v_cndmask_b32_e32 v12, 0, v11, vcc
	v_fma_mix_f32 v8, v8, s7, v12 op_sel_hi:[1,0,0]
	v_exp_f32_e32 v8, v8
	v_cndmask_b32_e32 v9, 1.0, v10, vcc
	s_and_b64 vcc, exec, s[0:1]
	v_fma_f32 v8, v8, v9, 1.0
	v_rcp_f32_e32 v8, v8
	v_mov_b32_e32 v9, v8
	s_cbranch_vccnz .LBB178_6
; %bb.5:
	global_load_ushort v9, v1, s[2:3] offset:256
	s_waitcnt vmcnt(0)
	v_lshlrev_b32_e32 v9, 16, v9
	v_add_f32_e32 v9, v8, v9
.LBB178_6:
	global_load_ushort v12, v[2:3], off offset:384
	s_waitcnt vmcnt(0)
	v_cvt_f32_f16_e32 v13, v12
	v_mul_f32_e32 v13, 0xbfb8aa3b, v13
	v_cmp_gt_f32_e32 vcc, s8, v13
	v_cndmask_b32_e32 v11, 0, v11, vcc
	v_fma_mix_f32 v11, v12, s7, v11 op_sel_hi:[1,0,0]
	v_exp_f32_e32 v11, v11
	v_cndmask_b32_e32 v10, 1.0, v10, vcc
	s_and_b64 vcc, exec, s[0:1]
	v_fma_f32 v10, v11, v10, 1.0
	v_rcp_f32_e32 v10, v10
	v_mov_b32_e32 v11, v10
	s_cbranch_vccnz .LBB178_8
; %bb.7:
	global_load_ushort v11, v1, s[2:3] offset:384
	s_waitcnt vmcnt(0)
	v_lshlrev_b32_e32 v11, 16, v11
	v_add_f32_e32 v11, v10, v11
.LBB178_8:
	global_load_ushort v12, v[2:3], off offset:512
	v_mov_b32_e32 v15, 0x42800000
	v_mov_b32_e32 v14, 0x1f800000
	s_waitcnt vmcnt(0)
	v_cvt_f32_f16_e32 v13, v12
	v_mul_f32_e32 v13, 0xbfb8aa3b, v13
	v_cmp_gt_f32_e32 vcc, s8, v13
	v_cndmask_b32_e32 v16, 0, v15, vcc
	v_fma_mix_f32 v12, v12, s7, v16 op_sel_hi:[1,0,0]
	v_exp_f32_e32 v12, v12
	v_cndmask_b32_e32 v13, 1.0, v14, vcc
	s_and_b64 vcc, exec, s[0:1]
	v_fma_f32 v12, v12, v13, 1.0
	v_rcp_f32_e32 v12, v12
	v_mov_b32_e32 v13, v12
	s_cbranch_vccnz .LBB178_10
; %bb.9:
	global_load_ushort v13, v1, s[2:3] offset:512
	s_waitcnt vmcnt(0)
	v_lshlrev_b32_e32 v13, 16, v13
	v_add_f32_e32 v13, v12, v13
.LBB178_10:
	global_load_ushort v2, v[2:3], off offset:640
	s_waitcnt vmcnt(0)
	v_cvt_f32_f16_e32 v3, v2
	v_mul_f32_e32 v3, 0xbfb8aa3b, v3
	v_cmp_gt_f32_e32 vcc, s8, v3
	v_cndmask_b32_e32 v3, 1.0, v14, vcc
	v_cndmask_b32_e32 v14, 0, v15, vcc
	v_fma_mix_f32 v2, v2, s7, v14 op_sel_hi:[1,0,0]
	v_exp_f32_e32 v2, v2
	s_and_b64 vcc, exec, s[0:1]
	v_fma_f32 v2, v2, v3, 1.0
	v_rcp_f32_e32 v2, v2
	v_mov_b32_e32 v3, v2
	s_cbranch_vccnz .LBB178_12
; %bb.11:
	global_load_ushort v1, v1, s[2:3] offset:640
	s_waitcnt vmcnt(0)
	v_lshlrev_b32_e32 v1, 16, v1
	v_add_f32_e32 v3, v2, v1
.LBB178_12:
	v_add_u32_e32 v1, 64, v0
	v_cmp_lt_f32_e32 vcc, v5, v7
	v_add_u32_e32 v14, 0x80, v0
	v_add_u32_e32 v15, 0xc0, v0
	v_cndmask_b32_e32 v18, v6, v4, vcc
	v_cndmask_b32_e32 v4, v4, v6, vcc
	;; [unrolled: 1-line block ×6, first 2 shown]
	v_cmp_lt_f32_e32 vcc, v9, v11
	v_add_u32_e32 v16, 0x100, v0
	v_add_u32_e32 v17, 0x140, v0
	v_cndmask_b32_e32 v7, v10, v8, vcc
	v_cndmask_b32_e32 v8, v8, v10, vcc
	v_cndmask_b32_e32 v10, v15, v14, vcc
	v_cndmask_b32_e32 v14, v14, v15, vcc
	v_cndmask_b32_e32 v15, v11, v9, vcc
	v_cndmask_b32_e32 v9, v9, v11, vcc
	v_cmp_lt_f32_e32 vcc, v13, v3
	v_cndmask_b32_e32 v11, v2, v12, vcc
	v_cndmask_b32_e32 v2, v12, v2, vcc
	v_cndmask_b32_e32 v12, v17, v16, vcc
	v_cndmask_b32_e32 v16, v16, v17, vcc
	v_cndmask_b32_e32 v17, v3, v13, vcc
	v_cndmask_b32_e32 v3, v13, v3, vcc
	v_cmp_lt_f32_e32 vcc, v5, v9
	;; [unrolled: 7-line block ×7, first 2 shown]
	v_cndmask_b32_e32 v12, v21, v23, vcc
	v_cmp_lt_f32_e64 s[0:1], v26, v13
	v_cndmask_b32_e32 v5, v22, v9, vcc
	v_cndmask_b32_e32 v8, v9, v22, vcc
	;; [unrolled: 1-line block ×3, first 2 shown]
	v_cndmask_b32_e64 v18, v1, v24, s[0:1]
	v_cndmask_b32_e64 v14, v3, v25, s[0:1]
	;; [unrolled: 1-line block ×3, first 2 shown]
	v_cmp_lt_f32_e64 s[2:3], v16, v12
	v_cndmask_b32_e32 v10, v20, v11, vcc
	v_cndmask_b32_e32 v9, v23, v21, vcc
	v_cndmask_b32_e64 v1, v24, v1, s[0:1]
	v_cndmask_b32_e64 v3, v25, v3, s[0:1]
	;; [unrolled: 1-line block ×3, first 2 shown]
	s_and_saveexec_b64 s[0:1], s[2:3]
	s_xor_b64 s[0:1], exec, s[0:1]
; %bb.13:
	v_mov_b32_e32 v13, v19
	v_mov_b32_e32 v20, v15
	;; [unrolled: 1-line block ×3, first 2 shown]
	v_swap_b32 v16, v12
	v_swap_b32 v19, v8
	;; [unrolled: 1-line block ×3, first 2 shown]
; %bb.14:
	s_or_b64 exec, exec, s[0:1]
	s_load_dword s7, s[4:5], 0x28
	s_load_dwordx4 s[16:19], s[4:5], 0x10
	s_waitcnt lgkmcnt(0)
	s_cmp_lt_i32 s7, 1
	s_cbranch_scc1 .LBB178_20
; %bb.15:
	v_cmp_lt_f32_e32 vcc, v17, v16
	v_cndmask_b32_e32 v13, v15, v14, vcc
	v_cndmask_b32_e32 v14, v14, v15, vcc
	;; [unrolled: 1-line block ×6, first 2 shown]
	v_mbcnt_lo_u32_b32 v19, -1, 0
	v_mbcnt_hi_u32_b32 v19, -1, v19
	v_bfrev_b32_e32 v23, 0.5
	v_mov_b32_e32 v21, 0
	v_mov_b32_e32 v20, 0
	;; [unrolled: 1-line block ×3, first 2 shown]
	v_lshl_or_b32 v23, v19, 2, v23
	v_mov_b32_e32 v24, v0
	s_mov_b32 s20, s7
	v_mov_b32_e32 v19, 0
.LBB178_16:                             ; =>This Inner Loop Header: Depth=1
	v_cmp_eq_u32_e32 vcc, 1, v21
	v_cndmask_b32_e32 v25, v6, v11, vcc
	v_cmp_eq_u32_e64 s[0:1], 2, v21
	v_cndmask_b32_e64 v25, v25, v16, s[0:1]
	v_cmp_eq_u32_e64 s[2:3], 3, v21
	v_cndmask_b32_e64 v25, v25, v15, s[2:3]
	;; [unrolled: 2-line block ×4, first 2 shown]
	v_cmp_gt_u32_e64 s[12:13], 6, v21
	v_cndmask_b32_e64 v25, v22, v25, s[12:13]
	;;#ASMSTART
	v_max_f32 v26, v25, v25 quad_perm:[1,0,3,2] row_mask:0xf bank_mask:0xf bound_ctrl:1
	;;#ASMEND
	;;#ASMSTART
	v_max_f32 v27, v26, v26 quad_perm:[2,3,0,1] row_mask:0xf bank_mask:0xf bound_ctrl:1
	;;#ASMEND
	;;#ASMSTART
	v_max_f32 v26, v27, v27 row_half_mirror row_mask:0xf bank_mask:0xf bound_ctrl:1
	;;#ASMEND
	;;#ASMSTART
	v_max_f32 v27, v26, v26 row_mirror row_mask:0xf bank_mask:0xf bound_ctrl:1
	;;#ASMEND
	;;#ASMSTART
	v_max_f32 v26, v27, v27 row_ror:4 row_mask:0xf bank_mask:0xf bound_ctrl:1
	;;#ASMEND
	;;#ASMSTART
	v_max_f32 v27, v26, v26 row_ror:8 row_mask:0xf bank_mask:0xf bound_ctrl:1
	;;#ASMEND
	;;#ASMSTART
	v_max_f32 v26, v27, v27 row_bcast:15 row_mask:0xf bank_mask:0xf bound_ctrl:1
	;;#ASMEND
	;;#ASMSTART
	v_max_f32 v27, v26, v26 row_bcast:31 row_mask:0xf bank_mask:0xf bound_ctrl:1
	;;#ASMEND
	ds_bpermute_b32 v26, v23, v27
	s_waitcnt lgkmcnt(0)
	v_cmp_eq_f32_e64 s[14:15], v25, v26
	v_cndmask_b32_e32 v25, v4, v3, vcc
	v_cndmask_b32_e64 v25, v25, v14, s[0:1]
	v_cndmask_b32_e64 v25, v25, v13, s[2:3]
	;; [unrolled: 1-line block ×4, first 2 shown]
	s_ff1_i32_b64 s21, s[14:15]
	s_cmp_lg_u64 s[14:15], 0
	s_cselect_b32 s14, s21, 0
	v_cndmask_b32_e64 v26, 0, v25, s[12:13]
	v_readlane_b32 s21, v26, s14
	v_cmp_eq_u32_e64 s[14:15], s21, v25
	v_cndmask_b32_e32 v25, v2, v1, vcc
	v_cndmask_b32_e64 v25, v25, v18, s[0:1]
	v_cndmask_b32_e64 v25, v25, v17, s[2:3]
	;; [unrolled: 1-line block ×4, first 2 shown]
	s_and_b64 vcc, s[12:13], s[14:15]
	s_and_b32 s0, s21, 63
	v_cndmask_b32_e32 v25, 0, v25, vcc
	v_readlane_b32 s0, v25, s0
	v_mov_b32_e32 v25, s0
	v_cmp_eq_u32_e64 s[0:1], 0, v24
	v_cndmask_b32_e64 v20, v20, v25, s[0:1]
	v_mov_b32_e32 v25, s21
	s_add_i32 s20, s20, -1
	v_cndmask_b32_e64 v19, v19, v25, s[0:1]
	v_addc_co_u32_e32 v21, vcc, 0, v21, vcc
	s_cmp_eq_u32 s20, 0
	v_add_u32_e32 v24, -1, v24
	s_cbranch_scc0 .LBB178_16
; %bb.17:
	v_cmp_gt_i32_e32 vcc, s7, v0
	s_and_saveexec_b64 s[0:1], vcc
	s_cbranch_execz .LBB178_19
.LBB178_18:
	s_load_dword s2, s[4:5], 0x30
	s_load_dwordx2 s[0:1], s[4:5], 0x20
	s_ashr_i32 s3, s6, 31
	v_lshlrev_b32_e32 v0, 2, v0
	s_waitcnt lgkmcnt(0)
	v_mul_f32_e32 v1, s2, v20
	s_mul_i32 s1, s6, s1
	s_mul_hi_u32 s2, s6, s0
	s_add_i32 s1, s2, s1
	s_mul_i32 s3, s3, s0
	s_add_i32 s1, s1, s3
	s_mul_i32 s0, s6, s0
	s_lshl_b64 s[0:1], s[0:1], 2
	s_add_u32 s2, s16, s0
	s_addc_u32 s3, s17, s1
	s_add_u32 s0, s18, s0
	s_addc_u32 s1, s19, s1
	global_store_dword v0, v1, s[2:3]
	global_store_dword v0, v19, s[0:1]
.LBB178_19:
	s_endpgm
.LBB178_20:
	v_mov_b32_e32 v19, 0
	v_mov_b32_e32 v20, 0
	v_cmp_gt_i32_e32 vcc, s7, v0
	s_and_saveexec_b64 s[0:1], vcc
	s_cbranch_execnz .LBB178_18
	s_branch .LBB178_19
	.section	.rodata,"a",@progbits
	.p2align	6, 0x0
	.amdhsa_kernel _ZN5aiter24topk_softplus_kernel_optI6__half12hip_bfloat16Li384ELb0ELi1EEEvPKT_PKT0_PfPimiif
		.amdhsa_group_segment_fixed_size 0
		.amdhsa_private_segment_fixed_size 0
		.amdhsa_kernarg_size 52
		.amdhsa_user_sgpr_count 6
		.amdhsa_user_sgpr_private_segment_buffer 1
		.amdhsa_user_sgpr_dispatch_ptr 0
		.amdhsa_user_sgpr_queue_ptr 0
		.amdhsa_user_sgpr_kernarg_segment_ptr 1
		.amdhsa_user_sgpr_dispatch_id 0
		.amdhsa_user_sgpr_flat_scratch_init 0
		.amdhsa_user_sgpr_kernarg_preload_length 0
		.amdhsa_user_sgpr_kernarg_preload_offset 0
		.amdhsa_user_sgpr_private_segment_size 0
		.amdhsa_uses_dynamic_stack 0
		.amdhsa_system_sgpr_private_segment_wavefront_offset 0
		.amdhsa_system_sgpr_workgroup_id_x 1
		.amdhsa_system_sgpr_workgroup_id_y 0
		.amdhsa_system_sgpr_workgroup_id_z 0
		.amdhsa_system_sgpr_workgroup_info 0
		.amdhsa_system_vgpr_workitem_id 0
		.amdhsa_next_free_vgpr 28
		.amdhsa_next_free_sgpr 22
		.amdhsa_accum_offset 28
		.amdhsa_reserve_vcc 1
		.amdhsa_reserve_flat_scratch 0
		.amdhsa_float_round_mode_32 0
		.amdhsa_float_round_mode_16_64 0
		.amdhsa_float_denorm_mode_32 3
		.amdhsa_float_denorm_mode_16_64 3
		.amdhsa_dx10_clamp 1
		.amdhsa_ieee_mode 1
		.amdhsa_fp16_overflow 0
		.amdhsa_tg_split 0
		.amdhsa_exception_fp_ieee_invalid_op 0
		.amdhsa_exception_fp_denorm_src 0
		.amdhsa_exception_fp_ieee_div_zero 0
		.amdhsa_exception_fp_ieee_overflow 0
		.amdhsa_exception_fp_ieee_underflow 0
		.amdhsa_exception_fp_ieee_inexact 0
		.amdhsa_exception_int_div_zero 0
	.end_amdhsa_kernel
	.section	.text._ZN5aiter24topk_softplus_kernel_optI6__half12hip_bfloat16Li384ELb0ELi1EEEvPKT_PKT0_PfPimiif,"axG",@progbits,_ZN5aiter24topk_softplus_kernel_optI6__half12hip_bfloat16Li384ELb0ELi1EEEvPKT_PKT0_PfPimiif,comdat
.Lfunc_end178:
	.size	_ZN5aiter24topk_softplus_kernel_optI6__half12hip_bfloat16Li384ELb0ELi1EEEvPKT_PKT0_PfPimiif, .Lfunc_end178-_ZN5aiter24topk_softplus_kernel_optI6__half12hip_bfloat16Li384ELb0ELi1EEEvPKT_PKT0_PfPimiif
                                        ; -- End function
	.section	.AMDGPU.csdata,"",@progbits
; Kernel info:
; codeLenInByte = 1692
; NumSgprs: 26
; NumVgprs: 28
; NumAgprs: 0
; TotalNumVgprs: 28
; ScratchSize: 0
; MemoryBound: 0
; FloatMode: 240
; IeeeMode: 1
; LDSByteSize: 0 bytes/workgroup (compile time only)
; SGPRBlocks: 3
; VGPRBlocks: 3
; NumSGPRsForWavesPerEU: 26
; NumVGPRsForWavesPerEU: 28
; AccumOffset: 28
; Occupancy: 8
; WaveLimiterHint : 0
; COMPUTE_PGM_RSRC2:SCRATCH_EN: 0
; COMPUTE_PGM_RSRC2:USER_SGPR: 6
; COMPUTE_PGM_RSRC2:TRAP_HANDLER: 0
; COMPUTE_PGM_RSRC2:TGID_X_EN: 1
; COMPUTE_PGM_RSRC2:TGID_Y_EN: 0
; COMPUTE_PGM_RSRC2:TGID_Z_EN: 0
; COMPUTE_PGM_RSRC2:TIDIG_COMP_CNT: 0
; COMPUTE_PGM_RSRC3_GFX90A:ACCUM_OFFSET: 6
; COMPUTE_PGM_RSRC3_GFX90A:TG_SPLIT: 0
	.section	.text._ZN5aiter20topk_softplus_kernelI6__half12hip_bfloat16Dv4_fLb1ELi1EEEvPKT_PKT0_PfPimiiif,"axG",@progbits,_ZN5aiter20topk_softplus_kernelI6__half12hip_bfloat16Dv4_fLb1ELi1EEEvPKT_PKT0_PfPimiiif,comdat
	.protected	_ZN5aiter20topk_softplus_kernelI6__half12hip_bfloat16Dv4_fLb1ELi1EEEvPKT_PKT0_PfPimiiif ; -- Begin function _ZN5aiter20topk_softplus_kernelI6__half12hip_bfloat16Dv4_fLb1ELi1EEEvPKT_PKT0_PfPimiiif
	.globl	_ZN5aiter20topk_softplus_kernelI6__half12hip_bfloat16Dv4_fLb1ELi1EEEvPKT_PKT0_PfPimiiif
	.p2align	8
	.type	_ZN5aiter20topk_softplus_kernelI6__half12hip_bfloat16Dv4_fLb1ELi1EEEvPKT_PKT0_PfPimiiif,@function
_ZN5aiter20topk_softplus_kernelI6__half12hip_bfloat16Dv4_fLb1ELi1EEEvPKT_PKT0_PfPimiiif: ; @_ZN5aiter20topk_softplus_kernelI6__half12hip_bfloat16Dv4_fLb1ELi1EEEvPKT_PKT0_PfPimiiif
; %bb.0:
	s_load_dwordx2 s[16:17], s[4:5], 0x28
	s_load_dwordx8 s[8:15], s[4:5], 0x0
	v_lshlrev_b32_e32 v1, 2, v0
	v_lshl_add_u32 v12, v0, 4, 0
	s_waitcnt lgkmcnt(0)
	s_ashr_i32 s0, s16, 31
	s_lshr_b32 s0, s0, 30
	s_add_i32 s0, s16, s0
	s_mul_i32 s18, s6, s16
	s_ashr_i32 s7, s0, 2
	s_ashr_i32 s19, s18, 31
	v_cmp_gt_i32_e64 s[0:1], s7, v0
	s_and_saveexec_b64 s[20:21], s[0:1]
	s_cbranch_execz .LBB179_11
; %bb.1:
	s_load_dword s24, s[4:5], 0x44
	s_cmp_lg_u64 s[10:11], 0
	s_cselect_b64 s[2:3], -1, 0
	v_lshlrev_b32_e32 v2, 3, v0
	s_mov_b64 s[22:23], 0
	s_waitcnt lgkmcnt(0)
	s_and_b32 s24, s24, 0xffff
	s_add_u32 s25, s10, 2
	s_addc_u32 s26, s11, 0
	s_add_u32 s27, s10, 4
	s_addc_u32 s28, s11, 0
	;; [unrolled: 2-line block ×3, first 2 shown]
	s_lshl_b64 s[34:35], s[18:19], 1
	s_add_u32 s33, s8, s34
	s_addc_u32 s34, s9, s35
	v_mov_b32_e32 v3, s34
	v_add_co_u32_e32 v6, vcc, s33, v2
	v_cndmask_b32_e64 v2, 0, 1, s[2:3]
	s_mov_b32 s31, 0
	v_addc_co_u32_e32 v7, vcc, 0, v3, vcc
	s_lshl_b32 s33, s24, 3
	v_lshlrev_b32_e32 v8, 2, v0
	s_lshl_b32 s34, s24, 2
	v_lshl_add_u32 v13, v0, 4, 0
	s_lshl_b32 s35, s24, 4
	v_mov_b32_e32 v9, 0
	s_mov_b32 s36, 0xbfb8aa3b
	s_mov_b32 s37, 0xc2fc0000
	v_mov_b32_e32 v14, 0x1f800000
	v_mov_b32_e32 v15, 0x42800000
	v_cmp_ne_u32_e64 s[2:3], 1, v2
	v_mov_b32_e32 v16, v0
	s_branch .LBB179_3
.LBB179_2:                              ;   in Loop: Header=BB179_3 Depth=1
	ds_write_b128 v13, v[2:5]
	v_mov_b32_e32 v2, s31
	v_add_co_u32_e32 v6, vcc, s33, v6
	v_add_u32_e32 v16, s24, v16
	v_addc_co_u32_e32 v7, vcc, v7, v2, vcc
	v_cmp_le_i32_e32 vcc, s7, v16
	v_add_u32_e32 v8, s34, v8
	s_or_b64 s[22:23], vcc, s[22:23]
	v_add_u32_e32 v13, s35, v13
	s_andn2_b64 exec, exec, s[22:23]
	s_cbranch_execz .LBB179_11
.LBB179_3:                              ; =>This Inner Loop Header: Depth=1
	global_load_dwordx2 v[4:5], v[6:7], off
	v_lshlrev_b64 v[10:11], 1, v[8:9]
	s_waitcnt vmcnt(0)
	v_cvt_f32_f16_e32 v2, v4
	v_mul_f32_e32 v2, 0xbfb8aa3b, v2
	v_cmp_gt_f32_e32 vcc, s37, v2
	v_cndmask_b32_e32 v3, 0, v15, vcc
	v_fma_mix_f32 v3, v4, s36, v3 op_sel_hi:[1,0,0]
	v_exp_f32_e32 v3, v3
	v_cndmask_b32_e32 v2, 1.0, v14, vcc
	s_and_b64 vcc, exec, s[2:3]
	v_fma_f32 v2, v3, v2, 1.0
	v_rcp_f32_e32 v2, v2
	s_cbranch_vccnz .LBB179_5
; %bb.4:                                ;   in Loop: Header=BB179_3 Depth=1
	v_mov_b32_e32 v3, s11
	v_add_co_u32_e32 v18, vcc, s10, v10
	v_addc_co_u32_e32 v19, vcc, v3, v11, vcc
	global_load_ushort v3, v[18:19], off
	s_waitcnt vmcnt(0)
	v_lshlrev_b32_e32 v3, 16, v3
	v_add_f32_e32 v2, v2, v3
.LBB179_5:                              ;   in Loop: Header=BB179_3 Depth=1
	v_cvt_f32_f16_sdwa v3, v4 dst_sel:DWORD dst_unused:UNUSED_PAD src0_sel:WORD_1
	v_mul_f32_e32 v3, 0xbfb8aa3b, v3
	v_cmp_gt_f32_e32 vcc, s37, v3
	v_cndmask_b32_e32 v17, 0, v15, vcc
	v_fma_mix_f32 v4, v4, s36, v17 op_sel:[1,0,0] op_sel_hi:[1,0,0]
	v_exp_f32_e32 v4, v4
	v_cndmask_b32_e32 v3, 1.0, v14, vcc
	s_and_b64 vcc, exec, s[2:3]
	v_fma_f32 v3, v4, v3, 1.0
	v_rcp_f32_e32 v3, v3
	s_cbranch_vccnz .LBB179_7
; %bb.6:                                ;   in Loop: Header=BB179_3 Depth=1
	v_mov_b32_e32 v4, s26
	v_add_co_u32_e32 v18, vcc, s25, v10
	v_addc_co_u32_e32 v19, vcc, v4, v11, vcc
	global_load_ushort v4, v[18:19], off
	s_waitcnt vmcnt(0)
	v_lshlrev_b32_e32 v4, 16, v4
	v_add_f32_e32 v3, v3, v4
.LBB179_7:                              ;   in Loop: Header=BB179_3 Depth=1
	v_cvt_f32_f16_e32 v4, v5
	v_mul_f32_e32 v4, 0xbfb8aa3b, v4
	v_cmp_gt_f32_e32 vcc, s37, v4
	v_cndmask_b32_e32 v17, 0, v15, vcc
	v_fma_mix_f32 v17, v5, s36, v17 op_sel_hi:[1,0,0]
	v_exp_f32_e32 v17, v17
	v_cndmask_b32_e32 v4, 1.0, v14, vcc
	s_and_b64 vcc, exec, s[2:3]
	v_fma_f32 v4, v17, v4, 1.0
	v_rcp_f32_e32 v4, v4
	s_cbranch_vccnz .LBB179_9
; %bb.8:                                ;   in Loop: Header=BB179_3 Depth=1
	v_mov_b32_e32 v17, s28
	v_add_co_u32_e32 v18, vcc, s27, v10
	v_addc_co_u32_e32 v19, vcc, v17, v11, vcc
	global_load_ushort v17, v[18:19], off
	s_waitcnt vmcnt(0)
	v_lshlrev_b32_e32 v17, 16, v17
	v_add_f32_e32 v4, v4, v17
.LBB179_9:                              ;   in Loop: Header=BB179_3 Depth=1
	v_cvt_f32_f16_sdwa v17, v5 dst_sel:DWORD dst_unused:UNUSED_PAD src0_sel:WORD_1
	v_mul_f32_e32 v17, 0xbfb8aa3b, v17
	v_cmp_gt_f32_e32 vcc, s37, v17
	v_cndmask_b32_e32 v18, 0, v15, vcc
	v_fma_mix_f32 v5, v5, s36, v18 op_sel:[1,0,0] op_sel_hi:[1,0,0]
	v_exp_f32_e32 v5, v5
	v_cndmask_b32_e32 v17, 1.0, v14, vcc
	s_and_b64 vcc, exec, s[2:3]
	v_fma_f32 v5, v5, v17, 1.0
	v_rcp_f32_e32 v5, v5
	s_cbranch_vccnz .LBB179_2
; %bb.10:                               ;   in Loop: Header=BB179_3 Depth=1
	v_mov_b32_e32 v17, s30
	v_add_co_u32_e32 v10, vcc, s29, v10
	v_addc_co_u32_e32 v11, vcc, v17, v11, vcc
	global_load_ushort v10, v[10:11], off
	s_waitcnt vmcnt(0)
	v_lshlrev_b32_e32 v10, 16, v10
	v_add_f32_e32 v5, v5, v10
	s_branch .LBB179_2
.LBB179_11:
	s_or_b64 exec, exec, s[20:21]
	v_lshl_add_u32 v2, s7, 2, v0
	v_cmp_gt_i32_e32 vcc, s16, v2
	s_and_saveexec_b64 s[20:21], vcc
	s_cbranch_execz .LBB179_16
; %bb.12:
	s_lshl_b64 s[2:3], s[18:19], 1
	s_load_dword s19, s[4:5], 0x44
	s_add_u32 s18, s8, s2
	s_addc_u32 s23, s9, s3
	s_cmp_lg_u64 s[10:11], 0
	s_cselect_b64 s[2:3], -1, 0
	s_lshl_b32 s22, s7, 4
	s_waitcnt lgkmcnt(0)
	s_and_b32 s19, s19, 0xffff
	s_add_i32 s22, s22, 0
	v_cndmask_b32_e64 v3, 0, 1, s[2:3]
	s_mov_b64 s[8:9], 0
	v_lshl_add_u32 v6, v0, 2, s22
	s_lshl_b32 s22, s19, 2
	v_mov_b32_e32 v7, s23
	s_mov_b32 s23, 0xbfb8aa3b
	s_mov_b32 s24, 0xc2fc0000
	v_mov_b32_e32 v8, 0x42800000
	v_mov_b32_e32 v9, 0x1f800000
	v_cmp_ne_u32_e64 s[2:3], 1, v3
	s_branch .LBB179_14
.LBB179_13:                             ;   in Loop: Header=BB179_14 Depth=1
	v_add_u32_e32 v2, s19, v2
	v_cmp_le_i32_e32 vcc, s16, v2
	s_or_b64 s[8:9], vcc, s[8:9]
	v_add_u32_e32 v6, s22, v6
	s_andn2_b64 exec, exec, s[8:9]
	s_cbranch_execz .LBB179_16
.LBB179_14:                             ; =>This Inner Loop Header: Depth=1
	v_ashrrev_i32_e32 v3, 31, v2
	v_lshlrev_b64 v[4:5], 1, v[2:3]
	v_add_co_u32_e32 v10, vcc, s18, v4
	v_addc_co_u32_e32 v11, vcc, v7, v5, vcc
	global_load_ushort v3, v[10:11], off
	s_waitcnt vmcnt(0)
	v_cvt_f32_f16_e32 v10, v3
	v_mul_f32_e32 v10, 0xbfb8aa3b, v10
	v_cmp_gt_f32_e32 vcc, s24, v10
	v_cndmask_b32_e32 v10, 0, v8, vcc
	v_fma_mix_f32 v3, v3, s23, v10 op_sel_hi:[1,0,0]
	v_exp_f32_e32 v3, v3
	v_cndmask_b32_e32 v10, 1.0, v9, vcc
	s_and_b64 vcc, exec, s[2:3]
	v_fma_f32 v3, v3, v10, 1.0
	v_rcp_f32_e32 v3, v3
	ds_write_b32 v6, v3
	s_cbranch_vccnz .LBB179_13
; %bb.15:                               ;   in Loop: Header=BB179_14 Depth=1
	v_mov_b32_e32 v10, s11
	v_add_co_u32_e32 v4, vcc, s10, v4
	v_addc_co_u32_e32 v5, vcc, v10, v5, vcc
	global_load_ushort v4, v[4:5], off
	s_waitcnt vmcnt(0)
	v_lshlrev_b32_e32 v4, 16, v4
	v_add_f32_e32 v3, v3, v4
	ds_write_b32 v6, v3
	s_branch .LBB179_13
.LBB179_16:
	s_or_b64 exec, exec, s[20:21]
	s_cmp_lt_i32 s17, 1
	v_mov_b32_e32 v3, 0
	s_waitcnt lgkmcnt(0)
	s_barrier
	s_cbranch_scc1 .LBB179_25
; %bb.17:
	s_add_u32 s2, s4, 56
	s_addc_u32 s3, s5, 0
	v_mbcnt_lo_u32_b32 v2, -1, 0
	s_cmp_lg_u64 s[10:11], 0
	v_mbcnt_hi_u32_b32 v2, -1, v2
	v_bfrev_b32_e32 v4, 0.5
	s_cselect_b64 s[8:9], -1, 0
	s_mov_b32 s16, 0
	v_mov_b32_e32 v3, 0
	v_lshl_or_b32 v5, v2, 2, v4
	v_mov_b32_e32 v6, 0
	v_mov_b32_e32 v7, 0xff800000
	;; [unrolled: 1-line block ×4, first 2 shown]
	s_branch .LBB179_19
.LBB179_18:                             ;   in Loop: Header=BB179_19 Depth=1
	s_lshl_b32 s19, s18, 2
	s_add_i32 s19, s19, 0
	v_mov_b32_e32 v8, s19
	ds_write_b32 v8, v7
	v_mov_b32_e32 v8, s18
	v_cmp_eq_u32_e32 vcc, s16, v0
	s_add_i32 s16, s16, 1
	v_cndmask_b32_e32 v2, v2, v8, vcc
	v_cndmask_b32_e32 v3, v3, v10, vcc
	s_cmp_eq_u32 s16, s17
	v_add_f32_e32 v4, v4, v10
	s_cbranch_scc1 .LBB179_26
.LBB179_19:                             ; =>This Loop Header: Depth=1
                                        ;     Child Loop BB179_21 Depth 2
	v_mov_b32_e32 v8, s16
	v_mov_b32_e32 v9, 0xff800000
	s_and_saveexec_b64 s[18:19], s[0:1]
	s_cbranch_execz .LBB179_23
; %bb.20:                               ;   in Loop: Header=BB179_19 Depth=1
	s_load_dword s22, s[2:3], 0xc
	s_mov_b64 s[20:21], 0
	v_mov_b32_e32 v8, s16
	v_mov_b32_e32 v9, 0xff800000
	;; [unrolled: 1-line block ×3, first 2 shown]
	s_waitcnt lgkmcnt(0)
	s_and_b32 s22, s22, 0xffff
	s_lshl_b32 s23, s22, 2
	s_lshl_b32 s24, s22, 4
	v_mov_b32_e32 v11, v1
	v_mov_b32_e32 v13, v0
.LBB179_21:                             ;   Parent Loop BB179_19 Depth=1
                                        ; =>  This Inner Loop Header: Depth=2
	ds_read_b128 v[14:17], v10
	v_add_u32_e32 v13, s22, v13
	v_cmp_le_i32_e32 vcc, s7, v13
	s_or_b64 s[20:21], vcc, s[20:21]
	v_add_u32_e32 v18, 1, v11
	s_waitcnt lgkmcnt(0)
	v_cmp_gt_f32_e32 vcc, v14, v9
	v_cndmask_b32_e32 v9, v9, v14, vcc
	v_cndmask_b32_e32 v8, v8, v11, vcc
	v_cmp_gt_f32_e32 vcc, v15, v9
	v_cndmask_b32_e32 v9, v9, v15, vcc
	v_cndmask_b32_e32 v8, v8, v18, vcc
	v_cmp_gt_f32_e32 vcc, v16, v9
	v_add_u32_e32 v19, 2, v11
	v_cndmask_b32_e32 v9, v9, v16, vcc
	v_add_u32_e32 v20, 3, v11
	v_cndmask_b32_e32 v8, v8, v19, vcc
	v_cmp_gt_f32_e32 vcc, v17, v9
	v_add_u32_e32 v10, s24, v10
	v_add_u32_e32 v11, s23, v11
	v_cndmask_b32_e32 v9, v9, v17, vcc
	v_cndmask_b32_e32 v8, v8, v20, vcc
	s_andn2_b64 exec, exec, s[20:21]
	s_cbranch_execnz .LBB179_21
; %bb.22:                               ;   in Loop: Header=BB179_19 Depth=1
	s_or_b64 exec, exec, s[20:21]
.LBB179_23:                             ;   in Loop: Header=BB179_19 Depth=1
	s_or_b64 exec, exec, s[18:19]
	;;#ASMSTART
	v_max_f32 v10, v9, v9 quad_perm:[1,0,3,2] row_mask:0xf bank_mask:0xf bound_ctrl:1
	;;#ASMEND
	;;#ASMSTART
	v_max_f32 v11, v10, v10 quad_perm:[2,3,0,1] row_mask:0xf bank_mask:0xf bound_ctrl:1
	;;#ASMEND
	;;#ASMSTART
	v_max_f32 v10, v11, v11 row_half_mirror row_mask:0xf bank_mask:0xf bound_ctrl:1
	;;#ASMEND
	;;#ASMSTART
	v_max_f32 v11, v10, v10 row_mirror row_mask:0xf bank_mask:0xf bound_ctrl:1
	;;#ASMEND
	;;#ASMSTART
	v_max_f32 v10, v11, v11 row_ror:4 row_mask:0xf bank_mask:0xf bound_ctrl:1
	;;#ASMEND
	;;#ASMSTART
	v_max_f32 v11, v10, v10 row_ror:8 row_mask:0xf bank_mask:0xf bound_ctrl:1
	;;#ASMEND
	;;#ASMSTART
	v_max_f32 v10, v11, v11 row_bcast:15 row_mask:0xf bank_mask:0xf bound_ctrl:1
	;;#ASMEND
	;;#ASMSTART
	v_max_f32 v11, v10, v10 row_bcast:31 row_mask:0xf bank_mask:0xf bound_ctrl:1
	;;#ASMEND
	ds_bpermute_b32 v10, v5, v11
	s_waitcnt lgkmcnt(0)
	v_cmp_eq_f32_e32 vcc, v9, v10
	s_ff1_i32_b64 s18, vcc
	s_cmp_lg_u64 vcc, 0
	s_cselect_b32 s18, s18, 0
	s_and_b64 vcc, exec, s[8:9]
	v_readlane_b32 s18, v8, s18
	s_cbranch_vccz .LBB179_18
; %bb.24:                               ;   in Loop: Header=BB179_19 Depth=1
	s_ashr_i32 s19, s18, 31
	s_lshl_b64 s[20:21], s[18:19], 1
	s_add_u32 s20, s10, s20
	s_addc_u32 s21, s11, s21
	global_load_ushort v8, v6, s[20:21]
	s_waitcnt vmcnt(0)
	v_lshlrev_b32_e32 v8, 16, v8
	v_sub_f32_e32 v10, v10, v8
	s_branch .LBB179_18
.LBB179_25:
	v_mov_b32_e32 v2, 0
	v_mov_b32_e32 v4, 0
.LBB179_26:
	v_cmp_gt_i32_e32 vcc, s17, v0
	s_and_saveexec_b64 s[0:1], vcc
	s_cbranch_execz .LBB179_29
; %bb.27:
	s_load_dword s2, s[4:5], 0x34
	v_max_f32_e32 v1, v4, v4
	v_max_f32_e32 v1, 0x1e3ce508, v1
	s_load_dword s3, s[4:5], 0x44
	s_waitcnt lgkmcnt(0)
	v_div_scale_f32 v4, s[0:1], v1, v1, s2
	s_load_dwordx2 s[0:1], s[4:5], 0x20
	v_rcp_f32_e32 v5, v4
	v_div_scale_f32 v6, vcc, s2, v1, s2
	s_and_b32 s3, s3, 0xffff
	v_fma_f32 v7, -v4, v5, 1.0
	v_fmac_f32_e32 v5, v7, v5
	v_mul_f32_e32 v7, v6, v5
	v_fma_f32 v8, -v4, v7, v6
	v_fmac_f32_e32 v7, v8, v5
	v_fma_f32 v4, -v4, v7, v6
	v_div_fmas_f32 v4, v4, v5, v7
	v_div_fixup_f32 v1, v4, v1, s2
	s_ashr_i32 s2, s6, 31
	s_waitcnt lgkmcnt(0)
	s_mul_i32 s1, s6, s1
	s_mul_hi_u32 s4, s6, s0
	s_add_i32 s1, s4, s1
	s_mul_i32 s2, s2, s0
	s_add_i32 s4, s1, s2
	v_mul_f32_e32 v1, v3, v1
	s_mul_i32 s2, s6, s0
	s_mov_b64 s[0:1], 0
	v_mov_b32_e32 v3, s4
	v_mov_b32_e32 v4, s13
	;; [unrolled: 1-line block ×3, first 2 shown]
.LBB179_28:                             ; =>This Inner Loop Header: Depth=1
	v_ashrrev_i32_e32 v7, 31, v0
	v_add_co_u32_e32 v6, vcc, s2, v0
	v_addc_co_u32_e32 v7, vcc, v3, v7, vcc
	v_add_u32_e32 v0, s3, v0
	v_cmp_le_i32_e32 vcc, s17, v0
	v_lshlrev_b64 v[6:7], 2, v[6:7]
	s_or_b64 s[0:1], vcc, s[0:1]
	v_add_co_u32_e32 v8, vcc, s12, v6
	v_addc_co_u32_e32 v9, vcc, v4, v7, vcc
	v_add_co_u32_e32 v6, vcc, s14, v6
	v_addc_co_u32_e32 v7, vcc, v5, v7, vcc
	global_store_dword v[8:9], v1, off
	global_store_dword v[6:7], v2, off
	s_andn2_b64 exec, exec, s[0:1]
	s_cbranch_execnz .LBB179_28
.LBB179_29:
	s_endpgm
	.section	.rodata,"a",@progbits
	.p2align	6, 0x0
	.amdhsa_kernel _ZN5aiter20topk_softplus_kernelI6__half12hip_bfloat16Dv4_fLb1ELi1EEEvPKT_PKT0_PfPimiiif
		.amdhsa_group_segment_fixed_size 0
		.amdhsa_private_segment_fixed_size 0
		.amdhsa_kernarg_size 312
		.amdhsa_user_sgpr_count 6
		.amdhsa_user_sgpr_private_segment_buffer 1
		.amdhsa_user_sgpr_dispatch_ptr 0
		.amdhsa_user_sgpr_queue_ptr 0
		.amdhsa_user_sgpr_kernarg_segment_ptr 1
		.amdhsa_user_sgpr_dispatch_id 0
		.amdhsa_user_sgpr_flat_scratch_init 0
		.amdhsa_user_sgpr_kernarg_preload_length 0
		.amdhsa_user_sgpr_kernarg_preload_offset 0
		.amdhsa_user_sgpr_private_segment_size 0
		.amdhsa_uses_dynamic_stack 0
		.amdhsa_system_sgpr_private_segment_wavefront_offset 0
		.amdhsa_system_sgpr_workgroup_id_x 1
		.amdhsa_system_sgpr_workgroup_id_y 0
		.amdhsa_system_sgpr_workgroup_id_z 0
		.amdhsa_system_sgpr_workgroup_info 0
		.amdhsa_system_vgpr_workitem_id 0
		.amdhsa_next_free_vgpr 21
		.amdhsa_next_free_sgpr 38
		.amdhsa_accum_offset 24
		.amdhsa_reserve_vcc 1
		.amdhsa_reserve_flat_scratch 0
		.amdhsa_float_round_mode_32 0
		.amdhsa_float_round_mode_16_64 0
		.amdhsa_float_denorm_mode_32 3
		.amdhsa_float_denorm_mode_16_64 3
		.amdhsa_dx10_clamp 1
		.amdhsa_ieee_mode 1
		.amdhsa_fp16_overflow 0
		.amdhsa_tg_split 0
		.amdhsa_exception_fp_ieee_invalid_op 0
		.amdhsa_exception_fp_denorm_src 0
		.amdhsa_exception_fp_ieee_div_zero 0
		.amdhsa_exception_fp_ieee_overflow 0
		.amdhsa_exception_fp_ieee_underflow 0
		.amdhsa_exception_fp_ieee_inexact 0
		.amdhsa_exception_int_div_zero 0
	.end_amdhsa_kernel
	.section	.text._ZN5aiter20topk_softplus_kernelI6__half12hip_bfloat16Dv4_fLb1ELi1EEEvPKT_PKT0_PfPimiiif,"axG",@progbits,_ZN5aiter20topk_softplus_kernelI6__half12hip_bfloat16Dv4_fLb1ELi1EEEvPKT_PKT0_PfPimiiif,comdat
.Lfunc_end179:
	.size	_ZN5aiter20topk_softplus_kernelI6__half12hip_bfloat16Dv4_fLb1ELi1EEEvPKT_PKT0_PfPimiiif, .Lfunc_end179-_ZN5aiter20topk_softplus_kernelI6__half12hip_bfloat16Dv4_fLb1ELi1EEEvPKT_PKT0_PfPimiiif
                                        ; -- End function
	.section	.AMDGPU.csdata,"",@progbits
; Kernel info:
; codeLenInByte = 1736
; NumSgprs: 42
; NumVgprs: 21
; NumAgprs: 0
; TotalNumVgprs: 21
; ScratchSize: 0
; MemoryBound: 0
; FloatMode: 240
; IeeeMode: 1
; LDSByteSize: 0 bytes/workgroup (compile time only)
; SGPRBlocks: 5
; VGPRBlocks: 2
; NumSGPRsForWavesPerEU: 42
; NumVGPRsForWavesPerEU: 21
; AccumOffset: 24
; Occupancy: 8
; WaveLimiterHint : 0
; COMPUTE_PGM_RSRC2:SCRATCH_EN: 0
; COMPUTE_PGM_RSRC2:USER_SGPR: 6
; COMPUTE_PGM_RSRC2:TRAP_HANDLER: 0
; COMPUTE_PGM_RSRC2:TGID_X_EN: 1
; COMPUTE_PGM_RSRC2:TGID_Y_EN: 0
; COMPUTE_PGM_RSRC2:TGID_Z_EN: 0
; COMPUTE_PGM_RSRC2:TIDIG_COMP_CNT: 0
; COMPUTE_PGM_RSRC3_GFX90A:ACCUM_OFFSET: 5
; COMPUTE_PGM_RSRC3_GFX90A:TG_SPLIT: 0
	.section	.text._ZN5aiter20topk_softplus_kernelI6__half12hip_bfloat16Dv4_fLb0ELi1EEEvPKT_PKT0_PfPimiiif,"axG",@progbits,_ZN5aiter20topk_softplus_kernelI6__half12hip_bfloat16Dv4_fLb0ELi1EEEvPKT_PKT0_PfPimiiif,comdat
	.protected	_ZN5aiter20topk_softplus_kernelI6__half12hip_bfloat16Dv4_fLb0ELi1EEEvPKT_PKT0_PfPimiiif ; -- Begin function _ZN5aiter20topk_softplus_kernelI6__half12hip_bfloat16Dv4_fLb0ELi1EEEvPKT_PKT0_PfPimiiif
	.globl	_ZN5aiter20topk_softplus_kernelI6__half12hip_bfloat16Dv4_fLb0ELi1EEEvPKT_PKT0_PfPimiiif
	.p2align	8
	.type	_ZN5aiter20topk_softplus_kernelI6__half12hip_bfloat16Dv4_fLb0ELi1EEEvPKT_PKT0_PfPimiiif,@function
_ZN5aiter20topk_softplus_kernelI6__half12hip_bfloat16Dv4_fLb0ELi1EEEvPKT_PKT0_PfPimiiif: ; @_ZN5aiter20topk_softplus_kernelI6__half12hip_bfloat16Dv4_fLb0ELi1EEEvPKT_PKT0_PfPimiiif
; %bb.0:
	s_load_dwordx2 s[16:17], s[4:5], 0x28
	s_load_dwordx8 s[8:15], s[4:5], 0x0
	v_lshlrev_b32_e32 v1, 2, v0
	v_lshl_add_u32 v12, v0, 4, 0
	s_waitcnt lgkmcnt(0)
	s_ashr_i32 s0, s16, 31
	s_lshr_b32 s0, s0, 30
	s_add_i32 s0, s16, s0
	s_mul_i32 s18, s6, s16
	s_ashr_i32 s7, s0, 2
	s_ashr_i32 s19, s18, 31
	v_cmp_gt_i32_e64 s[0:1], s7, v0
	s_and_saveexec_b64 s[20:21], s[0:1]
	s_cbranch_execz .LBB180_11
; %bb.1:
	s_load_dword s24, s[4:5], 0x44
	s_cmp_lg_u64 s[10:11], 0
	s_cselect_b64 s[2:3], -1, 0
	v_lshlrev_b32_e32 v2, 3, v0
	s_mov_b64 s[22:23], 0
	s_waitcnt lgkmcnt(0)
	s_and_b32 s24, s24, 0xffff
	s_add_u32 s25, s10, 2
	s_addc_u32 s26, s11, 0
	s_add_u32 s27, s10, 4
	s_addc_u32 s28, s11, 0
	;; [unrolled: 2-line block ×3, first 2 shown]
	s_lshl_b64 s[34:35], s[18:19], 1
	s_add_u32 s33, s8, s34
	s_addc_u32 s34, s9, s35
	v_mov_b32_e32 v3, s34
	v_add_co_u32_e32 v6, vcc, s33, v2
	v_cndmask_b32_e64 v2, 0, 1, s[2:3]
	s_mov_b32 s31, 0
	v_addc_co_u32_e32 v7, vcc, 0, v3, vcc
	s_lshl_b32 s33, s24, 3
	v_lshlrev_b32_e32 v8, 2, v0
	s_lshl_b32 s34, s24, 2
	v_lshl_add_u32 v13, v0, 4, 0
	s_lshl_b32 s35, s24, 4
	v_mov_b32_e32 v9, 0
	s_mov_b32 s36, 0xbfb8aa3b
	s_mov_b32 s37, 0xc2fc0000
	v_mov_b32_e32 v14, 0x1f800000
	v_mov_b32_e32 v15, 0x42800000
	v_cmp_ne_u32_e64 s[2:3], 1, v2
	v_mov_b32_e32 v16, v0
	s_branch .LBB180_3
.LBB180_2:                              ;   in Loop: Header=BB180_3 Depth=1
	ds_write_b128 v13, v[2:5]
	v_mov_b32_e32 v2, s31
	v_add_co_u32_e32 v6, vcc, s33, v6
	v_add_u32_e32 v16, s24, v16
	v_addc_co_u32_e32 v7, vcc, v7, v2, vcc
	v_cmp_le_i32_e32 vcc, s7, v16
	v_add_u32_e32 v8, s34, v8
	s_or_b64 s[22:23], vcc, s[22:23]
	v_add_u32_e32 v13, s35, v13
	s_andn2_b64 exec, exec, s[22:23]
	s_cbranch_execz .LBB180_11
.LBB180_3:                              ; =>This Inner Loop Header: Depth=1
	global_load_dwordx2 v[4:5], v[6:7], off
	v_lshlrev_b64 v[10:11], 1, v[8:9]
	s_waitcnt vmcnt(0)
	v_cvt_f32_f16_e32 v2, v4
	v_mul_f32_e32 v2, 0xbfb8aa3b, v2
	v_cmp_gt_f32_e32 vcc, s37, v2
	v_cndmask_b32_e32 v3, 0, v15, vcc
	v_fma_mix_f32 v3, v4, s36, v3 op_sel_hi:[1,0,0]
	v_exp_f32_e32 v3, v3
	v_cndmask_b32_e32 v2, 1.0, v14, vcc
	s_and_b64 vcc, exec, s[2:3]
	v_fma_f32 v2, v3, v2, 1.0
	v_rcp_f32_e32 v2, v2
	s_cbranch_vccnz .LBB180_5
; %bb.4:                                ;   in Loop: Header=BB180_3 Depth=1
	v_mov_b32_e32 v3, s11
	v_add_co_u32_e32 v18, vcc, s10, v10
	v_addc_co_u32_e32 v19, vcc, v3, v11, vcc
	global_load_ushort v3, v[18:19], off
	s_waitcnt vmcnt(0)
	v_lshlrev_b32_e32 v3, 16, v3
	v_add_f32_e32 v2, v2, v3
.LBB180_5:                              ;   in Loop: Header=BB180_3 Depth=1
	v_cvt_f32_f16_sdwa v3, v4 dst_sel:DWORD dst_unused:UNUSED_PAD src0_sel:WORD_1
	v_mul_f32_e32 v3, 0xbfb8aa3b, v3
	v_cmp_gt_f32_e32 vcc, s37, v3
	v_cndmask_b32_e32 v17, 0, v15, vcc
	v_fma_mix_f32 v4, v4, s36, v17 op_sel:[1,0,0] op_sel_hi:[1,0,0]
	v_exp_f32_e32 v4, v4
	v_cndmask_b32_e32 v3, 1.0, v14, vcc
	s_and_b64 vcc, exec, s[2:3]
	v_fma_f32 v3, v4, v3, 1.0
	v_rcp_f32_e32 v3, v3
	s_cbranch_vccnz .LBB180_7
; %bb.6:                                ;   in Loop: Header=BB180_3 Depth=1
	v_mov_b32_e32 v4, s26
	v_add_co_u32_e32 v18, vcc, s25, v10
	v_addc_co_u32_e32 v19, vcc, v4, v11, vcc
	global_load_ushort v4, v[18:19], off
	s_waitcnt vmcnt(0)
	v_lshlrev_b32_e32 v4, 16, v4
	v_add_f32_e32 v3, v3, v4
.LBB180_7:                              ;   in Loop: Header=BB180_3 Depth=1
	v_cvt_f32_f16_e32 v4, v5
	v_mul_f32_e32 v4, 0xbfb8aa3b, v4
	v_cmp_gt_f32_e32 vcc, s37, v4
	v_cndmask_b32_e32 v17, 0, v15, vcc
	v_fma_mix_f32 v17, v5, s36, v17 op_sel_hi:[1,0,0]
	v_exp_f32_e32 v17, v17
	v_cndmask_b32_e32 v4, 1.0, v14, vcc
	s_and_b64 vcc, exec, s[2:3]
	v_fma_f32 v4, v17, v4, 1.0
	v_rcp_f32_e32 v4, v4
	s_cbranch_vccnz .LBB180_9
; %bb.8:                                ;   in Loop: Header=BB180_3 Depth=1
	v_mov_b32_e32 v17, s28
	v_add_co_u32_e32 v18, vcc, s27, v10
	v_addc_co_u32_e32 v19, vcc, v17, v11, vcc
	global_load_ushort v17, v[18:19], off
	s_waitcnt vmcnt(0)
	v_lshlrev_b32_e32 v17, 16, v17
	v_add_f32_e32 v4, v4, v17
.LBB180_9:                              ;   in Loop: Header=BB180_3 Depth=1
	v_cvt_f32_f16_sdwa v17, v5 dst_sel:DWORD dst_unused:UNUSED_PAD src0_sel:WORD_1
	v_mul_f32_e32 v17, 0xbfb8aa3b, v17
	v_cmp_gt_f32_e32 vcc, s37, v17
	v_cndmask_b32_e32 v18, 0, v15, vcc
	v_fma_mix_f32 v5, v5, s36, v18 op_sel:[1,0,0] op_sel_hi:[1,0,0]
	v_exp_f32_e32 v5, v5
	v_cndmask_b32_e32 v17, 1.0, v14, vcc
	s_and_b64 vcc, exec, s[2:3]
	v_fma_f32 v5, v5, v17, 1.0
	v_rcp_f32_e32 v5, v5
	s_cbranch_vccnz .LBB180_2
; %bb.10:                               ;   in Loop: Header=BB180_3 Depth=1
	v_mov_b32_e32 v17, s30
	v_add_co_u32_e32 v10, vcc, s29, v10
	v_addc_co_u32_e32 v11, vcc, v17, v11, vcc
	global_load_ushort v10, v[10:11], off
	s_waitcnt vmcnt(0)
	v_lshlrev_b32_e32 v10, 16, v10
	v_add_f32_e32 v5, v5, v10
	s_branch .LBB180_2
.LBB180_11:
	s_or_b64 exec, exec, s[20:21]
	v_lshl_add_u32 v2, s7, 2, v0
	v_cmp_gt_i32_e32 vcc, s16, v2
	s_and_saveexec_b64 s[20:21], vcc
	s_cbranch_execz .LBB180_16
; %bb.12:
	s_lshl_b64 s[2:3], s[18:19], 1
	s_load_dword s19, s[4:5], 0x44
	s_add_u32 s18, s8, s2
	s_addc_u32 s23, s9, s3
	s_cmp_lg_u64 s[10:11], 0
	s_cselect_b64 s[2:3], -1, 0
	s_lshl_b32 s22, s7, 4
	s_waitcnt lgkmcnt(0)
	s_and_b32 s19, s19, 0xffff
	s_add_i32 s22, s22, 0
	v_cndmask_b32_e64 v3, 0, 1, s[2:3]
	s_mov_b64 s[8:9], 0
	v_lshl_add_u32 v6, v0, 2, s22
	s_lshl_b32 s22, s19, 2
	v_mov_b32_e32 v7, s23
	s_mov_b32 s23, 0xbfb8aa3b
	s_mov_b32 s24, 0xc2fc0000
	v_mov_b32_e32 v8, 0x42800000
	v_mov_b32_e32 v9, 0x1f800000
	v_cmp_ne_u32_e64 s[2:3], 1, v3
	s_branch .LBB180_14
.LBB180_13:                             ;   in Loop: Header=BB180_14 Depth=1
	v_add_u32_e32 v2, s19, v2
	v_cmp_le_i32_e32 vcc, s16, v2
	s_or_b64 s[8:9], vcc, s[8:9]
	v_add_u32_e32 v6, s22, v6
	s_andn2_b64 exec, exec, s[8:9]
	s_cbranch_execz .LBB180_16
.LBB180_14:                             ; =>This Inner Loop Header: Depth=1
	v_ashrrev_i32_e32 v3, 31, v2
	v_lshlrev_b64 v[4:5], 1, v[2:3]
	v_add_co_u32_e32 v10, vcc, s18, v4
	v_addc_co_u32_e32 v11, vcc, v7, v5, vcc
	global_load_ushort v3, v[10:11], off
	s_waitcnt vmcnt(0)
	v_cvt_f32_f16_e32 v10, v3
	v_mul_f32_e32 v10, 0xbfb8aa3b, v10
	v_cmp_gt_f32_e32 vcc, s24, v10
	v_cndmask_b32_e32 v10, 0, v8, vcc
	v_fma_mix_f32 v3, v3, s23, v10 op_sel_hi:[1,0,0]
	v_exp_f32_e32 v3, v3
	v_cndmask_b32_e32 v10, 1.0, v9, vcc
	s_and_b64 vcc, exec, s[2:3]
	v_fma_f32 v3, v3, v10, 1.0
	v_rcp_f32_e32 v3, v3
	ds_write_b32 v6, v3
	s_cbranch_vccnz .LBB180_13
; %bb.15:                               ;   in Loop: Header=BB180_14 Depth=1
	v_mov_b32_e32 v10, s11
	v_add_co_u32_e32 v4, vcc, s10, v4
	v_addc_co_u32_e32 v5, vcc, v10, v5, vcc
	global_load_ushort v4, v[4:5], off
	s_waitcnt vmcnt(0)
	v_lshlrev_b32_e32 v4, 16, v4
	v_add_f32_e32 v3, v3, v4
	ds_write_b32 v6, v3
	s_branch .LBB180_13
.LBB180_16:
	s_or_b64 exec, exec, s[20:21]
	s_cmp_lt_i32 s17, 1
	s_waitcnt lgkmcnt(0)
	s_barrier
	s_cbranch_scc1 .LBB180_25
; %bb.17:
	s_add_u32 s2, s4, 56
	s_addc_u32 s3, s5, 0
	v_mbcnt_lo_u32_b32 v3, -1, 0
	s_cmp_lg_u64 s[10:11], 0
	v_mbcnt_hi_u32_b32 v3, -1, v3
	v_bfrev_b32_e32 v5, 0.5
	s_cselect_b64 s[8:9], -1, 0
	s_mov_b32 s16, 0
	v_mov_b32_e32 v2, 0
	v_mov_b32_e32 v4, 0
	v_lshl_or_b32 v5, v3, 2, v5
	v_mov_b32_e32 v6, 0xff800000
	v_mov_b32_e32 v3, 0
	s_branch .LBB180_19
.LBB180_18:                             ;   in Loop: Header=BB180_19 Depth=1
	s_lshl_b32 s19, s18, 2
	s_add_i32 s19, s19, 0
	v_mov_b32_e32 v7, s19
	ds_write_b32 v7, v6
	v_mov_b32_e32 v7, s18
	v_cmp_eq_u32_e32 vcc, s16, v0
	s_add_i32 s16, s16, 1
	v_cndmask_b32_e32 v2, v2, v7, vcc
	s_cmp_eq_u32 s16, s17
	v_cndmask_b32_e32 v3, v3, v9, vcc
	s_cbranch_scc1 .LBB180_26
.LBB180_19:                             ; =>This Loop Header: Depth=1
                                        ;     Child Loop BB180_21 Depth 2
	v_mov_b32_e32 v7, s16
	v_mov_b32_e32 v8, 0xff800000
	s_and_saveexec_b64 s[18:19], s[0:1]
	s_cbranch_execz .LBB180_23
; %bb.20:                               ;   in Loop: Header=BB180_19 Depth=1
	s_load_dword s22, s[2:3], 0xc
	s_mov_b64 s[20:21], 0
	v_mov_b32_e32 v7, s16
	v_mov_b32_e32 v8, 0xff800000
	;; [unrolled: 1-line block ×3, first 2 shown]
	s_waitcnt lgkmcnt(0)
	s_and_b32 s22, s22, 0xffff
	s_lshl_b32 s23, s22, 2
	s_lshl_b32 s24, s22, 4
	v_mov_b32_e32 v10, v1
	v_mov_b32_e32 v11, v0
.LBB180_21:                             ;   Parent Loop BB180_19 Depth=1
                                        ; =>  This Inner Loop Header: Depth=2
	ds_read_b128 v[14:17], v9
	v_add_u32_e32 v11, s22, v11
	v_cmp_le_i32_e32 vcc, s7, v11
	s_or_b64 s[20:21], vcc, s[20:21]
	v_add_u32_e32 v13, 1, v10
	s_waitcnt lgkmcnt(0)
	v_cmp_gt_f32_e32 vcc, v14, v8
	v_cndmask_b32_e32 v8, v8, v14, vcc
	v_cndmask_b32_e32 v7, v7, v10, vcc
	v_cmp_gt_f32_e32 vcc, v15, v8
	v_cndmask_b32_e32 v8, v8, v15, vcc
	v_cndmask_b32_e32 v7, v7, v13, vcc
	v_cmp_gt_f32_e32 vcc, v16, v8
	v_add_u32_e32 v18, 2, v10
	v_cndmask_b32_e32 v8, v8, v16, vcc
	v_add_u32_e32 v19, 3, v10
	v_cndmask_b32_e32 v7, v7, v18, vcc
	v_cmp_gt_f32_e32 vcc, v17, v8
	v_add_u32_e32 v9, s24, v9
	v_add_u32_e32 v10, s23, v10
	v_cndmask_b32_e32 v8, v8, v17, vcc
	v_cndmask_b32_e32 v7, v7, v19, vcc
	s_andn2_b64 exec, exec, s[20:21]
	s_cbranch_execnz .LBB180_21
; %bb.22:                               ;   in Loop: Header=BB180_19 Depth=1
	s_or_b64 exec, exec, s[20:21]
.LBB180_23:                             ;   in Loop: Header=BB180_19 Depth=1
	s_or_b64 exec, exec, s[18:19]
	;;#ASMSTART
	v_max_f32 v9, v8, v8 quad_perm:[1,0,3,2] row_mask:0xf bank_mask:0xf bound_ctrl:1
	;;#ASMEND
	;;#ASMSTART
	v_max_f32 v10, v9, v9 quad_perm:[2,3,0,1] row_mask:0xf bank_mask:0xf bound_ctrl:1
	;;#ASMEND
	;;#ASMSTART
	v_max_f32 v9, v10, v10 row_half_mirror row_mask:0xf bank_mask:0xf bound_ctrl:1
	;;#ASMEND
	;;#ASMSTART
	v_max_f32 v10, v9, v9 row_mirror row_mask:0xf bank_mask:0xf bound_ctrl:1
	;;#ASMEND
	;;#ASMSTART
	v_max_f32 v9, v10, v10 row_ror:4 row_mask:0xf bank_mask:0xf bound_ctrl:1
	;;#ASMEND
	;;#ASMSTART
	v_max_f32 v10, v9, v9 row_ror:8 row_mask:0xf bank_mask:0xf bound_ctrl:1
	;;#ASMEND
	;;#ASMSTART
	v_max_f32 v9, v10, v10 row_bcast:15 row_mask:0xf bank_mask:0xf bound_ctrl:1
	;;#ASMEND
	;;#ASMSTART
	v_max_f32 v10, v9, v9 row_bcast:31 row_mask:0xf bank_mask:0xf bound_ctrl:1
	;;#ASMEND
	ds_bpermute_b32 v9, v5, v10
	s_waitcnt lgkmcnt(0)
	v_cmp_eq_f32_e32 vcc, v8, v9
	s_ff1_i32_b64 s18, vcc
	s_cmp_lg_u64 vcc, 0
	s_cselect_b32 s18, s18, 0
	s_and_b64 vcc, exec, s[8:9]
	v_readlane_b32 s18, v7, s18
	s_cbranch_vccz .LBB180_18
; %bb.24:                               ;   in Loop: Header=BB180_19 Depth=1
	s_ashr_i32 s19, s18, 31
	s_lshl_b64 s[20:21], s[18:19], 1
	s_add_u32 s20, s10, s20
	s_addc_u32 s21, s11, s21
	global_load_ushort v7, v4, s[20:21]
	s_waitcnt vmcnt(0)
	v_lshlrev_b32_e32 v7, 16, v7
	v_sub_f32_e32 v9, v9, v7
	s_branch .LBB180_18
.LBB180_25:
	v_mov_b32_e32 v3, 0
	v_mov_b32_e32 v2, 0
.LBB180_26:
	v_cmp_gt_i32_e32 vcc, s17, v0
	s_and_saveexec_b64 s[0:1], vcc
	s_cbranch_execz .LBB180_29
; %bb.27:
	s_load_dword s2, s[4:5], 0x34
	s_load_dwordx2 s[0:1], s[4:5], 0x20
	s_ashr_i32 s3, s6, 31
	s_load_dword s4, s[4:5], 0x44
	v_mov_b32_e32 v4, s13
	s_waitcnt lgkmcnt(0)
	v_mul_f32_e32 v1, s2, v3
	s_mul_i32 s1, s6, s1
	s_mul_hi_u32 s2, s6, s0
	s_add_i32 s1, s2, s1
	s_mul_i32 s3, s3, s0
	s_add_i32 s5, s1, s3
	s_mul_i32 s2, s6, s0
	s_and_b32 s3, s4, 0xffff
	s_mov_b64 s[0:1], 0
	v_mov_b32_e32 v3, s5
	v_mov_b32_e32 v5, s15
.LBB180_28:                             ; =>This Inner Loop Header: Depth=1
	v_ashrrev_i32_e32 v7, 31, v0
	v_add_co_u32_e32 v6, vcc, s2, v0
	v_addc_co_u32_e32 v7, vcc, v3, v7, vcc
	v_add_u32_e32 v0, s3, v0
	v_cmp_le_i32_e32 vcc, s17, v0
	v_lshlrev_b64 v[6:7], 2, v[6:7]
	s_or_b64 s[0:1], vcc, s[0:1]
	v_add_co_u32_e32 v8, vcc, s12, v6
	v_addc_co_u32_e32 v9, vcc, v4, v7, vcc
	v_add_co_u32_e32 v6, vcc, s14, v6
	v_addc_co_u32_e32 v7, vcc, v5, v7, vcc
	global_store_dword v[8:9], v1, off
	global_store_dword v[6:7], v2, off
	s_andn2_b64 exec, exec, s[0:1]
	s_cbranch_execnz .LBB180_28
.LBB180_29:
	s_endpgm
	.section	.rodata,"a",@progbits
	.p2align	6, 0x0
	.amdhsa_kernel _ZN5aiter20topk_softplus_kernelI6__half12hip_bfloat16Dv4_fLb0ELi1EEEvPKT_PKT0_PfPimiiif
		.amdhsa_group_segment_fixed_size 0
		.amdhsa_private_segment_fixed_size 0
		.amdhsa_kernarg_size 312
		.amdhsa_user_sgpr_count 6
		.amdhsa_user_sgpr_private_segment_buffer 1
		.amdhsa_user_sgpr_dispatch_ptr 0
		.amdhsa_user_sgpr_queue_ptr 0
		.amdhsa_user_sgpr_kernarg_segment_ptr 1
		.amdhsa_user_sgpr_dispatch_id 0
		.amdhsa_user_sgpr_flat_scratch_init 0
		.amdhsa_user_sgpr_kernarg_preload_length 0
		.amdhsa_user_sgpr_kernarg_preload_offset 0
		.amdhsa_user_sgpr_private_segment_size 0
		.amdhsa_uses_dynamic_stack 0
		.amdhsa_system_sgpr_private_segment_wavefront_offset 0
		.amdhsa_system_sgpr_workgroup_id_x 1
		.amdhsa_system_sgpr_workgroup_id_y 0
		.amdhsa_system_sgpr_workgroup_id_z 0
		.amdhsa_system_sgpr_workgroup_info 0
		.amdhsa_system_vgpr_workitem_id 0
		.amdhsa_next_free_vgpr 20
		.amdhsa_next_free_sgpr 38
		.amdhsa_accum_offset 20
		.amdhsa_reserve_vcc 1
		.amdhsa_reserve_flat_scratch 0
		.amdhsa_float_round_mode_32 0
		.amdhsa_float_round_mode_16_64 0
		.amdhsa_float_denorm_mode_32 3
		.amdhsa_float_denorm_mode_16_64 3
		.amdhsa_dx10_clamp 1
		.amdhsa_ieee_mode 1
		.amdhsa_fp16_overflow 0
		.amdhsa_tg_split 0
		.amdhsa_exception_fp_ieee_invalid_op 0
		.amdhsa_exception_fp_denorm_src 0
		.amdhsa_exception_fp_ieee_div_zero 0
		.amdhsa_exception_fp_ieee_overflow 0
		.amdhsa_exception_fp_ieee_underflow 0
		.amdhsa_exception_fp_ieee_inexact 0
		.amdhsa_exception_int_div_zero 0
	.end_amdhsa_kernel
	.section	.text._ZN5aiter20topk_softplus_kernelI6__half12hip_bfloat16Dv4_fLb0ELi1EEEvPKT_PKT0_PfPimiiif,"axG",@progbits,_ZN5aiter20topk_softplus_kernelI6__half12hip_bfloat16Dv4_fLb0ELi1EEEvPKT_PKT0_PfPimiiif,comdat
.Lfunc_end180:
	.size	_ZN5aiter20topk_softplus_kernelI6__half12hip_bfloat16Dv4_fLb0ELi1EEEvPKT_PKT0_PfPimiiif, .Lfunc_end180-_ZN5aiter20topk_softplus_kernelI6__half12hip_bfloat16Dv4_fLb0ELi1EEEvPKT_PKT0_PfPimiiif
                                        ; -- End function
	.section	.AMDGPU.csdata,"",@progbits
; Kernel info:
; codeLenInByte = 1636
; NumSgprs: 42
; NumVgprs: 20
; NumAgprs: 0
; TotalNumVgprs: 20
; ScratchSize: 0
; MemoryBound: 0
; FloatMode: 240
; IeeeMode: 1
; LDSByteSize: 0 bytes/workgroup (compile time only)
; SGPRBlocks: 5
; VGPRBlocks: 2
; NumSGPRsForWavesPerEU: 42
; NumVGPRsForWavesPerEU: 20
; AccumOffset: 20
; Occupancy: 8
; WaveLimiterHint : 0
; COMPUTE_PGM_RSRC2:SCRATCH_EN: 0
; COMPUTE_PGM_RSRC2:USER_SGPR: 6
; COMPUTE_PGM_RSRC2:TRAP_HANDLER: 0
; COMPUTE_PGM_RSRC2:TGID_X_EN: 1
; COMPUTE_PGM_RSRC2:TGID_Y_EN: 0
; COMPUTE_PGM_RSRC2:TGID_Z_EN: 0
; COMPUTE_PGM_RSRC2:TIDIG_COMP_CNT: 0
; COMPUTE_PGM_RSRC3_GFX90A:ACCUM_OFFSET: 4
; COMPUTE_PGM_RSRC3_GFX90A:TG_SPLIT: 0
	.section	.text._ZN5aiter20topk_softplus_kernelI6__half12hip_bfloat16Dv2_fLb1ELi1EEEvPKT_PKT0_PfPimiiif,"axG",@progbits,_ZN5aiter20topk_softplus_kernelI6__half12hip_bfloat16Dv2_fLb1ELi1EEEvPKT_PKT0_PfPimiiif,comdat
	.protected	_ZN5aiter20topk_softplus_kernelI6__half12hip_bfloat16Dv2_fLb1ELi1EEEvPKT_PKT0_PfPimiiif ; -- Begin function _ZN5aiter20topk_softplus_kernelI6__half12hip_bfloat16Dv2_fLb1ELi1EEEvPKT_PKT0_PfPimiiif
	.globl	_ZN5aiter20topk_softplus_kernelI6__half12hip_bfloat16Dv2_fLb1ELi1EEEvPKT_PKT0_PfPimiiif
	.p2align	8
	.type	_ZN5aiter20topk_softplus_kernelI6__half12hip_bfloat16Dv2_fLb1ELi1EEEvPKT_PKT0_PfPimiiif,@function
_ZN5aiter20topk_softplus_kernelI6__half12hip_bfloat16Dv2_fLb1ELi1EEEvPKT_PKT0_PfPimiiif: ; @_ZN5aiter20topk_softplus_kernelI6__half12hip_bfloat16Dv2_fLb1ELi1EEEvPKT_PKT0_PfPimiiif
; %bb.0:
	s_load_dwordx2 s[16:17], s[4:5], 0x28
	s_load_dwordx8 s[8:15], s[4:5], 0x0
	v_lshl_add_u32 v6, v0, 3, 0
	s_waitcnt lgkmcnt(0)
	s_lshr_b32 s1, s16, 31
	s_mul_i32 s0, s6, s16
	s_add_i32 s1, s16, s1
	s_ashr_i32 s7, s1, 1
	s_ashr_i32 s1, s0, 31
	s_lshl_b64 s[0:1], s[0:1], 1
	s_add_u32 s20, s8, s0
	s_addc_u32 s21, s9, s1
	v_cmp_gt_i32_e64 s[0:1], s7, v0
	s_and_saveexec_b64 s[8:9], s[0:1]
	s_cbranch_execz .LBB181_7
; %bb.1:
	s_load_dword s22, s[4:5], 0x44
	s_cmp_lg_u64 s[10:11], 0
	s_cselect_b64 s[2:3], -1, 0
	s_mov_b32 s27, 0
	v_cndmask_b32_e64 v4, 0, 1, s[2:3]
	s_waitcnt lgkmcnt(0)
	s_and_b32 s22, s22, 0xffff
	s_mov_b64 s[18:19], 0
	v_lshlrev_b32_e32 v2, 2, v0
	v_mov_b32_e32 v1, 0
	s_lshl_b32 s23, s22, 2
	v_lshl_add_u32 v3, v0, 3, 0
	s_lshl_b32 s24, s22, 3
	v_mov_b32_e32 v7, s21
	s_mov_b32 s25, 0xbfb8aa3b
	s_mov_b32 s26, 0xc2fc0000
	v_mov_b32_e32 v8, 0x42800000
	v_mov_b32_e32 v9, 0x1f800000
	v_cmp_ne_u32_e64 s[2:3], 1, v4
	v_mov_b32_e32 v10, s27
	v_mov_b32_e32 v11, v0
	s_branch .LBB181_3
.LBB181_2:                              ;   in Loop: Header=BB181_3 Depth=1
	v_add_co_u32_e32 v2, vcc, s23, v2
	v_add_u32_e32 v11, s22, v11
	v_addc_co_u32_e32 v1, vcc, v1, v10, vcc
	v_cmp_le_i32_e32 vcc, s7, v11
	ds_write_b64 v3, v[4:5]
	s_or_b64 s[18:19], vcc, s[18:19]
	v_add_u32_e32 v3, s24, v3
	s_andn2_b64 exec, exec, s[18:19]
	s_cbranch_execz .LBB181_7
.LBB181_3:                              ; =>This Inner Loop Header: Depth=1
	v_add_co_u32_e32 v4, vcc, s20, v2
	v_addc_co_u32_e32 v5, vcc, v7, v1, vcc
	global_load_dword v5, v[4:5], off
	s_waitcnt vmcnt(0)
	v_cvt_f32_f16_e32 v4, v5
	v_mul_f32_e32 v4, 0xbfb8aa3b, v4
	v_cmp_gt_f32_e32 vcc, s26, v4
	v_cndmask_b32_e32 v4, 0, v8, vcc
	v_fma_mix_f32 v4, v5, s25, v4 op_sel_hi:[1,0,0]
	v_exp_f32_e32 v4, v4
	v_cndmask_b32_e32 v12, 1.0, v9, vcc
	s_and_b64 vcc, exec, s[2:3]
	v_fma_f32 v4, v4, v12, 1.0
	v_rcp_f32_e32 v4, v4
	s_cbranch_vccnz .LBB181_5
; %bb.4:                                ;   in Loop: Header=BB181_3 Depth=1
	v_mov_b32_e32 v13, s11
	v_add_co_u32_e32 v12, vcc, s10, v2
	v_addc_co_u32_e32 v13, vcc, v13, v1, vcc
	global_load_ushort v12, v[12:13], off
	s_waitcnt vmcnt(0)
	v_lshlrev_b32_e32 v12, 16, v12
	v_add_f32_e32 v4, v4, v12
.LBB181_5:                              ;   in Loop: Header=BB181_3 Depth=1
	v_cvt_f32_f16_sdwa v12, v5 dst_sel:DWORD dst_unused:UNUSED_PAD src0_sel:WORD_1
	v_mul_f32_e32 v12, 0xbfb8aa3b, v12
	v_cmp_gt_f32_e32 vcc, s26, v12
	v_cndmask_b32_e32 v13, 0, v8, vcc
	v_fma_mix_f32 v5, v5, s25, v13 op_sel:[1,0,0] op_sel_hi:[1,0,0]
	v_exp_f32_e32 v5, v5
	v_cndmask_b32_e32 v12, 1.0, v9, vcc
	s_and_b64 vcc, exec, s[2:3]
	v_fma_f32 v5, v5, v12, 1.0
	v_rcp_f32_e32 v5, v5
	s_cbranch_vccnz .LBB181_2
; %bb.6:                                ;   in Loop: Header=BB181_3 Depth=1
	v_mov_b32_e32 v13, s11
	v_add_co_u32_e32 v12, vcc, s10, v2
	v_addc_co_u32_e32 v13, vcc, v13, v1, vcc
	global_load_ushort v12, v[12:13], off offset:2
	s_waitcnt vmcnt(0)
	v_lshlrev_b32_e32 v12, 16, v12
	v_add_f32_e32 v5, v5, v12
	s_branch .LBB181_2
.LBB181_7:
	s_or_b64 exec, exec, s[8:9]
	v_lshl_add_u32 v2, s7, 1, v0
	v_cmp_gt_i32_e32 vcc, s16, v2
	s_and_saveexec_b64 s[8:9], vcc
	s_cbranch_execz .LBB181_12
; %bb.8:
	s_load_dword s22, s[4:5], 0x44
	s_cmp_lg_u64 s[10:11], 0
	s_cselect_b64 s[2:3], -1, 0
	s_lshl_b32 s23, s7, 3
	s_add_i32 s23, s23, 0
	s_waitcnt lgkmcnt(0)
	s_and_b32 s22, s22, 0xffff
	v_cndmask_b32_e64 v3, 0, 1, s[2:3]
	s_mov_b64 s[18:19], 0
	v_lshl_add_u32 v1, v0, 2, s23
	s_lshl_b32 s23, s22, 2
	v_mov_b32_e32 v7, s21
	s_mov_b32 s21, 0xbfb8aa3b
	s_mov_b32 s24, 0xc2fc0000
	v_mov_b32_e32 v8, 0x42800000
	v_mov_b32_e32 v9, 0x1f800000
	v_cmp_ne_u32_e64 s[2:3], 1, v3
	s_branch .LBB181_10
.LBB181_9:                              ;   in Loop: Header=BB181_10 Depth=1
	v_add_u32_e32 v2, s22, v2
	v_cmp_le_i32_e32 vcc, s16, v2
	s_or_b64 s[18:19], vcc, s[18:19]
	v_add_u32_e32 v1, s23, v1
	s_andn2_b64 exec, exec, s[18:19]
	s_cbranch_execz .LBB181_12
.LBB181_10:                             ; =>This Inner Loop Header: Depth=1
	v_ashrrev_i32_e32 v3, 31, v2
	v_lshlrev_b64 v[4:5], 1, v[2:3]
	v_add_co_u32_e32 v10, vcc, s20, v4
	v_addc_co_u32_e32 v11, vcc, v7, v5, vcc
	global_load_ushort v3, v[10:11], off
	s_waitcnt vmcnt(0)
	v_cvt_f32_f16_e32 v10, v3
	v_mul_f32_e32 v10, 0xbfb8aa3b, v10
	v_cmp_gt_f32_e32 vcc, s24, v10
	v_cndmask_b32_e32 v10, 0, v8, vcc
	v_fma_mix_f32 v3, v3, s21, v10 op_sel_hi:[1,0,0]
	v_exp_f32_e32 v3, v3
	v_cndmask_b32_e32 v10, 1.0, v9, vcc
	s_and_b64 vcc, exec, s[2:3]
	v_fma_f32 v3, v3, v10, 1.0
	v_rcp_f32_e32 v3, v3
	ds_write_b32 v1, v3
	s_cbranch_vccnz .LBB181_9
; %bb.11:                               ;   in Loop: Header=BB181_10 Depth=1
	v_mov_b32_e32 v10, s11
	v_add_co_u32_e32 v4, vcc, s10, v4
	v_addc_co_u32_e32 v5, vcc, v10, v5, vcc
	global_load_ushort v4, v[4:5], off
	s_waitcnt vmcnt(0)
	v_lshlrev_b32_e32 v4, 16, v4
	v_add_f32_e32 v3, v3, v4
	ds_write_b32 v1, v3
	s_branch .LBB181_9
.LBB181_12:
	s_or_b64 exec, exec, s[8:9]
	s_cmp_lt_i32 s17, 1
	v_mov_b32_e32 v2, 0
	s_waitcnt lgkmcnt(0)
	s_barrier
	s_cbranch_scc1 .LBB181_21
; %bb.13:
	s_add_u32 s2, s4, 56
	s_addc_u32 s3, s5, 0
	v_mbcnt_lo_u32_b32 v1, -1, 0
	s_cmp_lg_u64 s[10:11], 0
	v_mbcnt_hi_u32_b32 v1, -1, v1
	v_bfrev_b32_e32 v3, 0.5
	s_cselect_b64 s[8:9], -1, 0
	v_lshlrev_b32_e32 v4, 1, v0
	s_mov_b32 s16, 0
	v_mov_b32_e32 v2, 0
	v_lshl_or_b32 v5, v1, 2, v3
	v_mov_b32_e32 v7, 0
	v_mov_b32_e32 v8, 0xff800000
	;; [unrolled: 1-line block ×4, first 2 shown]
	s_branch .LBB181_15
.LBB181_14:                             ;   in Loop: Header=BB181_15 Depth=1
	s_lshl_b32 s19, s18, 2
	s_add_i32 s19, s19, 0
	v_mov_b32_e32 v9, s19
	ds_write_b32 v9, v8
	v_mov_b32_e32 v9, s18
	v_cmp_eq_u32_e32 vcc, s16, v0
	s_add_i32 s16, s16, 1
	v_cndmask_b32_e32 v1, v1, v9, vcc
	v_cndmask_b32_e32 v2, v2, v11, vcc
	s_cmp_eq_u32 s16, s17
	v_add_f32_e32 v3, v3, v11
	s_cbranch_scc1 .LBB181_22
.LBB181_15:                             ; =>This Loop Header: Depth=1
                                        ;     Child Loop BB181_17 Depth 2
	v_mov_b32_e32 v9, s16
	v_mov_b32_e32 v10, 0xff800000
	s_and_saveexec_b64 s[18:19], s[0:1]
	s_cbranch_execz .LBB181_19
; %bb.16:                               ;   in Loop: Header=BB181_15 Depth=1
	s_load_dword s22, s[2:3], 0xc
	s_mov_b64 s[20:21], 0
	v_mov_b32_e32 v9, s16
	v_mov_b32_e32 v10, 0xff800000
	;; [unrolled: 1-line block ×3, first 2 shown]
	s_waitcnt lgkmcnt(0)
	s_and_b32 s22, s22, 0xffff
	s_lshl_b32 s23, s22, 1
	s_lshl_b32 s24, s22, 3
	v_mov_b32_e32 v12, v4
	v_mov_b32_e32 v13, v0
.LBB181_17:                             ;   Parent Loop BB181_15 Depth=1
                                        ; =>  This Inner Loop Header: Depth=2
	ds_read_b64 v[14:15], v11
	v_add_u32_e32 v13, s22, v13
	v_cmp_le_i32_e32 vcc, s7, v13
	s_or_b64 s[20:21], vcc, s[20:21]
	v_add_u32_e32 v16, 1, v12
	s_waitcnt lgkmcnt(0)
	v_cmp_gt_f32_e32 vcc, v14, v10
	v_cndmask_b32_e32 v10, v10, v14, vcc
	v_cndmask_b32_e32 v9, v9, v12, vcc
	v_cmp_gt_f32_e32 vcc, v15, v10
	v_add_u32_e32 v11, s24, v11
	v_cndmask_b32_e32 v10, v10, v15, vcc
	v_add_u32_e32 v12, s23, v12
	v_cndmask_b32_e32 v9, v9, v16, vcc
	s_andn2_b64 exec, exec, s[20:21]
	s_cbranch_execnz .LBB181_17
; %bb.18:                               ;   in Loop: Header=BB181_15 Depth=1
	s_or_b64 exec, exec, s[20:21]
.LBB181_19:                             ;   in Loop: Header=BB181_15 Depth=1
	s_or_b64 exec, exec, s[18:19]
	;;#ASMSTART
	v_max_f32 v11, v10, v10 quad_perm:[1,0,3,2] row_mask:0xf bank_mask:0xf bound_ctrl:1
	;;#ASMEND
	;;#ASMSTART
	v_max_f32 v12, v11, v11 quad_perm:[2,3,0,1] row_mask:0xf bank_mask:0xf bound_ctrl:1
	;;#ASMEND
	;;#ASMSTART
	v_max_f32 v11, v12, v12 row_half_mirror row_mask:0xf bank_mask:0xf bound_ctrl:1
	;;#ASMEND
	;;#ASMSTART
	v_max_f32 v12, v11, v11 row_mirror row_mask:0xf bank_mask:0xf bound_ctrl:1
	;;#ASMEND
	;;#ASMSTART
	v_max_f32 v11, v12, v12 row_ror:4 row_mask:0xf bank_mask:0xf bound_ctrl:1
	;;#ASMEND
	;;#ASMSTART
	v_max_f32 v12, v11, v11 row_ror:8 row_mask:0xf bank_mask:0xf bound_ctrl:1
	;;#ASMEND
	;;#ASMSTART
	v_max_f32 v11, v12, v12 row_bcast:15 row_mask:0xf bank_mask:0xf bound_ctrl:1
	;;#ASMEND
	;;#ASMSTART
	v_max_f32 v12, v11, v11 row_bcast:31 row_mask:0xf bank_mask:0xf bound_ctrl:1
	;;#ASMEND
	ds_bpermute_b32 v11, v5, v12
	s_waitcnt lgkmcnt(0)
	v_cmp_eq_f32_e32 vcc, v10, v11
	s_ff1_i32_b64 s18, vcc
	s_cmp_lg_u64 vcc, 0
	s_cselect_b32 s18, s18, 0
	s_and_b64 vcc, exec, s[8:9]
	v_readlane_b32 s18, v9, s18
	s_cbranch_vccz .LBB181_14
; %bb.20:                               ;   in Loop: Header=BB181_15 Depth=1
	s_ashr_i32 s19, s18, 31
	s_lshl_b64 s[20:21], s[18:19], 1
	s_add_u32 s20, s10, s20
	s_addc_u32 s21, s11, s21
	global_load_ushort v9, v7, s[20:21]
	s_waitcnt vmcnt(0)
	v_lshlrev_b32_e32 v9, 16, v9
	v_sub_f32_e32 v11, v11, v9
	s_branch .LBB181_14
.LBB181_21:
	v_mov_b32_e32 v1, 0
	v_mov_b32_e32 v3, 0
.LBB181_22:
	v_cmp_gt_i32_e32 vcc, s17, v0
	s_and_saveexec_b64 s[0:1], vcc
	s_cbranch_execz .LBB181_25
; %bb.23:
	s_load_dword s2, s[4:5], 0x34
	v_max_f32_e32 v3, v3, v3
	v_max_f32_e32 v3, 0x1e3ce508, v3
	s_load_dword s3, s[4:5], 0x44
	s_waitcnt lgkmcnt(0)
	v_div_scale_f32 v4, s[0:1], v3, v3, s2
	s_load_dwordx2 s[0:1], s[4:5], 0x20
	v_rcp_f32_e32 v5, v4
	v_div_scale_f32 v6, vcc, s2, v3, s2
	s_and_b32 s3, s3, 0xffff
	v_fma_f32 v7, -v4, v5, 1.0
	v_fmac_f32_e32 v5, v7, v5
	v_mul_f32_e32 v7, v6, v5
	v_fma_f32 v8, -v4, v7, v6
	v_fmac_f32_e32 v7, v8, v5
	v_fma_f32 v4, -v4, v7, v6
	v_div_fmas_f32 v4, v4, v5, v7
	v_div_fixup_f32 v3, v4, v3, s2
	s_ashr_i32 s2, s6, 31
	s_waitcnt lgkmcnt(0)
	s_mul_i32 s1, s6, s1
	s_mul_hi_u32 s4, s6, s0
	s_add_i32 s1, s4, s1
	s_mul_i32 s2, s2, s0
	s_add_i32 s4, s1, s2
	v_mul_f32_e32 v2, v2, v3
	s_mul_i32 s2, s6, s0
	s_mov_b64 s[0:1], 0
	v_mov_b32_e32 v3, s4
	v_mov_b32_e32 v4, s13
	v_mov_b32_e32 v5, s15
.LBB181_24:                             ; =>This Inner Loop Header: Depth=1
	v_ashrrev_i32_e32 v7, 31, v0
	v_add_co_u32_e32 v6, vcc, s2, v0
	v_addc_co_u32_e32 v7, vcc, v3, v7, vcc
	v_add_u32_e32 v0, s3, v0
	v_cmp_le_i32_e32 vcc, s17, v0
	v_lshlrev_b64 v[6:7], 2, v[6:7]
	s_or_b64 s[0:1], vcc, s[0:1]
	v_add_co_u32_e32 v8, vcc, s12, v6
	v_addc_co_u32_e32 v9, vcc, v4, v7, vcc
	v_add_co_u32_e32 v6, vcc, s14, v6
	v_addc_co_u32_e32 v7, vcc, v5, v7, vcc
	global_store_dword v[8:9], v2, off
	global_store_dword v[6:7], v1, off
	s_andn2_b64 exec, exec, s[0:1]
	s_cbranch_execnz .LBB181_24
.LBB181_25:
	s_endpgm
	.section	.rodata,"a",@progbits
	.p2align	6, 0x0
	.amdhsa_kernel _ZN5aiter20topk_softplus_kernelI6__half12hip_bfloat16Dv2_fLb1ELi1EEEvPKT_PKT0_PfPimiiif
		.amdhsa_group_segment_fixed_size 0
		.amdhsa_private_segment_fixed_size 0
		.amdhsa_kernarg_size 312
		.amdhsa_user_sgpr_count 6
		.amdhsa_user_sgpr_private_segment_buffer 1
		.amdhsa_user_sgpr_dispatch_ptr 0
		.amdhsa_user_sgpr_queue_ptr 0
		.amdhsa_user_sgpr_kernarg_segment_ptr 1
		.amdhsa_user_sgpr_dispatch_id 0
		.amdhsa_user_sgpr_flat_scratch_init 0
		.amdhsa_user_sgpr_kernarg_preload_length 0
		.amdhsa_user_sgpr_kernarg_preload_offset 0
		.amdhsa_user_sgpr_private_segment_size 0
		.amdhsa_uses_dynamic_stack 0
		.amdhsa_system_sgpr_private_segment_wavefront_offset 0
		.amdhsa_system_sgpr_workgroup_id_x 1
		.amdhsa_system_sgpr_workgroup_id_y 0
		.amdhsa_system_sgpr_workgroup_id_z 0
		.amdhsa_system_sgpr_workgroup_info 0
		.amdhsa_system_vgpr_workitem_id 0
		.amdhsa_next_free_vgpr 17
		.amdhsa_next_free_sgpr 28
		.amdhsa_accum_offset 20
		.amdhsa_reserve_vcc 1
		.amdhsa_reserve_flat_scratch 0
		.amdhsa_float_round_mode_32 0
		.amdhsa_float_round_mode_16_64 0
		.amdhsa_float_denorm_mode_32 3
		.amdhsa_float_denorm_mode_16_64 3
		.amdhsa_dx10_clamp 1
		.amdhsa_ieee_mode 1
		.amdhsa_fp16_overflow 0
		.amdhsa_tg_split 0
		.amdhsa_exception_fp_ieee_invalid_op 0
		.amdhsa_exception_fp_denorm_src 0
		.amdhsa_exception_fp_ieee_div_zero 0
		.amdhsa_exception_fp_ieee_overflow 0
		.amdhsa_exception_fp_ieee_underflow 0
		.amdhsa_exception_fp_ieee_inexact 0
		.amdhsa_exception_int_div_zero 0
	.end_amdhsa_kernel
	.section	.text._ZN5aiter20topk_softplus_kernelI6__half12hip_bfloat16Dv2_fLb1ELi1EEEvPKT_PKT0_PfPimiiif,"axG",@progbits,_ZN5aiter20topk_softplus_kernelI6__half12hip_bfloat16Dv2_fLb1ELi1EEEvPKT_PKT0_PfPimiiif,comdat
.Lfunc_end181:
	.size	_ZN5aiter20topk_softplus_kernelI6__half12hip_bfloat16Dv2_fLb1ELi1EEEvPKT_PKT0_PfPimiiif, .Lfunc_end181-_ZN5aiter20topk_softplus_kernelI6__half12hip_bfloat16Dv2_fLb1ELi1EEEvPKT_PKT0_PfPimiiif
                                        ; -- End function
	.section	.AMDGPU.csdata,"",@progbits
; Kernel info:
; codeLenInByte = 1464
; NumSgprs: 32
; NumVgprs: 17
; NumAgprs: 0
; TotalNumVgprs: 17
; ScratchSize: 0
; MemoryBound: 0
; FloatMode: 240
; IeeeMode: 1
; LDSByteSize: 0 bytes/workgroup (compile time only)
; SGPRBlocks: 3
; VGPRBlocks: 2
; NumSGPRsForWavesPerEU: 32
; NumVGPRsForWavesPerEU: 17
; AccumOffset: 20
; Occupancy: 8
; WaveLimiterHint : 0
; COMPUTE_PGM_RSRC2:SCRATCH_EN: 0
; COMPUTE_PGM_RSRC2:USER_SGPR: 6
; COMPUTE_PGM_RSRC2:TRAP_HANDLER: 0
; COMPUTE_PGM_RSRC2:TGID_X_EN: 1
; COMPUTE_PGM_RSRC2:TGID_Y_EN: 0
; COMPUTE_PGM_RSRC2:TGID_Z_EN: 0
; COMPUTE_PGM_RSRC2:TIDIG_COMP_CNT: 0
; COMPUTE_PGM_RSRC3_GFX90A:ACCUM_OFFSET: 4
; COMPUTE_PGM_RSRC3_GFX90A:TG_SPLIT: 0
	.section	.text._ZN5aiter20topk_softplus_kernelI6__half12hip_bfloat16Dv2_fLb0ELi1EEEvPKT_PKT0_PfPimiiif,"axG",@progbits,_ZN5aiter20topk_softplus_kernelI6__half12hip_bfloat16Dv2_fLb0ELi1EEEvPKT_PKT0_PfPimiiif,comdat
	.protected	_ZN5aiter20topk_softplus_kernelI6__half12hip_bfloat16Dv2_fLb0ELi1EEEvPKT_PKT0_PfPimiiif ; -- Begin function _ZN5aiter20topk_softplus_kernelI6__half12hip_bfloat16Dv2_fLb0ELi1EEEvPKT_PKT0_PfPimiiif
	.globl	_ZN5aiter20topk_softplus_kernelI6__half12hip_bfloat16Dv2_fLb0ELi1EEEvPKT_PKT0_PfPimiiif
	.p2align	8
	.type	_ZN5aiter20topk_softplus_kernelI6__half12hip_bfloat16Dv2_fLb0ELi1EEEvPKT_PKT0_PfPimiiif,@function
_ZN5aiter20topk_softplus_kernelI6__half12hip_bfloat16Dv2_fLb0ELi1EEEvPKT_PKT0_PfPimiiif: ; @_ZN5aiter20topk_softplus_kernelI6__half12hip_bfloat16Dv2_fLb0ELi1EEEvPKT_PKT0_PfPimiiif
; %bb.0:
	s_load_dwordx2 s[16:17], s[4:5], 0x28
	s_load_dwordx8 s[8:15], s[4:5], 0x0
	v_lshl_add_u32 v6, v0, 3, 0
	s_waitcnt lgkmcnt(0)
	s_lshr_b32 s1, s16, 31
	s_mul_i32 s0, s6, s16
	s_add_i32 s1, s16, s1
	s_ashr_i32 s7, s1, 1
	s_ashr_i32 s1, s0, 31
	s_lshl_b64 s[0:1], s[0:1], 1
	s_add_u32 s20, s8, s0
	s_addc_u32 s21, s9, s1
	v_cmp_gt_i32_e64 s[0:1], s7, v0
	s_and_saveexec_b64 s[8:9], s[0:1]
	s_cbranch_execz .LBB182_7
; %bb.1:
	s_load_dword s22, s[4:5], 0x44
	s_cmp_lg_u64 s[10:11], 0
	s_cselect_b64 s[2:3], -1, 0
	s_mov_b32 s27, 0
	v_cndmask_b32_e64 v4, 0, 1, s[2:3]
	s_waitcnt lgkmcnt(0)
	s_and_b32 s22, s22, 0xffff
	s_mov_b64 s[18:19], 0
	v_lshlrev_b32_e32 v2, 2, v0
	v_mov_b32_e32 v1, 0
	s_lshl_b32 s23, s22, 2
	v_lshl_add_u32 v3, v0, 3, 0
	s_lshl_b32 s24, s22, 3
	v_mov_b32_e32 v7, s21
	s_mov_b32 s25, 0xbfb8aa3b
	s_mov_b32 s26, 0xc2fc0000
	v_mov_b32_e32 v8, 0x42800000
	v_mov_b32_e32 v9, 0x1f800000
	v_cmp_ne_u32_e64 s[2:3], 1, v4
	v_mov_b32_e32 v10, s27
	v_mov_b32_e32 v11, v0
	s_branch .LBB182_3
.LBB182_2:                              ;   in Loop: Header=BB182_3 Depth=1
	v_add_co_u32_e32 v2, vcc, s23, v2
	v_add_u32_e32 v11, s22, v11
	v_addc_co_u32_e32 v1, vcc, v1, v10, vcc
	v_cmp_le_i32_e32 vcc, s7, v11
	ds_write_b64 v3, v[4:5]
	s_or_b64 s[18:19], vcc, s[18:19]
	v_add_u32_e32 v3, s24, v3
	s_andn2_b64 exec, exec, s[18:19]
	s_cbranch_execz .LBB182_7
.LBB182_3:                              ; =>This Inner Loop Header: Depth=1
	v_add_co_u32_e32 v4, vcc, s20, v2
	v_addc_co_u32_e32 v5, vcc, v7, v1, vcc
	global_load_dword v5, v[4:5], off
	s_waitcnt vmcnt(0)
	v_cvt_f32_f16_e32 v4, v5
	v_mul_f32_e32 v4, 0xbfb8aa3b, v4
	v_cmp_gt_f32_e32 vcc, s26, v4
	v_cndmask_b32_e32 v4, 0, v8, vcc
	v_fma_mix_f32 v4, v5, s25, v4 op_sel_hi:[1,0,0]
	v_exp_f32_e32 v4, v4
	v_cndmask_b32_e32 v12, 1.0, v9, vcc
	s_and_b64 vcc, exec, s[2:3]
	v_fma_f32 v4, v4, v12, 1.0
	v_rcp_f32_e32 v4, v4
	s_cbranch_vccnz .LBB182_5
; %bb.4:                                ;   in Loop: Header=BB182_3 Depth=1
	v_mov_b32_e32 v13, s11
	v_add_co_u32_e32 v12, vcc, s10, v2
	v_addc_co_u32_e32 v13, vcc, v13, v1, vcc
	global_load_ushort v12, v[12:13], off
	s_waitcnt vmcnt(0)
	v_lshlrev_b32_e32 v12, 16, v12
	v_add_f32_e32 v4, v4, v12
.LBB182_5:                              ;   in Loop: Header=BB182_3 Depth=1
	v_cvt_f32_f16_sdwa v12, v5 dst_sel:DWORD dst_unused:UNUSED_PAD src0_sel:WORD_1
	v_mul_f32_e32 v12, 0xbfb8aa3b, v12
	v_cmp_gt_f32_e32 vcc, s26, v12
	v_cndmask_b32_e32 v13, 0, v8, vcc
	v_fma_mix_f32 v5, v5, s25, v13 op_sel:[1,0,0] op_sel_hi:[1,0,0]
	v_exp_f32_e32 v5, v5
	v_cndmask_b32_e32 v12, 1.0, v9, vcc
	s_and_b64 vcc, exec, s[2:3]
	v_fma_f32 v5, v5, v12, 1.0
	v_rcp_f32_e32 v5, v5
	s_cbranch_vccnz .LBB182_2
; %bb.6:                                ;   in Loop: Header=BB182_3 Depth=1
	v_mov_b32_e32 v13, s11
	v_add_co_u32_e32 v12, vcc, s10, v2
	v_addc_co_u32_e32 v13, vcc, v13, v1, vcc
	global_load_ushort v12, v[12:13], off offset:2
	s_waitcnt vmcnt(0)
	v_lshlrev_b32_e32 v12, 16, v12
	v_add_f32_e32 v5, v5, v12
	s_branch .LBB182_2
.LBB182_7:
	s_or_b64 exec, exec, s[8:9]
	v_lshl_add_u32 v2, s7, 1, v0
	v_cmp_gt_i32_e32 vcc, s16, v2
	s_and_saveexec_b64 s[8:9], vcc
	s_cbranch_execz .LBB182_12
; %bb.8:
	s_load_dword s22, s[4:5], 0x44
	s_cmp_lg_u64 s[10:11], 0
	s_cselect_b64 s[2:3], -1, 0
	s_lshl_b32 s23, s7, 3
	s_add_i32 s23, s23, 0
	s_waitcnt lgkmcnt(0)
	s_and_b32 s22, s22, 0xffff
	v_cndmask_b32_e64 v3, 0, 1, s[2:3]
	s_mov_b64 s[18:19], 0
	v_lshl_add_u32 v1, v0, 2, s23
	s_lshl_b32 s23, s22, 2
	v_mov_b32_e32 v7, s21
	s_mov_b32 s21, 0xbfb8aa3b
	s_mov_b32 s24, 0xc2fc0000
	v_mov_b32_e32 v8, 0x42800000
	v_mov_b32_e32 v9, 0x1f800000
	v_cmp_ne_u32_e64 s[2:3], 1, v3
	s_branch .LBB182_10
.LBB182_9:                              ;   in Loop: Header=BB182_10 Depth=1
	v_add_u32_e32 v2, s22, v2
	v_cmp_le_i32_e32 vcc, s16, v2
	s_or_b64 s[18:19], vcc, s[18:19]
	v_add_u32_e32 v1, s23, v1
	s_andn2_b64 exec, exec, s[18:19]
	s_cbranch_execz .LBB182_12
.LBB182_10:                             ; =>This Inner Loop Header: Depth=1
	v_ashrrev_i32_e32 v3, 31, v2
	v_lshlrev_b64 v[4:5], 1, v[2:3]
	v_add_co_u32_e32 v10, vcc, s20, v4
	v_addc_co_u32_e32 v11, vcc, v7, v5, vcc
	global_load_ushort v3, v[10:11], off
	s_waitcnt vmcnt(0)
	v_cvt_f32_f16_e32 v10, v3
	v_mul_f32_e32 v10, 0xbfb8aa3b, v10
	v_cmp_gt_f32_e32 vcc, s24, v10
	v_cndmask_b32_e32 v10, 0, v8, vcc
	v_fma_mix_f32 v3, v3, s21, v10 op_sel_hi:[1,0,0]
	v_exp_f32_e32 v3, v3
	v_cndmask_b32_e32 v10, 1.0, v9, vcc
	s_and_b64 vcc, exec, s[2:3]
	v_fma_f32 v3, v3, v10, 1.0
	v_rcp_f32_e32 v3, v3
	ds_write_b32 v1, v3
	s_cbranch_vccnz .LBB182_9
; %bb.11:                               ;   in Loop: Header=BB182_10 Depth=1
	v_mov_b32_e32 v10, s11
	v_add_co_u32_e32 v4, vcc, s10, v4
	v_addc_co_u32_e32 v5, vcc, v10, v5, vcc
	global_load_ushort v4, v[4:5], off
	s_waitcnt vmcnt(0)
	v_lshlrev_b32_e32 v4, 16, v4
	v_add_f32_e32 v3, v3, v4
	ds_write_b32 v1, v3
	s_branch .LBB182_9
.LBB182_12:
	s_or_b64 exec, exec, s[8:9]
	s_cmp_lt_i32 s17, 1
	s_waitcnt lgkmcnt(0)
	s_barrier
	s_cbranch_scc1 .LBB182_21
; %bb.13:
	s_add_u32 s2, s4, 56
	s_addc_u32 s3, s5, 0
	v_mbcnt_lo_u32_b32 v2, -1, 0
	s_cmp_lg_u64 s[10:11], 0
	v_mbcnt_hi_u32_b32 v2, -1, v2
	v_bfrev_b32_e32 v5, 0.5
	s_cselect_b64 s[8:9], -1, 0
	v_lshlrev_b32_e32 v3, 1, v0
	s_mov_b32 s16, 0
	v_mov_b32_e32 v1, 0
	v_mov_b32_e32 v4, 0
	v_lshl_or_b32 v5, v2, 2, v5
	v_mov_b32_e32 v7, 0xff800000
	v_mov_b32_e32 v2, 0
	s_branch .LBB182_15
.LBB182_14:                             ;   in Loop: Header=BB182_15 Depth=1
	s_lshl_b32 s19, s18, 2
	s_add_i32 s19, s19, 0
	v_mov_b32_e32 v8, s19
	ds_write_b32 v8, v7
	v_mov_b32_e32 v8, s18
	v_cmp_eq_u32_e32 vcc, s16, v0
	s_add_i32 s16, s16, 1
	v_cndmask_b32_e32 v1, v1, v8, vcc
	s_cmp_eq_u32 s16, s17
	v_cndmask_b32_e32 v2, v2, v10, vcc
	s_cbranch_scc1 .LBB182_22
.LBB182_15:                             ; =>This Loop Header: Depth=1
                                        ;     Child Loop BB182_17 Depth 2
	v_mov_b32_e32 v8, s16
	v_mov_b32_e32 v9, 0xff800000
	s_and_saveexec_b64 s[18:19], s[0:1]
	s_cbranch_execz .LBB182_19
; %bb.16:                               ;   in Loop: Header=BB182_15 Depth=1
	s_load_dword s22, s[2:3], 0xc
	s_mov_b64 s[20:21], 0
	v_mov_b32_e32 v8, s16
	v_mov_b32_e32 v9, 0xff800000
	;; [unrolled: 1-line block ×3, first 2 shown]
	s_waitcnt lgkmcnt(0)
	s_and_b32 s22, s22, 0xffff
	s_lshl_b32 s23, s22, 1
	s_lshl_b32 s24, s22, 3
	v_mov_b32_e32 v11, v3
	v_mov_b32_e32 v12, v0
.LBB182_17:                             ;   Parent Loop BB182_15 Depth=1
                                        ; =>  This Inner Loop Header: Depth=2
	ds_read_b64 v[14:15], v10
	v_add_u32_e32 v12, s22, v12
	v_cmp_le_i32_e32 vcc, s7, v12
	s_or_b64 s[20:21], vcc, s[20:21]
	v_add_u32_e32 v13, 1, v11
	s_waitcnt lgkmcnt(0)
	v_cmp_gt_f32_e32 vcc, v14, v9
	v_cndmask_b32_e32 v9, v9, v14, vcc
	v_cndmask_b32_e32 v8, v8, v11, vcc
	v_cmp_gt_f32_e32 vcc, v15, v9
	v_add_u32_e32 v10, s24, v10
	v_cndmask_b32_e32 v9, v9, v15, vcc
	v_add_u32_e32 v11, s23, v11
	v_cndmask_b32_e32 v8, v8, v13, vcc
	s_andn2_b64 exec, exec, s[20:21]
	s_cbranch_execnz .LBB182_17
; %bb.18:                               ;   in Loop: Header=BB182_15 Depth=1
	s_or_b64 exec, exec, s[20:21]
.LBB182_19:                             ;   in Loop: Header=BB182_15 Depth=1
	s_or_b64 exec, exec, s[18:19]
	;;#ASMSTART
	v_max_f32 v10, v9, v9 quad_perm:[1,0,3,2] row_mask:0xf bank_mask:0xf bound_ctrl:1
	;;#ASMEND
	;;#ASMSTART
	v_max_f32 v11, v10, v10 quad_perm:[2,3,0,1] row_mask:0xf bank_mask:0xf bound_ctrl:1
	;;#ASMEND
	;;#ASMSTART
	v_max_f32 v10, v11, v11 row_half_mirror row_mask:0xf bank_mask:0xf bound_ctrl:1
	;;#ASMEND
	;;#ASMSTART
	v_max_f32 v11, v10, v10 row_mirror row_mask:0xf bank_mask:0xf bound_ctrl:1
	;;#ASMEND
	;;#ASMSTART
	v_max_f32 v10, v11, v11 row_ror:4 row_mask:0xf bank_mask:0xf bound_ctrl:1
	;;#ASMEND
	;;#ASMSTART
	v_max_f32 v11, v10, v10 row_ror:8 row_mask:0xf bank_mask:0xf bound_ctrl:1
	;;#ASMEND
	;;#ASMSTART
	v_max_f32 v10, v11, v11 row_bcast:15 row_mask:0xf bank_mask:0xf bound_ctrl:1
	;;#ASMEND
	;;#ASMSTART
	v_max_f32 v11, v10, v10 row_bcast:31 row_mask:0xf bank_mask:0xf bound_ctrl:1
	;;#ASMEND
	ds_bpermute_b32 v10, v5, v11
	s_waitcnt lgkmcnt(0)
	v_cmp_eq_f32_e32 vcc, v9, v10
	s_ff1_i32_b64 s18, vcc
	s_cmp_lg_u64 vcc, 0
	s_cselect_b32 s18, s18, 0
	s_and_b64 vcc, exec, s[8:9]
	v_readlane_b32 s18, v8, s18
	s_cbranch_vccz .LBB182_14
; %bb.20:                               ;   in Loop: Header=BB182_15 Depth=1
	s_ashr_i32 s19, s18, 31
	s_lshl_b64 s[20:21], s[18:19], 1
	s_add_u32 s20, s10, s20
	s_addc_u32 s21, s11, s21
	global_load_ushort v8, v4, s[20:21]
	s_waitcnt vmcnt(0)
	v_lshlrev_b32_e32 v8, 16, v8
	v_sub_f32_e32 v10, v10, v8
	s_branch .LBB182_14
.LBB182_21:
	v_mov_b32_e32 v2, 0
	v_mov_b32_e32 v1, 0
.LBB182_22:
	v_cmp_gt_i32_e32 vcc, s17, v0
	s_and_saveexec_b64 s[0:1], vcc
	s_cbranch_execz .LBB182_25
; %bb.23:
	s_load_dword s2, s[4:5], 0x34
	s_load_dwordx2 s[0:1], s[4:5], 0x20
	s_ashr_i32 s3, s6, 31
	s_load_dword s4, s[4:5], 0x44
	v_mov_b32_e32 v4, s13
	s_waitcnt lgkmcnt(0)
	v_mul_f32_e32 v2, s2, v2
	s_mul_i32 s1, s6, s1
	s_mul_hi_u32 s2, s6, s0
	s_add_i32 s1, s2, s1
	s_mul_i32 s3, s3, s0
	s_add_i32 s5, s1, s3
	s_mul_i32 s2, s6, s0
	s_and_b32 s3, s4, 0xffff
	s_mov_b64 s[0:1], 0
	v_mov_b32_e32 v3, s5
	v_mov_b32_e32 v5, s15
.LBB182_24:                             ; =>This Inner Loop Header: Depth=1
	v_ashrrev_i32_e32 v7, 31, v0
	v_add_co_u32_e32 v6, vcc, s2, v0
	v_addc_co_u32_e32 v7, vcc, v3, v7, vcc
	v_add_u32_e32 v0, s3, v0
	v_cmp_le_i32_e32 vcc, s17, v0
	v_lshlrev_b64 v[6:7], 2, v[6:7]
	s_or_b64 s[0:1], vcc, s[0:1]
	v_add_co_u32_e32 v8, vcc, s12, v6
	v_addc_co_u32_e32 v9, vcc, v4, v7, vcc
	v_add_co_u32_e32 v6, vcc, s14, v6
	v_addc_co_u32_e32 v7, vcc, v5, v7, vcc
	global_store_dword v[8:9], v2, off
	global_store_dword v[6:7], v1, off
	s_andn2_b64 exec, exec, s[0:1]
	s_cbranch_execnz .LBB182_24
.LBB182_25:
	s_endpgm
	.section	.rodata,"a",@progbits
	.p2align	6, 0x0
	.amdhsa_kernel _ZN5aiter20topk_softplus_kernelI6__half12hip_bfloat16Dv2_fLb0ELi1EEEvPKT_PKT0_PfPimiiif
		.amdhsa_group_segment_fixed_size 0
		.amdhsa_private_segment_fixed_size 0
		.amdhsa_kernarg_size 312
		.amdhsa_user_sgpr_count 6
		.amdhsa_user_sgpr_private_segment_buffer 1
		.amdhsa_user_sgpr_dispatch_ptr 0
		.amdhsa_user_sgpr_queue_ptr 0
		.amdhsa_user_sgpr_kernarg_segment_ptr 1
		.amdhsa_user_sgpr_dispatch_id 0
		.amdhsa_user_sgpr_flat_scratch_init 0
		.amdhsa_user_sgpr_kernarg_preload_length 0
		.amdhsa_user_sgpr_kernarg_preload_offset 0
		.amdhsa_user_sgpr_private_segment_size 0
		.amdhsa_uses_dynamic_stack 0
		.amdhsa_system_sgpr_private_segment_wavefront_offset 0
		.amdhsa_system_sgpr_workgroup_id_x 1
		.amdhsa_system_sgpr_workgroup_id_y 0
		.amdhsa_system_sgpr_workgroup_id_z 0
		.amdhsa_system_sgpr_workgroup_info 0
		.amdhsa_system_vgpr_workitem_id 0
		.amdhsa_next_free_vgpr 16
		.amdhsa_next_free_sgpr 28
		.amdhsa_accum_offset 16
		.amdhsa_reserve_vcc 1
		.amdhsa_reserve_flat_scratch 0
		.amdhsa_float_round_mode_32 0
		.amdhsa_float_round_mode_16_64 0
		.amdhsa_float_denorm_mode_32 3
		.amdhsa_float_denorm_mode_16_64 3
		.amdhsa_dx10_clamp 1
		.amdhsa_ieee_mode 1
		.amdhsa_fp16_overflow 0
		.amdhsa_tg_split 0
		.amdhsa_exception_fp_ieee_invalid_op 0
		.amdhsa_exception_fp_denorm_src 0
		.amdhsa_exception_fp_ieee_div_zero 0
		.amdhsa_exception_fp_ieee_overflow 0
		.amdhsa_exception_fp_ieee_underflow 0
		.amdhsa_exception_fp_ieee_inexact 0
		.amdhsa_exception_int_div_zero 0
	.end_amdhsa_kernel
	.section	.text._ZN5aiter20topk_softplus_kernelI6__half12hip_bfloat16Dv2_fLb0ELi1EEEvPKT_PKT0_PfPimiiif,"axG",@progbits,_ZN5aiter20topk_softplus_kernelI6__half12hip_bfloat16Dv2_fLb0ELi1EEEvPKT_PKT0_PfPimiiif,comdat
.Lfunc_end182:
	.size	_ZN5aiter20topk_softplus_kernelI6__half12hip_bfloat16Dv2_fLb0ELi1EEEvPKT_PKT0_PfPimiiif, .Lfunc_end182-_ZN5aiter20topk_softplus_kernelI6__half12hip_bfloat16Dv2_fLb0ELi1EEEvPKT_PKT0_PfPimiiif
                                        ; -- End function
	.section	.AMDGPU.csdata,"",@progbits
; Kernel info:
; codeLenInByte = 1364
; NumSgprs: 32
; NumVgprs: 16
; NumAgprs: 0
; TotalNumVgprs: 16
; ScratchSize: 0
; MemoryBound: 0
; FloatMode: 240
; IeeeMode: 1
; LDSByteSize: 0 bytes/workgroup (compile time only)
; SGPRBlocks: 3
; VGPRBlocks: 1
; NumSGPRsForWavesPerEU: 32
; NumVGPRsForWavesPerEU: 16
; AccumOffset: 16
; Occupancy: 8
; WaveLimiterHint : 0
; COMPUTE_PGM_RSRC2:SCRATCH_EN: 0
; COMPUTE_PGM_RSRC2:USER_SGPR: 6
; COMPUTE_PGM_RSRC2:TRAP_HANDLER: 0
; COMPUTE_PGM_RSRC2:TGID_X_EN: 1
; COMPUTE_PGM_RSRC2:TGID_Y_EN: 0
; COMPUTE_PGM_RSRC2:TGID_Z_EN: 0
; COMPUTE_PGM_RSRC2:TIDIG_COMP_CNT: 0
; COMPUTE_PGM_RSRC3_GFX90A:ACCUM_OFFSET: 3
; COMPUTE_PGM_RSRC3_GFX90A:TG_SPLIT: 0
	.section	.text._ZN5aiter20topk_softplus_kernelI6__half12hip_bfloat16Dv1_fLb1ELi1EEEvPKT_PKT0_PfPimiiif,"axG",@progbits,_ZN5aiter20topk_softplus_kernelI6__half12hip_bfloat16Dv1_fLb1ELi1EEEvPKT_PKT0_PfPimiiif,comdat
	.protected	_ZN5aiter20topk_softplus_kernelI6__half12hip_bfloat16Dv1_fLb1ELi1EEEvPKT_PKT0_PfPimiiif ; -- Begin function _ZN5aiter20topk_softplus_kernelI6__half12hip_bfloat16Dv1_fLb1ELi1EEEvPKT_PKT0_PfPimiiif
	.globl	_ZN5aiter20topk_softplus_kernelI6__half12hip_bfloat16Dv1_fLb1ELi1EEEvPKT_PKT0_PfPimiiif
	.p2align	8
	.type	_ZN5aiter20topk_softplus_kernelI6__half12hip_bfloat16Dv1_fLb1ELi1EEEvPKT_PKT0_PfPimiiif,@function
_ZN5aiter20topk_softplus_kernelI6__half12hip_bfloat16Dv1_fLb1ELi1EEEvPKT_PKT0_PfPimiiif: ; @_ZN5aiter20topk_softplus_kernelI6__half12hip_bfloat16Dv1_fLb1ELi1EEEvPKT_PKT0_PfPimiiif
; %bb.0:
	s_load_dwordx2 s[16:17], s[4:5], 0x28
	s_load_dwordx8 s[8:15], s[4:5], 0x0
	v_lshl_add_u32 v1, v0, 2, 0
	s_waitcnt lgkmcnt(0)
	s_mul_i32 s2, s6, s16
	s_ashr_i32 s3, s2, 31
	s_lshl_b64 s[2:3], s[2:3], 1
	s_add_u32 s7, s8, s2
	v_cmp_gt_i32_e64 s[0:1], s16, v0
	s_addc_u32 s20, s9, s3
	s_and_saveexec_b64 s[8:9], s[0:1]
	s_cbranch_execz .LBB183_5
; %bb.1:
	s_load_dword s21, s[4:5], 0x44
	s_cmp_lg_u64 s[10:11], 0
	s_cselect_b64 s[2:3], -1, 0
	v_cndmask_b32_e64 v2, 0, 1, s[2:3]
	s_mov_b64 s[18:19], 0
	s_waitcnt lgkmcnt(0)
	s_and_b32 s21, s21, 0xffff
	v_lshl_add_u32 v6, v0, 2, 0
	s_lshl_b32 s22, s21, 2
	v_mov_b32_e32 v7, s20
	s_mov_b32 s23, 0xbfb8aa3b
	s_mov_b32 s24, 0xc2fc0000
	v_mov_b32_e32 v8, 0x42800000
	v_mov_b32_e32 v9, 0x1f800000
	v_cmp_ne_u32_e64 s[2:3], 1, v2
	v_mov_b32_e32 v2, v0
	s_branch .LBB183_3
.LBB183_2:                              ;   in Loop: Header=BB183_3 Depth=1
	v_add_u32_e32 v2, s21, v2
	v_cmp_le_i32_e32 vcc, s16, v2
	ds_write_b32 v6, v3
	s_or_b64 s[18:19], vcc, s[18:19]
	v_add_u32_e32 v6, s22, v6
	s_andn2_b64 exec, exec, s[18:19]
	s_cbranch_execz .LBB183_5
.LBB183_3:                              ; =>This Inner Loop Header: Depth=1
	v_ashrrev_i32_e32 v3, 31, v2
	v_lshlrev_b64 v[4:5], 1, v[2:3]
	v_add_co_u32_e32 v10, vcc, s7, v4
	v_addc_co_u32_e32 v11, vcc, v7, v5, vcc
	global_load_ushort v3, v[10:11], off
	s_waitcnt vmcnt(0)
	v_cvt_f32_f16_e32 v10, v3
	v_mul_f32_e32 v10, 0xbfb8aa3b, v10
	v_cmp_gt_f32_e32 vcc, s24, v10
	v_cndmask_b32_e32 v10, 0, v8, vcc
	v_fma_mix_f32 v3, v3, s23, v10 op_sel_hi:[1,0,0]
	v_exp_f32_e32 v3, v3
	v_cndmask_b32_e32 v10, 1.0, v9, vcc
	s_and_b64 vcc, exec, s[2:3]
	v_fma_f32 v3, v3, v10, 1.0
	v_rcp_f32_e32 v3, v3
	s_cbranch_vccnz .LBB183_2
; %bb.4:                                ;   in Loop: Header=BB183_3 Depth=1
	v_mov_b32_e32 v10, s11
	v_add_co_u32_e32 v4, vcc, s10, v4
	v_addc_co_u32_e32 v5, vcc, v10, v5, vcc
	global_load_ushort v4, v[4:5], off
	s_waitcnt vmcnt(0)
	v_lshlrev_b32_e32 v4, 16, v4
	v_add_f32_e32 v3, v3, v4
	s_branch .LBB183_2
.LBB183_5:
	s_or_b64 exec, exec, s[8:9]
	v_add_u32_e32 v2, s16, v0
	v_cmp_gt_i32_e32 vcc, s16, v2
	s_and_saveexec_b64 s[8:9], vcc
	s_cbranch_execz .LBB183_10
; %bb.6:
	s_load_dword s21, s[4:5], 0x44
	s_cmp_lg_u64 s[10:11], 0
	s_cselect_b64 s[2:3], -1, 0
	v_cndmask_b32_e64 v3, 0, 1, s[2:3]
	s_mov_b64 s[18:19], 0
	s_waitcnt lgkmcnt(0)
	s_and_b32 s21, s21, 0xffff
	v_lshl_add_u32 v6, v2, 2, 0
	s_lshl_b32 s22, s21, 2
	v_mov_b32_e32 v7, s20
	s_mov_b32 s20, 0xbfb8aa3b
	s_mov_b32 s23, 0xc2fc0000
	v_mov_b32_e32 v8, 0x42800000
	v_mov_b32_e32 v9, 0x1f800000
	v_cmp_ne_u32_e64 s[2:3], 1, v3
	s_branch .LBB183_8
.LBB183_7:                              ;   in Loop: Header=BB183_8 Depth=1
	v_add_u32_e32 v2, s21, v2
	v_cmp_le_i32_e32 vcc, s16, v2
	s_or_b64 s[18:19], vcc, s[18:19]
	v_add_u32_e32 v6, s22, v6
	s_andn2_b64 exec, exec, s[18:19]
	s_cbranch_execz .LBB183_10
.LBB183_8:                              ; =>This Inner Loop Header: Depth=1
	v_ashrrev_i32_e32 v3, 31, v2
	v_lshlrev_b64 v[4:5], 1, v[2:3]
	v_add_co_u32_e32 v10, vcc, s7, v4
	v_addc_co_u32_e32 v11, vcc, v7, v5, vcc
	global_load_ushort v3, v[10:11], off
	s_waitcnt vmcnt(0)
	v_cvt_f32_f16_e32 v10, v3
	v_mul_f32_e32 v10, 0xbfb8aa3b, v10
	v_cmp_gt_f32_e32 vcc, s23, v10
	v_cndmask_b32_e32 v10, 0, v8, vcc
	v_fma_mix_f32 v3, v3, s20, v10 op_sel_hi:[1,0,0]
	v_exp_f32_e32 v3, v3
	v_cndmask_b32_e32 v10, 1.0, v9, vcc
	s_and_b64 vcc, exec, s[2:3]
	v_fma_f32 v3, v3, v10, 1.0
	v_rcp_f32_e32 v3, v3
	ds_write_b32 v6, v3
	s_cbranch_vccnz .LBB183_7
; %bb.9:                                ;   in Loop: Header=BB183_8 Depth=1
	v_mov_b32_e32 v10, s11
	v_add_co_u32_e32 v4, vcc, s10, v4
	v_addc_co_u32_e32 v5, vcc, v10, v5, vcc
	global_load_ushort v4, v[4:5], off
	s_waitcnt vmcnt(0)
	v_lshlrev_b32_e32 v4, 16, v4
	v_add_f32_e32 v3, v3, v4
	ds_write_b32 v6, v3
	s_branch .LBB183_7
.LBB183_10:
	s_or_b64 exec, exec, s[8:9]
	s_cmp_lt_i32 s17, 1
	v_mov_b32_e32 v3, 0
	s_waitcnt lgkmcnt(0)
	s_barrier
	s_cbranch_scc1 .LBB183_19
; %bb.11:
	s_add_u32 s2, s4, 56
	s_addc_u32 s3, s5, 0
	v_mbcnt_lo_u32_b32 v2, -1, 0
	s_cmp_lg_u64 s[10:11], 0
	v_mbcnt_hi_u32_b32 v2, -1, v2
	v_bfrev_b32_e32 v4, 0.5
	s_cselect_b64 s[8:9], -1, 0
	s_mov_b32 s7, 0
	v_mov_b32_e32 v3, 0
	v_lshl_or_b32 v5, v2, 2, v4
	v_mov_b32_e32 v6, 0
	v_mov_b32_e32 v7, 0xff800000
	;; [unrolled: 1-line block ×4, first 2 shown]
	s_branch .LBB183_13
.LBB183_12:                             ;   in Loop: Header=BB183_13 Depth=1
	s_lshl_b32 s19, s18, 2
	s_add_i32 s19, s19, 0
	v_mov_b32_e32 v8, s19
	ds_write_b32 v8, v7
	v_mov_b32_e32 v8, s18
	v_cmp_eq_u32_e32 vcc, s7, v0
	s_add_i32 s7, s7, 1
	v_cndmask_b32_e32 v2, v2, v8, vcc
	v_cndmask_b32_e32 v3, v3, v10, vcc
	s_cmp_eq_u32 s7, s17
	v_add_f32_e32 v4, v4, v10
	s_cbranch_scc1 .LBB183_20
.LBB183_13:                             ; =>This Loop Header: Depth=1
                                        ;     Child Loop BB183_15 Depth 2
	v_mov_b32_e32 v8, s7
	v_mov_b32_e32 v9, 0xff800000
	s_and_saveexec_b64 s[18:19], s[0:1]
	s_cbranch_execz .LBB183_17
; %bb.14:                               ;   in Loop: Header=BB183_13 Depth=1
	s_load_dword s22, s[2:3], 0xc
	s_mov_b64 s[20:21], 0
	v_mov_b32_e32 v8, s7
	v_mov_b32_e32 v9, 0xff800000
	;; [unrolled: 1-line block ×3, first 2 shown]
	s_waitcnt lgkmcnt(0)
	s_and_b32 s22, s22, 0xffff
	s_lshl_b32 s23, s22, 2
	v_mov_b32_e32 v11, v0
.LBB183_15:                             ;   Parent Loop BB183_13 Depth=1
                                        ; =>  This Inner Loop Header: Depth=2
	ds_read_b32 v12, v10
	v_add_u32_e32 v10, s23, v10
	s_waitcnt lgkmcnt(0)
	v_cmp_gt_f32_e32 vcc, v12, v9
	v_cndmask_b32_e32 v8, v8, v11, vcc
	v_add_u32_e32 v11, s22, v11
	v_cndmask_b32_e32 v9, v9, v12, vcc
	v_cmp_le_i32_e32 vcc, s16, v11
	s_or_b64 s[20:21], vcc, s[20:21]
	s_andn2_b64 exec, exec, s[20:21]
	s_cbranch_execnz .LBB183_15
; %bb.16:                               ;   in Loop: Header=BB183_13 Depth=1
	s_or_b64 exec, exec, s[20:21]
.LBB183_17:                             ;   in Loop: Header=BB183_13 Depth=1
	s_or_b64 exec, exec, s[18:19]
	;;#ASMSTART
	v_max_f32 v10, v9, v9 quad_perm:[1,0,3,2] row_mask:0xf bank_mask:0xf bound_ctrl:1
	;;#ASMEND
	;;#ASMSTART
	v_max_f32 v11, v10, v10 quad_perm:[2,3,0,1] row_mask:0xf bank_mask:0xf bound_ctrl:1
	;;#ASMEND
	;;#ASMSTART
	v_max_f32 v10, v11, v11 row_half_mirror row_mask:0xf bank_mask:0xf bound_ctrl:1
	;;#ASMEND
	;;#ASMSTART
	v_max_f32 v11, v10, v10 row_mirror row_mask:0xf bank_mask:0xf bound_ctrl:1
	;;#ASMEND
	;;#ASMSTART
	v_max_f32 v10, v11, v11 row_ror:4 row_mask:0xf bank_mask:0xf bound_ctrl:1
	;;#ASMEND
	;;#ASMSTART
	v_max_f32 v11, v10, v10 row_ror:8 row_mask:0xf bank_mask:0xf bound_ctrl:1
	;;#ASMEND
	;;#ASMSTART
	v_max_f32 v10, v11, v11 row_bcast:15 row_mask:0xf bank_mask:0xf bound_ctrl:1
	;;#ASMEND
	;;#ASMSTART
	v_max_f32 v11, v10, v10 row_bcast:31 row_mask:0xf bank_mask:0xf bound_ctrl:1
	;;#ASMEND
	ds_bpermute_b32 v10, v5, v11
	s_waitcnt lgkmcnt(0)
	v_cmp_eq_f32_e32 vcc, v9, v10
	s_ff1_i32_b64 s18, vcc
	s_cmp_lg_u64 vcc, 0
	s_cselect_b32 s18, s18, 0
	s_and_b64 vcc, exec, s[8:9]
	v_readlane_b32 s18, v8, s18
	s_cbranch_vccz .LBB183_12
; %bb.18:                               ;   in Loop: Header=BB183_13 Depth=1
	s_ashr_i32 s19, s18, 31
	s_lshl_b64 s[20:21], s[18:19], 1
	s_add_u32 s20, s10, s20
	s_addc_u32 s21, s11, s21
	global_load_ushort v8, v6, s[20:21]
	s_waitcnt vmcnt(0)
	v_lshlrev_b32_e32 v8, 16, v8
	v_sub_f32_e32 v10, v10, v8
	s_branch .LBB183_12
.LBB183_19:
	v_mov_b32_e32 v2, 0
	v_mov_b32_e32 v4, 0
.LBB183_20:
	v_cmp_gt_i32_e32 vcc, s17, v0
	s_and_saveexec_b64 s[0:1], vcc
	s_cbranch_execz .LBB183_23
; %bb.21:
	s_load_dword s2, s[4:5], 0x34
	v_max_f32_e32 v1, v4, v4
	v_max_f32_e32 v1, 0x1e3ce508, v1
	s_load_dword s3, s[4:5], 0x44
	s_waitcnt lgkmcnt(0)
	v_div_scale_f32 v4, s[0:1], v1, v1, s2
	s_load_dwordx2 s[0:1], s[4:5], 0x20
	v_rcp_f32_e32 v5, v4
	v_div_scale_f32 v6, vcc, s2, v1, s2
	s_and_b32 s3, s3, 0xffff
	v_fma_f32 v7, -v4, v5, 1.0
	v_fmac_f32_e32 v5, v7, v5
	v_mul_f32_e32 v7, v6, v5
	v_fma_f32 v8, -v4, v7, v6
	v_fmac_f32_e32 v7, v8, v5
	v_fma_f32 v4, -v4, v7, v6
	v_div_fmas_f32 v4, v4, v5, v7
	v_div_fixup_f32 v1, v4, v1, s2
	s_ashr_i32 s2, s6, 31
	s_waitcnt lgkmcnt(0)
	s_mul_i32 s1, s6, s1
	s_mul_hi_u32 s4, s6, s0
	s_add_i32 s1, s4, s1
	s_mul_i32 s2, s2, s0
	s_add_i32 s4, s1, s2
	v_mul_f32_e32 v1, v3, v1
	s_mul_i32 s2, s6, s0
	s_mov_b64 s[0:1], 0
	v_mov_b32_e32 v3, s4
	v_mov_b32_e32 v4, s13
	v_mov_b32_e32 v5, s15
.LBB183_22:                             ; =>This Inner Loop Header: Depth=1
	v_ashrrev_i32_e32 v7, 31, v0
	v_add_co_u32_e32 v6, vcc, s2, v0
	v_addc_co_u32_e32 v7, vcc, v3, v7, vcc
	v_add_u32_e32 v0, s3, v0
	v_cmp_le_i32_e32 vcc, s17, v0
	v_lshlrev_b64 v[6:7], 2, v[6:7]
	s_or_b64 s[0:1], vcc, s[0:1]
	v_add_co_u32_e32 v8, vcc, s12, v6
	v_addc_co_u32_e32 v9, vcc, v4, v7, vcc
	v_add_co_u32_e32 v6, vcc, s14, v6
	v_addc_co_u32_e32 v7, vcc, v5, v7, vcc
	global_store_dword v[8:9], v1, off
	global_store_dword v[6:7], v2, off
	s_andn2_b64 exec, exec, s[0:1]
	s_cbranch_execnz .LBB183_22
.LBB183_23:
	s_endpgm
	.section	.rodata,"a",@progbits
	.p2align	6, 0x0
	.amdhsa_kernel _ZN5aiter20topk_softplus_kernelI6__half12hip_bfloat16Dv1_fLb1ELi1EEEvPKT_PKT0_PfPimiiif
		.amdhsa_group_segment_fixed_size 0
		.amdhsa_private_segment_fixed_size 0
		.amdhsa_kernarg_size 312
		.amdhsa_user_sgpr_count 6
		.amdhsa_user_sgpr_private_segment_buffer 1
		.amdhsa_user_sgpr_dispatch_ptr 0
		.amdhsa_user_sgpr_queue_ptr 0
		.amdhsa_user_sgpr_kernarg_segment_ptr 1
		.amdhsa_user_sgpr_dispatch_id 0
		.amdhsa_user_sgpr_flat_scratch_init 0
		.amdhsa_user_sgpr_kernarg_preload_length 0
		.amdhsa_user_sgpr_kernarg_preload_offset 0
		.amdhsa_user_sgpr_private_segment_size 0
		.amdhsa_uses_dynamic_stack 0
		.amdhsa_system_sgpr_private_segment_wavefront_offset 0
		.amdhsa_system_sgpr_workgroup_id_x 1
		.amdhsa_system_sgpr_workgroup_id_y 0
		.amdhsa_system_sgpr_workgroup_id_z 0
		.amdhsa_system_sgpr_workgroup_info 0
		.amdhsa_system_vgpr_workitem_id 0
		.amdhsa_next_free_vgpr 13
		.amdhsa_next_free_sgpr 25
		.amdhsa_accum_offset 16
		.amdhsa_reserve_vcc 1
		.amdhsa_reserve_flat_scratch 0
		.amdhsa_float_round_mode_32 0
		.amdhsa_float_round_mode_16_64 0
		.amdhsa_float_denorm_mode_32 3
		.amdhsa_float_denorm_mode_16_64 3
		.amdhsa_dx10_clamp 1
		.amdhsa_ieee_mode 1
		.amdhsa_fp16_overflow 0
		.amdhsa_tg_split 0
		.amdhsa_exception_fp_ieee_invalid_op 0
		.amdhsa_exception_fp_denorm_src 0
		.amdhsa_exception_fp_ieee_div_zero 0
		.amdhsa_exception_fp_ieee_overflow 0
		.amdhsa_exception_fp_ieee_underflow 0
		.amdhsa_exception_fp_ieee_inexact 0
		.amdhsa_exception_int_div_zero 0
	.end_amdhsa_kernel
	.section	.text._ZN5aiter20topk_softplus_kernelI6__half12hip_bfloat16Dv1_fLb1ELi1EEEvPKT_PKT0_PfPimiiif,"axG",@progbits,_ZN5aiter20topk_softplus_kernelI6__half12hip_bfloat16Dv1_fLb1ELi1EEEvPKT_PKT0_PfPimiiif,comdat
.Lfunc_end183:
	.size	_ZN5aiter20topk_softplus_kernelI6__half12hip_bfloat16Dv1_fLb1ELi1EEEvPKT_PKT0_PfPimiiif, .Lfunc_end183-_ZN5aiter20topk_softplus_kernelI6__half12hip_bfloat16Dv1_fLb1ELi1EEEvPKT_PKT0_PfPimiiif
                                        ; -- End function
	.section	.AMDGPU.csdata,"",@progbits
; Kernel info:
; codeLenInByte = 1300
; NumSgprs: 29
; NumVgprs: 13
; NumAgprs: 0
; TotalNumVgprs: 13
; ScratchSize: 0
; MemoryBound: 0
; FloatMode: 240
; IeeeMode: 1
; LDSByteSize: 0 bytes/workgroup (compile time only)
; SGPRBlocks: 3
; VGPRBlocks: 1
; NumSGPRsForWavesPerEU: 29
; NumVGPRsForWavesPerEU: 13
; AccumOffset: 16
; Occupancy: 8
; WaveLimiterHint : 0
; COMPUTE_PGM_RSRC2:SCRATCH_EN: 0
; COMPUTE_PGM_RSRC2:USER_SGPR: 6
; COMPUTE_PGM_RSRC2:TRAP_HANDLER: 0
; COMPUTE_PGM_RSRC2:TGID_X_EN: 1
; COMPUTE_PGM_RSRC2:TGID_Y_EN: 0
; COMPUTE_PGM_RSRC2:TGID_Z_EN: 0
; COMPUTE_PGM_RSRC2:TIDIG_COMP_CNT: 0
; COMPUTE_PGM_RSRC3_GFX90A:ACCUM_OFFSET: 3
; COMPUTE_PGM_RSRC3_GFX90A:TG_SPLIT: 0
	.section	.text._ZN5aiter20topk_softplus_kernelI6__half12hip_bfloat16Dv1_fLb0ELi1EEEvPKT_PKT0_PfPimiiif,"axG",@progbits,_ZN5aiter20topk_softplus_kernelI6__half12hip_bfloat16Dv1_fLb0ELi1EEEvPKT_PKT0_PfPimiiif,comdat
	.protected	_ZN5aiter20topk_softplus_kernelI6__half12hip_bfloat16Dv1_fLb0ELi1EEEvPKT_PKT0_PfPimiiif ; -- Begin function _ZN5aiter20topk_softplus_kernelI6__half12hip_bfloat16Dv1_fLb0ELi1EEEvPKT_PKT0_PfPimiiif
	.globl	_ZN5aiter20topk_softplus_kernelI6__half12hip_bfloat16Dv1_fLb0ELi1EEEvPKT_PKT0_PfPimiiif
	.p2align	8
	.type	_ZN5aiter20topk_softplus_kernelI6__half12hip_bfloat16Dv1_fLb0ELi1EEEvPKT_PKT0_PfPimiiif,@function
_ZN5aiter20topk_softplus_kernelI6__half12hip_bfloat16Dv1_fLb0ELi1EEEvPKT_PKT0_PfPimiiif: ; @_ZN5aiter20topk_softplus_kernelI6__half12hip_bfloat16Dv1_fLb0ELi1EEEvPKT_PKT0_PfPimiiif
; %bb.0:
	s_load_dwordx2 s[16:17], s[4:5], 0x28
	s_load_dwordx8 s[8:15], s[4:5], 0x0
	v_lshl_add_u32 v1, v0, 2, 0
	s_waitcnt lgkmcnt(0)
	s_mul_i32 s2, s6, s16
	s_ashr_i32 s3, s2, 31
	s_lshl_b64 s[2:3], s[2:3], 1
	s_add_u32 s7, s8, s2
	v_cmp_gt_i32_e64 s[0:1], s16, v0
	s_addc_u32 s20, s9, s3
	s_and_saveexec_b64 s[8:9], s[0:1]
	s_cbranch_execz .LBB184_5
; %bb.1:
	s_load_dword s21, s[4:5], 0x44
	s_cmp_lg_u64 s[10:11], 0
	s_cselect_b64 s[2:3], -1, 0
	v_cndmask_b32_e64 v2, 0, 1, s[2:3]
	s_mov_b64 s[18:19], 0
	s_waitcnt lgkmcnt(0)
	s_and_b32 s21, s21, 0xffff
	v_lshl_add_u32 v6, v0, 2, 0
	s_lshl_b32 s22, s21, 2
	v_mov_b32_e32 v7, s20
	s_mov_b32 s23, 0xbfb8aa3b
	s_mov_b32 s24, 0xc2fc0000
	v_mov_b32_e32 v8, 0x42800000
	v_mov_b32_e32 v9, 0x1f800000
	v_cmp_ne_u32_e64 s[2:3], 1, v2
	v_mov_b32_e32 v2, v0
	s_branch .LBB184_3
.LBB184_2:                              ;   in Loop: Header=BB184_3 Depth=1
	v_add_u32_e32 v2, s21, v2
	v_cmp_le_i32_e32 vcc, s16, v2
	ds_write_b32 v6, v3
	s_or_b64 s[18:19], vcc, s[18:19]
	v_add_u32_e32 v6, s22, v6
	s_andn2_b64 exec, exec, s[18:19]
	s_cbranch_execz .LBB184_5
.LBB184_3:                              ; =>This Inner Loop Header: Depth=1
	v_ashrrev_i32_e32 v3, 31, v2
	v_lshlrev_b64 v[4:5], 1, v[2:3]
	v_add_co_u32_e32 v10, vcc, s7, v4
	v_addc_co_u32_e32 v11, vcc, v7, v5, vcc
	global_load_ushort v3, v[10:11], off
	s_waitcnt vmcnt(0)
	v_cvt_f32_f16_e32 v10, v3
	v_mul_f32_e32 v10, 0xbfb8aa3b, v10
	v_cmp_gt_f32_e32 vcc, s24, v10
	v_cndmask_b32_e32 v10, 0, v8, vcc
	v_fma_mix_f32 v3, v3, s23, v10 op_sel_hi:[1,0,0]
	v_exp_f32_e32 v3, v3
	v_cndmask_b32_e32 v10, 1.0, v9, vcc
	s_and_b64 vcc, exec, s[2:3]
	v_fma_f32 v3, v3, v10, 1.0
	v_rcp_f32_e32 v3, v3
	s_cbranch_vccnz .LBB184_2
; %bb.4:                                ;   in Loop: Header=BB184_3 Depth=1
	v_mov_b32_e32 v10, s11
	v_add_co_u32_e32 v4, vcc, s10, v4
	v_addc_co_u32_e32 v5, vcc, v10, v5, vcc
	global_load_ushort v4, v[4:5], off
	s_waitcnt vmcnt(0)
	v_lshlrev_b32_e32 v4, 16, v4
	v_add_f32_e32 v3, v3, v4
	s_branch .LBB184_2
.LBB184_5:
	s_or_b64 exec, exec, s[8:9]
	v_add_u32_e32 v2, s16, v0
	v_cmp_gt_i32_e32 vcc, s16, v2
	s_and_saveexec_b64 s[8:9], vcc
	s_cbranch_execz .LBB184_10
; %bb.6:
	s_load_dword s21, s[4:5], 0x44
	s_cmp_lg_u64 s[10:11], 0
	s_cselect_b64 s[2:3], -1, 0
	v_cndmask_b32_e64 v3, 0, 1, s[2:3]
	s_mov_b64 s[18:19], 0
	s_waitcnt lgkmcnt(0)
	s_and_b32 s21, s21, 0xffff
	v_lshl_add_u32 v6, v2, 2, 0
	s_lshl_b32 s22, s21, 2
	v_mov_b32_e32 v7, s20
	s_mov_b32 s20, 0xbfb8aa3b
	s_mov_b32 s23, 0xc2fc0000
	v_mov_b32_e32 v8, 0x42800000
	v_mov_b32_e32 v9, 0x1f800000
	v_cmp_ne_u32_e64 s[2:3], 1, v3
	s_branch .LBB184_8
.LBB184_7:                              ;   in Loop: Header=BB184_8 Depth=1
	v_add_u32_e32 v2, s21, v2
	v_cmp_le_i32_e32 vcc, s16, v2
	s_or_b64 s[18:19], vcc, s[18:19]
	v_add_u32_e32 v6, s22, v6
	s_andn2_b64 exec, exec, s[18:19]
	s_cbranch_execz .LBB184_10
.LBB184_8:                              ; =>This Inner Loop Header: Depth=1
	v_ashrrev_i32_e32 v3, 31, v2
	v_lshlrev_b64 v[4:5], 1, v[2:3]
	v_add_co_u32_e32 v10, vcc, s7, v4
	v_addc_co_u32_e32 v11, vcc, v7, v5, vcc
	global_load_ushort v3, v[10:11], off
	s_waitcnt vmcnt(0)
	v_cvt_f32_f16_e32 v10, v3
	v_mul_f32_e32 v10, 0xbfb8aa3b, v10
	v_cmp_gt_f32_e32 vcc, s23, v10
	v_cndmask_b32_e32 v10, 0, v8, vcc
	v_fma_mix_f32 v3, v3, s20, v10 op_sel_hi:[1,0,0]
	v_exp_f32_e32 v3, v3
	v_cndmask_b32_e32 v10, 1.0, v9, vcc
	s_and_b64 vcc, exec, s[2:3]
	v_fma_f32 v3, v3, v10, 1.0
	v_rcp_f32_e32 v3, v3
	ds_write_b32 v6, v3
	s_cbranch_vccnz .LBB184_7
; %bb.9:                                ;   in Loop: Header=BB184_8 Depth=1
	v_mov_b32_e32 v10, s11
	v_add_co_u32_e32 v4, vcc, s10, v4
	v_addc_co_u32_e32 v5, vcc, v10, v5, vcc
	global_load_ushort v4, v[4:5], off
	s_waitcnt vmcnt(0)
	v_lshlrev_b32_e32 v4, 16, v4
	v_add_f32_e32 v3, v3, v4
	ds_write_b32 v6, v3
	s_branch .LBB184_7
.LBB184_10:
	s_or_b64 exec, exec, s[8:9]
	s_cmp_lt_i32 s17, 1
	s_waitcnt lgkmcnt(0)
	s_barrier
	s_cbranch_scc1 .LBB184_19
; %bb.11:
	s_add_u32 s2, s4, 56
	s_addc_u32 s3, s5, 0
	v_mbcnt_lo_u32_b32 v3, -1, 0
	s_cmp_lg_u64 s[10:11], 0
	v_mbcnt_hi_u32_b32 v3, -1, v3
	v_bfrev_b32_e32 v5, 0.5
	s_cselect_b64 s[8:9], -1, 0
	s_mov_b32 s7, 0
	v_mov_b32_e32 v2, 0
	v_mov_b32_e32 v4, 0
	v_lshl_or_b32 v5, v3, 2, v5
	v_mov_b32_e32 v6, 0xff800000
	v_mov_b32_e32 v3, 0
	s_branch .LBB184_13
.LBB184_12:                             ;   in Loop: Header=BB184_13 Depth=1
	s_lshl_b32 s19, s18, 2
	s_add_i32 s19, s19, 0
	v_mov_b32_e32 v7, s19
	ds_write_b32 v7, v6
	v_mov_b32_e32 v7, s18
	v_cmp_eq_u32_e32 vcc, s7, v0
	s_add_i32 s7, s7, 1
	v_cndmask_b32_e32 v2, v2, v7, vcc
	s_cmp_eq_u32 s7, s17
	v_cndmask_b32_e32 v3, v3, v9, vcc
	s_cbranch_scc1 .LBB184_20
.LBB184_13:                             ; =>This Loop Header: Depth=1
                                        ;     Child Loop BB184_15 Depth 2
	v_mov_b32_e32 v7, s7
	v_mov_b32_e32 v8, 0xff800000
	s_and_saveexec_b64 s[18:19], s[0:1]
	s_cbranch_execz .LBB184_17
; %bb.14:                               ;   in Loop: Header=BB184_13 Depth=1
	s_load_dword s22, s[2:3], 0xc
	s_mov_b64 s[20:21], 0
	v_mov_b32_e32 v7, s7
	v_mov_b32_e32 v8, 0xff800000
	;; [unrolled: 1-line block ×3, first 2 shown]
	s_waitcnt lgkmcnt(0)
	s_and_b32 s22, s22, 0xffff
	s_lshl_b32 s23, s22, 2
	v_mov_b32_e32 v10, v0
.LBB184_15:                             ;   Parent Loop BB184_13 Depth=1
                                        ; =>  This Inner Loop Header: Depth=2
	ds_read_b32 v11, v9
	v_add_u32_e32 v9, s23, v9
	s_waitcnt lgkmcnt(0)
	v_cmp_gt_f32_e32 vcc, v11, v8
	v_cndmask_b32_e32 v7, v7, v10, vcc
	v_add_u32_e32 v10, s22, v10
	v_cndmask_b32_e32 v8, v8, v11, vcc
	v_cmp_le_i32_e32 vcc, s16, v10
	s_or_b64 s[20:21], vcc, s[20:21]
	s_andn2_b64 exec, exec, s[20:21]
	s_cbranch_execnz .LBB184_15
; %bb.16:                               ;   in Loop: Header=BB184_13 Depth=1
	s_or_b64 exec, exec, s[20:21]
.LBB184_17:                             ;   in Loop: Header=BB184_13 Depth=1
	s_or_b64 exec, exec, s[18:19]
	;;#ASMSTART
	v_max_f32 v9, v8, v8 quad_perm:[1,0,3,2] row_mask:0xf bank_mask:0xf bound_ctrl:1
	;;#ASMEND
	;;#ASMSTART
	v_max_f32 v10, v9, v9 quad_perm:[2,3,0,1] row_mask:0xf bank_mask:0xf bound_ctrl:1
	;;#ASMEND
	;;#ASMSTART
	v_max_f32 v9, v10, v10 row_half_mirror row_mask:0xf bank_mask:0xf bound_ctrl:1
	;;#ASMEND
	;;#ASMSTART
	v_max_f32 v10, v9, v9 row_mirror row_mask:0xf bank_mask:0xf bound_ctrl:1
	;;#ASMEND
	;;#ASMSTART
	v_max_f32 v9, v10, v10 row_ror:4 row_mask:0xf bank_mask:0xf bound_ctrl:1
	;;#ASMEND
	;;#ASMSTART
	v_max_f32 v10, v9, v9 row_ror:8 row_mask:0xf bank_mask:0xf bound_ctrl:1
	;;#ASMEND
	;;#ASMSTART
	v_max_f32 v9, v10, v10 row_bcast:15 row_mask:0xf bank_mask:0xf bound_ctrl:1
	;;#ASMEND
	;;#ASMSTART
	v_max_f32 v10, v9, v9 row_bcast:31 row_mask:0xf bank_mask:0xf bound_ctrl:1
	;;#ASMEND
	ds_bpermute_b32 v9, v5, v10
	s_waitcnt lgkmcnt(0)
	v_cmp_eq_f32_e32 vcc, v8, v9
	s_ff1_i32_b64 s18, vcc
	s_cmp_lg_u64 vcc, 0
	s_cselect_b32 s18, s18, 0
	s_and_b64 vcc, exec, s[8:9]
	v_readlane_b32 s18, v7, s18
	s_cbranch_vccz .LBB184_12
; %bb.18:                               ;   in Loop: Header=BB184_13 Depth=1
	s_ashr_i32 s19, s18, 31
	s_lshl_b64 s[20:21], s[18:19], 1
	s_add_u32 s20, s10, s20
	s_addc_u32 s21, s11, s21
	global_load_ushort v7, v4, s[20:21]
	s_waitcnt vmcnt(0)
	v_lshlrev_b32_e32 v7, 16, v7
	v_sub_f32_e32 v9, v9, v7
	s_branch .LBB184_12
.LBB184_19:
	v_mov_b32_e32 v3, 0
	v_mov_b32_e32 v2, 0
.LBB184_20:
	v_cmp_gt_i32_e32 vcc, s17, v0
	s_and_saveexec_b64 s[0:1], vcc
	s_cbranch_execz .LBB184_23
; %bb.21:
	s_load_dword s2, s[4:5], 0x34
	s_load_dwordx2 s[0:1], s[4:5], 0x20
	s_ashr_i32 s3, s6, 31
	s_load_dword s4, s[4:5], 0x44
	v_mov_b32_e32 v4, s13
	s_waitcnt lgkmcnt(0)
	v_mul_f32_e32 v1, s2, v3
	s_mul_i32 s1, s6, s1
	s_mul_hi_u32 s2, s6, s0
	s_add_i32 s1, s2, s1
	s_mul_i32 s3, s3, s0
	s_add_i32 s5, s1, s3
	s_mul_i32 s2, s6, s0
	s_and_b32 s3, s4, 0xffff
	s_mov_b64 s[0:1], 0
	v_mov_b32_e32 v3, s5
	v_mov_b32_e32 v5, s15
.LBB184_22:                             ; =>This Inner Loop Header: Depth=1
	v_ashrrev_i32_e32 v7, 31, v0
	v_add_co_u32_e32 v6, vcc, s2, v0
	v_addc_co_u32_e32 v7, vcc, v3, v7, vcc
	v_add_u32_e32 v0, s3, v0
	v_cmp_le_i32_e32 vcc, s17, v0
	v_lshlrev_b64 v[6:7], 2, v[6:7]
	s_or_b64 s[0:1], vcc, s[0:1]
	v_add_co_u32_e32 v8, vcc, s12, v6
	v_addc_co_u32_e32 v9, vcc, v4, v7, vcc
	v_add_co_u32_e32 v6, vcc, s14, v6
	v_addc_co_u32_e32 v7, vcc, v5, v7, vcc
	global_store_dword v[8:9], v1, off
	global_store_dword v[6:7], v2, off
	s_andn2_b64 exec, exec, s[0:1]
	s_cbranch_execnz .LBB184_22
.LBB184_23:
	s_endpgm
	.section	.rodata,"a",@progbits
	.p2align	6, 0x0
	.amdhsa_kernel _ZN5aiter20topk_softplus_kernelI6__half12hip_bfloat16Dv1_fLb0ELi1EEEvPKT_PKT0_PfPimiiif
		.amdhsa_group_segment_fixed_size 0
		.amdhsa_private_segment_fixed_size 0
		.amdhsa_kernarg_size 312
		.amdhsa_user_sgpr_count 6
		.amdhsa_user_sgpr_private_segment_buffer 1
		.amdhsa_user_sgpr_dispatch_ptr 0
		.amdhsa_user_sgpr_queue_ptr 0
		.amdhsa_user_sgpr_kernarg_segment_ptr 1
		.amdhsa_user_sgpr_dispatch_id 0
		.amdhsa_user_sgpr_flat_scratch_init 0
		.amdhsa_user_sgpr_kernarg_preload_length 0
		.amdhsa_user_sgpr_kernarg_preload_offset 0
		.amdhsa_user_sgpr_private_segment_size 0
		.amdhsa_uses_dynamic_stack 0
		.amdhsa_system_sgpr_private_segment_wavefront_offset 0
		.amdhsa_system_sgpr_workgroup_id_x 1
		.amdhsa_system_sgpr_workgroup_id_y 0
		.amdhsa_system_sgpr_workgroup_id_z 0
		.amdhsa_system_sgpr_workgroup_info 0
		.amdhsa_system_vgpr_workitem_id 0
		.amdhsa_next_free_vgpr 12
		.amdhsa_next_free_sgpr 25
		.amdhsa_accum_offset 12
		.amdhsa_reserve_vcc 1
		.amdhsa_reserve_flat_scratch 0
		.amdhsa_float_round_mode_32 0
		.amdhsa_float_round_mode_16_64 0
		.amdhsa_float_denorm_mode_32 3
		.amdhsa_float_denorm_mode_16_64 3
		.amdhsa_dx10_clamp 1
		.amdhsa_ieee_mode 1
		.amdhsa_fp16_overflow 0
		.amdhsa_tg_split 0
		.amdhsa_exception_fp_ieee_invalid_op 0
		.amdhsa_exception_fp_denorm_src 0
		.amdhsa_exception_fp_ieee_div_zero 0
		.amdhsa_exception_fp_ieee_overflow 0
		.amdhsa_exception_fp_ieee_underflow 0
		.amdhsa_exception_fp_ieee_inexact 0
		.amdhsa_exception_int_div_zero 0
	.end_amdhsa_kernel
	.section	.text._ZN5aiter20topk_softplus_kernelI6__half12hip_bfloat16Dv1_fLb0ELi1EEEvPKT_PKT0_PfPimiiif,"axG",@progbits,_ZN5aiter20topk_softplus_kernelI6__half12hip_bfloat16Dv1_fLb0ELi1EEEvPKT_PKT0_PfPimiiif,comdat
.Lfunc_end184:
	.size	_ZN5aiter20topk_softplus_kernelI6__half12hip_bfloat16Dv1_fLb0ELi1EEEvPKT_PKT0_PfPimiiif, .Lfunc_end184-_ZN5aiter20topk_softplus_kernelI6__half12hip_bfloat16Dv1_fLb0ELi1EEEvPKT_PKT0_PfPimiiif
                                        ; -- End function
	.section	.AMDGPU.csdata,"",@progbits
; Kernel info:
; codeLenInByte = 1200
; NumSgprs: 29
; NumVgprs: 12
; NumAgprs: 0
; TotalNumVgprs: 12
; ScratchSize: 0
; MemoryBound: 0
; FloatMode: 240
; IeeeMode: 1
; LDSByteSize: 0 bytes/workgroup (compile time only)
; SGPRBlocks: 3
; VGPRBlocks: 1
; NumSGPRsForWavesPerEU: 29
; NumVGPRsForWavesPerEU: 12
; AccumOffset: 12
; Occupancy: 8
; WaveLimiterHint : 0
; COMPUTE_PGM_RSRC2:SCRATCH_EN: 0
; COMPUTE_PGM_RSRC2:USER_SGPR: 6
; COMPUTE_PGM_RSRC2:TRAP_HANDLER: 0
; COMPUTE_PGM_RSRC2:TGID_X_EN: 1
; COMPUTE_PGM_RSRC2:TGID_Y_EN: 0
; COMPUTE_PGM_RSRC2:TGID_Z_EN: 0
; COMPUTE_PGM_RSRC2:TIDIG_COMP_CNT: 0
; COMPUTE_PGM_RSRC3_GFX90A:ACCUM_OFFSET: 2
; COMPUTE_PGM_RSRC3_GFX90A:TG_SPLIT: 0
	.section	.text._ZN5aiter20topk_softplus_kernelI6__half12hip_bfloat16Dv4_fLb1ELi2EEEvPKT_PKT0_PfPimiiif,"axG",@progbits,_ZN5aiter20topk_softplus_kernelI6__half12hip_bfloat16Dv4_fLb1ELi2EEEvPKT_PKT0_PfPimiiif,comdat
	.protected	_ZN5aiter20topk_softplus_kernelI6__half12hip_bfloat16Dv4_fLb1ELi2EEEvPKT_PKT0_PfPimiiif ; -- Begin function _ZN5aiter20topk_softplus_kernelI6__half12hip_bfloat16Dv4_fLb1ELi2EEEvPKT_PKT0_PfPimiiif
	.globl	_ZN5aiter20topk_softplus_kernelI6__half12hip_bfloat16Dv4_fLb1ELi2EEEvPKT_PKT0_PfPimiiif
	.p2align	8
	.type	_ZN5aiter20topk_softplus_kernelI6__half12hip_bfloat16Dv4_fLb1ELi2EEEvPKT_PKT0_PfPimiiif,@function
_ZN5aiter20topk_softplus_kernelI6__half12hip_bfloat16Dv4_fLb1ELi2EEEvPKT_PKT0_PfPimiiif: ; @_ZN5aiter20topk_softplus_kernelI6__half12hip_bfloat16Dv4_fLb1ELi2EEEvPKT_PKT0_PfPimiiif
; %bb.0:
	s_load_dwordx2 s[16:17], s[4:5], 0x28
	s_load_dwordx8 s[8:15], s[4:5], 0x0
	v_lshl_add_u32 v1, v0, 4, 0
	s_waitcnt lgkmcnt(0)
	s_ashr_i32 s0, s16, 31
	s_lshr_b32 s0, s0, 30
	s_add_i32 s0, s16, s0
	s_mul_i32 s2, s6, s16
	s_ashr_i32 s7, s0, 2
	s_ashr_i32 s3, s2, 31
	v_cmp_gt_i32_e64 s[0:1], s7, v0
	s_and_saveexec_b64 s[18:19], s[0:1]
	s_cbranch_execz .LBB185_3
; %bb.1:
	s_load_dword s22, s[4:5], 0x44
	s_lshl_b64 s[20:21], s[2:3], 1
	v_lshlrev_b32_e32 v2, 3, v0
	s_mov_b32 s25, 0
	v_lshl_add_u32 v4, v0, 4, 0
	s_waitcnt lgkmcnt(0)
	s_and_b32 s22, s22, 0xffff
	s_add_u32 s20, s8, s20
	s_addc_u32 s21, s9, s21
	v_mov_b32_e32 v3, s21
	v_add_co_u32_e32 v2, vcc, s20, v2
	v_addc_co_u32_e32 v3, vcc, 0, v3, vcc
	s_lshl_b32 s23, s22, 3
	s_lshl_b32 s24, s22, 4
	s_mov_b64 s[20:21], 0
	v_mov_b32_e32 v5, s25
	v_mov_b32_e32 v6, v0
.LBB185_2:                              ; =>This Inner Loop Header: Depth=1
	global_load_dwordx2 v[12:13], v[2:3], off
	v_add_co_u32_e32 v2, vcc, s23, v2
	v_add_u32_e32 v6, s22, v6
	v_addc_co_u32_e32 v3, vcc, v3, v5, vcc
	v_cmp_le_i32_e32 vcc, s7, v6
	s_or_b64 s[20:21], vcc, s[20:21]
	s_waitcnt vmcnt(0)
	v_cvt_f32_f16_sdwa v9, v12 dst_sel:DWORD dst_unused:UNUSED_PAD src0_sel:WORD_1
	v_cvt_f32_f16_e32 v8, v12
	v_cvt_f32_f16_sdwa v11, v13 dst_sel:DWORD dst_unused:UNUSED_PAD src0_sel:WORD_1
	v_cvt_f32_f16_e32 v10, v13
	ds_write_b128 v4, v[8:11]
	v_add_u32_e32 v4, s24, v4
	s_andn2_b64 exec, exec, s[20:21]
	s_cbranch_execnz .LBB185_2
.LBB185_3:
	s_or_b64 exec, exec, s[18:19]
	v_lshl_add_u32 v2, s7, 2, v0
	v_cmp_gt_i32_e32 vcc, s16, v2
	s_and_saveexec_b64 s[18:19], vcc
	s_cbranch_execz .LBB185_6
; %bb.4:
	s_load_dword s20, s[4:5], 0x44
	s_lshl_b64 s[2:3], s[2:3], 1
	s_add_u32 s8, s8, s2
	s_addc_u32 s21, s9, s3
	s_lshl_b32 s2, s7, 4
	s_waitcnt lgkmcnt(0)
	s_and_b32 s9, s20, 0xffff
	s_add_i32 s2, s2, 0
	v_lshl_add_u32 v4, v0, 2, s2
	s_lshl_b32 s20, s9, 2
	s_mov_b64 s[2:3], 0
	v_mov_b32_e32 v5, s21
.LBB185_5:                              ; =>This Inner Loop Header: Depth=1
	v_ashrrev_i32_e32 v3, 31, v2
	v_lshlrev_b64 v[6:7], 1, v[2:3]
	v_add_co_u32_e32 v6, vcc, s8, v6
	v_addc_co_u32_e32 v7, vcc, v5, v7, vcc
	global_load_ushort v3, v[6:7], off
	v_add_u32_e32 v2, s9, v2
	v_cmp_le_i32_e32 vcc, s16, v2
	s_or_b64 s[2:3], vcc, s[2:3]
	s_waitcnt vmcnt(0)
	v_cvt_f32_f16_e32 v3, v3
	ds_write_b32 v4, v3
	v_add_u32_e32 v4, s20, v4
	s_andn2_b64 exec, exec, s[2:3]
	s_cbranch_execnz .LBB185_5
.LBB185_6:
	s_or_b64 exec, exec, s[18:19]
	v_cmp_gt_i32_e32 vcc, s16, v0
	v_mov_b32_e32 v2, 0xff800000
	s_waitcnt lgkmcnt(0)
	s_barrier
	s_and_saveexec_b64 s[8:9], vcc
	s_cbranch_execz .LBB185_10
; %bb.7:
	s_load_dword s2, s[4:5], 0x44
	v_lshl_add_u32 v3, v0, 2, 0
	s_mov_b64 s[18:19], 0
	v_mov_b32_e32 v2, 0xff800000
	v_mov_b32_e32 v4, v0
	s_waitcnt lgkmcnt(0)
	s_and_b32 s20, s2, 0xffff
	s_lshl_b32 s21, s20, 2
.LBB185_8:                              ; =>This Inner Loop Header: Depth=1
	ds_read_b32 v5, v3
	v_add_u32_e32 v4, s20, v4
	v_max_f32_e32 v2, v2, v2
	v_cmp_le_i32_e64 s[2:3], s16, v4
	v_add_u32_e32 v3, s21, v3
	s_waitcnt lgkmcnt(0)
	v_max_f32_e32 v5, v5, v5
	s_or_b64 s[18:19], s[2:3], s[18:19]
	v_max_f32_e32 v2, v2, v5
	s_andn2_b64 exec, exec, s[18:19]
	s_cbranch_execnz .LBB185_8
; %bb.9:
	s_or_b64 exec, exec, s[18:19]
.LBB185_10:
	s_or_b64 exec, exec, s[8:9]
	;;#ASMSTART
	v_max_f32 v3, v2, v2 quad_perm:[1,0,3,2] row_mask:0xf bank_mask:0xf bound_ctrl:1
	;;#ASMEND
	;;#ASMSTART
	v_max_f32 v2, v3, v3 quad_perm:[2,3,0,1] row_mask:0xf bank_mask:0xf bound_ctrl:1
	;;#ASMEND
	;;#ASMSTART
	v_max_f32 v3, v2, v2 row_half_mirror row_mask:0xf bank_mask:0xf bound_ctrl:1
	;;#ASMEND
	;;#ASMSTART
	v_max_f32 v2, v3, v3 row_mirror row_mask:0xf bank_mask:0xf bound_ctrl:1
	;;#ASMEND
	;;#ASMSTART
	v_max_f32 v3, v2, v2 row_ror:4 row_mask:0xf bank_mask:0xf bound_ctrl:1
	;;#ASMEND
	;;#ASMSTART
	v_max_f32 v2, v3, v3 row_ror:8 row_mask:0xf bank_mask:0xf bound_ctrl:1
	;;#ASMEND
	;;#ASMSTART
	v_max_f32 v3, v2, v2 row_bcast:15 row_mask:0xf bank_mask:0xf bound_ctrl:1
	;;#ASMEND
	;;#ASMSTART
	v_max_f32 v2, v3, v3 row_bcast:31 row_mask:0xf bank_mask:0xf bound_ctrl:1
	;;#ASMEND
	v_mbcnt_lo_u32_b32 v3, -1, 0
	v_mbcnt_hi_u32_b32 v3, -1, v3
	v_bfrev_b32_e32 v4, 0.5
	v_lshl_or_b32 v4, v3, 2, v4
	ds_bpermute_b32 v3, v4, v2
	v_mov_b32_e32 v2, 0
	s_and_saveexec_b64 s[18:19], vcc
	s_cbranch_execz .LBB185_14
; %bb.11:
	s_load_dword s2, s[4:5], 0x44
	v_lshl_add_u32 v5, v0, 2, 0
	s_mov_b64 s[20:21], 0
	v_mov_b32_e32 v2, 0
	s_mov_b32 s22, 0xc2fc0000
	s_waitcnt lgkmcnt(0)
	s_and_b32 s23, s2, 0xffff
	s_lshl_b32 s24, s23, 2
	v_mov_b32_e32 v6, 0x42800000
	v_mov_b32_e32 v7, 0x1f800000
	v_mov_b32_e32 v8, v0
.LBB185_12:                             ; =>This Inner Loop Header: Depth=1
	ds_read_b32 v9, v5
	v_add_u32_e32 v8, s23, v8
	v_cmp_le_i32_e64 s[8:9], s16, v8
	s_or_b64 s[20:21], s[8:9], s[20:21]
	s_waitcnt lgkmcnt(0)
	v_sub_f32_e32 v9, v9, v3
	v_mul_f32_e32 v10, 0x3fb8aa3b, v9
	v_cmp_gt_f32_e64 s[2:3], s22, v10
	v_cndmask_b32_e64 v10, 0, v6, s[2:3]
	v_fmac_f32_e32 v10, 0x3fb8aa3b, v9
	v_exp_f32_e32 v9, v10
	v_cndmask_b32_e64 v10, 1.0, v7, s[2:3]
	v_mul_f32_e32 v11, v9, v10
	v_fmac_f32_e32 v2, v9, v10
	ds_write_b32 v5, v11
	v_add_u32_e32 v5, s24, v5
	s_andn2_b64 exec, exec, s[20:21]
	s_cbranch_execnz .LBB185_12
; %bb.13:
	s_or_b64 exec, exec, s[20:21]
.LBB185_14:
	s_or_b64 exec, exec, s[18:19]
	s_waitcnt lgkmcnt(0)
	v_mov_b32_dpp v3, v2 quad_perm:[1,0,3,2] row_mask:0xf bank_mask:0xf
	v_add_f32_e32 v2, v2, v3
	s_nop 1
	v_mov_b32_dpp v3, v2 quad_perm:[2,3,0,1] row_mask:0xf bank_mask:0xf
	v_add_f32_e32 v2, v2, v3
	s_nop 1
	v_mov_b32_dpp v3, v2 row_half_mirror row_mask:0xf bank_mask:0xf
	v_add_f32_e32 v2, v2, v3
	s_nop 1
	v_mov_b32_dpp v3, v2 row_mirror row_mask:0xf bank_mask:0xf
	v_add_f32_e32 v2, v2, v3
	s_nop 1
	v_mov_b32_dpp v3, v2 row_bcast:15 row_mask:0xf bank_mask:0xf
	v_add_f32_e32 v2, v2, v3
	s_nop 1
	v_mov_b32_dpp v3, v2 row_bcast:31 row_mask:0xf bank_mask:0xf
	v_add_f32_e32 v2, v2, v3
	ds_bpermute_b32 v2, v4, v2
	s_and_saveexec_b64 s[8:9], vcc
	s_cbranch_execz .LBB185_19
; %bb.15:
	s_load_dword s20, s[4:5], 0x44
	s_waitcnt lgkmcnt(0)
	v_rcp_f32_e32 v5, v2
	s_cmp_lg_u64 s[10:11], 0
	s_cselect_b64 s[2:3], -1, 0
	v_cndmask_b32_e64 v2, 0, 1, s[2:3]
	s_and_b32 s20, s20, 0xffff
	s_mov_b64 s[18:19], 0
	v_lshl_add_u32 v6, v0, 2, 0
	s_lshl_b32 s21, s20, 2
	v_cmp_ne_u32_e64 s[2:3], 1, v2
	v_mov_b32_e32 v2, v0
	s_branch .LBB185_17
.LBB185_16:                             ;   in Loop: Header=BB185_17 Depth=1
	v_add_u32_e32 v2, s20, v2
	v_cmp_le_i32_e32 vcc, s16, v2
	s_or_b64 s[18:19], vcc, s[18:19]
	v_add_u32_e32 v6, s21, v6
	s_andn2_b64 exec, exec, s[18:19]
	s_cbranch_execz .LBB185_19
.LBB185_17:                             ; =>This Inner Loop Header: Depth=1
	ds_read_b32 v3, v6
	s_and_b64 vcc, exec, s[2:3]
	s_waitcnt lgkmcnt(0)
	v_mul_f32_e32 v7, v5, v3
	ds_write_b32 v6, v7
	s_cbranch_vccnz .LBB185_16
; %bb.18:                               ;   in Loop: Header=BB185_17 Depth=1
	v_ashrrev_i32_e32 v3, 31, v2
	v_lshlrev_b64 v[8:9], 1, v[2:3]
	v_mov_b32_e32 v3, s11
	v_add_co_u32_e32 v8, vcc, s10, v8
	v_addc_co_u32_e32 v9, vcc, v3, v9, vcc
	global_load_ushort v3, v[8:9], off
	s_waitcnt vmcnt(0)
	v_lshlrev_b32_e32 v3, 16, v3
	v_add_f32_e32 v3, v7, v3
	ds_write_b32 v6, v3
	s_branch .LBB185_16
.LBB185_19:
	s_or_b64 exec, exec, s[8:9]
	s_cmp_lt_i32 s17, 1
	v_mov_b32_e32 v3, 0
	s_waitcnt lgkmcnt(0)
	s_barrier
	s_cbranch_scc1 .LBB185_28
; %bb.20:
	s_add_u32 s2, s4, 56
	s_addc_u32 s3, s5, 0
	s_cmp_lg_u64 s[10:11], 0
	s_cselect_b64 s[8:9], -1, 0
	v_lshlrev_b32_e32 v6, 2, v0
	s_mov_b32 s16, 0
	v_mov_b32_e32 v3, 0
	v_mov_b32_e32 v7, 0
	;; [unrolled: 1-line block ×5, first 2 shown]
	s_branch .LBB185_22
.LBB185_21:                             ;   in Loop: Header=BB185_22 Depth=1
	s_lshl_b32 s19, s18, 2
	s_add_i32 s19, s19, 0
	v_mov_b32_e32 v9, s19
	ds_write_b32 v9, v8
	v_mov_b32_e32 v9, s18
	v_cmp_eq_u32_e32 vcc, s16, v0
	s_add_i32 s16, s16, 1
	v_cndmask_b32_e32 v2, v2, v9, vcc
	v_cndmask_b32_e32 v3, v3, v11, vcc
	s_cmp_eq_u32 s16, s17
	v_add_f32_e32 v5, v5, v11
	s_cbranch_scc1 .LBB185_29
.LBB185_22:                             ; =>This Loop Header: Depth=1
                                        ;     Child Loop BB185_24 Depth 2
	v_mov_b32_e32 v9, s16
	v_mov_b32_e32 v10, 0xff800000
	s_and_saveexec_b64 s[18:19], s[0:1]
	s_cbranch_execz .LBB185_26
; %bb.23:                               ;   in Loop: Header=BB185_22 Depth=1
	s_load_dword s22, s[2:3], 0xc
	s_mov_b64 s[20:21], 0
	v_mov_b32_e32 v9, s16
	v_mov_b32_e32 v10, 0xff800000
	;; [unrolled: 1-line block ×3, first 2 shown]
	s_waitcnt lgkmcnt(0)
	s_and_b32 s22, s22, 0xffff
	s_lshl_b32 s23, s22, 2
	s_lshl_b32 s24, s22, 4
	v_mov_b32_e32 v12, v6
	v_mov_b32_e32 v13, v0
.LBB185_24:                             ;   Parent Loop BB185_22 Depth=1
                                        ; =>  This Inner Loop Header: Depth=2
	ds_read_b128 v[14:17], v11
	v_add_u32_e32 v13, s22, v13
	v_cmp_le_i32_e32 vcc, s7, v13
	s_or_b64 s[20:21], vcc, s[20:21]
	v_add_u32_e32 v18, 1, v12
	s_waitcnt lgkmcnt(0)
	v_cmp_gt_f32_e32 vcc, v14, v10
	v_cndmask_b32_e32 v10, v10, v14, vcc
	v_cndmask_b32_e32 v9, v9, v12, vcc
	v_cmp_gt_f32_e32 vcc, v15, v10
	v_cndmask_b32_e32 v10, v10, v15, vcc
	v_cndmask_b32_e32 v9, v9, v18, vcc
	v_cmp_gt_f32_e32 vcc, v16, v10
	v_add_u32_e32 v19, 2, v12
	v_cndmask_b32_e32 v10, v10, v16, vcc
	v_add_u32_e32 v20, 3, v12
	v_cndmask_b32_e32 v9, v9, v19, vcc
	v_cmp_gt_f32_e32 vcc, v17, v10
	v_add_u32_e32 v11, s24, v11
	v_add_u32_e32 v12, s23, v12
	v_cndmask_b32_e32 v10, v10, v17, vcc
	v_cndmask_b32_e32 v9, v9, v20, vcc
	s_andn2_b64 exec, exec, s[20:21]
	s_cbranch_execnz .LBB185_24
; %bb.25:                               ;   in Loop: Header=BB185_22 Depth=1
	s_or_b64 exec, exec, s[20:21]
.LBB185_26:                             ;   in Loop: Header=BB185_22 Depth=1
	s_or_b64 exec, exec, s[18:19]
	;;#ASMSTART
	v_max_f32 v11, v10, v10 quad_perm:[1,0,3,2] row_mask:0xf bank_mask:0xf bound_ctrl:1
	;;#ASMEND
	;;#ASMSTART
	v_max_f32 v12, v11, v11 quad_perm:[2,3,0,1] row_mask:0xf bank_mask:0xf bound_ctrl:1
	;;#ASMEND
	;;#ASMSTART
	v_max_f32 v11, v12, v12 row_half_mirror row_mask:0xf bank_mask:0xf bound_ctrl:1
	;;#ASMEND
	;;#ASMSTART
	v_max_f32 v12, v11, v11 row_mirror row_mask:0xf bank_mask:0xf bound_ctrl:1
	;;#ASMEND
	;;#ASMSTART
	v_max_f32 v11, v12, v12 row_ror:4 row_mask:0xf bank_mask:0xf bound_ctrl:1
	;;#ASMEND
	;;#ASMSTART
	v_max_f32 v12, v11, v11 row_ror:8 row_mask:0xf bank_mask:0xf bound_ctrl:1
	;;#ASMEND
	;;#ASMSTART
	v_max_f32 v11, v12, v12 row_bcast:15 row_mask:0xf bank_mask:0xf bound_ctrl:1
	;;#ASMEND
	;;#ASMSTART
	v_max_f32 v12, v11, v11 row_bcast:31 row_mask:0xf bank_mask:0xf bound_ctrl:1
	;;#ASMEND
	ds_bpermute_b32 v11, v4, v12
	s_waitcnt lgkmcnt(0)
	v_cmp_eq_f32_e32 vcc, v10, v11
	s_ff1_i32_b64 s18, vcc
	s_cmp_lg_u64 vcc, 0
	s_cselect_b32 s18, s18, 0
	s_and_b64 vcc, exec, s[8:9]
	v_readlane_b32 s18, v9, s18
	s_cbranch_vccz .LBB185_21
; %bb.27:                               ;   in Loop: Header=BB185_22 Depth=1
	s_ashr_i32 s19, s18, 31
	s_lshl_b64 s[20:21], s[18:19], 1
	s_add_u32 s20, s10, s20
	s_addc_u32 s21, s11, s21
	global_load_ushort v9, v7, s[20:21]
	s_waitcnt vmcnt(0)
	v_lshlrev_b32_e32 v9, 16, v9
	v_sub_f32_e32 v11, v11, v9
	s_branch .LBB185_21
.LBB185_28:
	v_mov_b32_e32 v2, 0
	v_mov_b32_e32 v5, 0
.LBB185_29:
	v_cmp_gt_i32_e32 vcc, s17, v0
	s_and_saveexec_b64 s[0:1], vcc
	s_cbranch_execz .LBB185_32
; %bb.30:
	s_load_dword s2, s[4:5], 0x34
	v_max_f32_e32 v1, v5, v5
	v_max_f32_e32 v1, 0x1e3ce508, v1
	s_load_dword s3, s[4:5], 0x44
	s_waitcnt lgkmcnt(0)
	v_div_scale_f32 v4, s[0:1], v1, v1, s2
	s_load_dwordx2 s[0:1], s[4:5], 0x20
	v_rcp_f32_e32 v5, v4
	v_div_scale_f32 v6, vcc, s2, v1, s2
	s_and_b32 s3, s3, 0xffff
	v_fma_f32 v7, -v4, v5, 1.0
	v_fmac_f32_e32 v5, v7, v5
	v_mul_f32_e32 v7, v6, v5
	v_fma_f32 v8, -v4, v7, v6
	v_fmac_f32_e32 v7, v8, v5
	v_fma_f32 v4, -v4, v7, v6
	v_div_fmas_f32 v4, v4, v5, v7
	v_div_fixup_f32 v1, v4, v1, s2
	s_ashr_i32 s2, s6, 31
	s_waitcnt lgkmcnt(0)
	s_mul_i32 s1, s6, s1
	s_mul_hi_u32 s4, s6, s0
	s_add_i32 s1, s4, s1
	s_mul_i32 s2, s2, s0
	s_add_i32 s4, s1, s2
	v_mul_f32_e32 v1, v3, v1
	s_mul_i32 s2, s6, s0
	s_mov_b64 s[0:1], 0
	v_mov_b32_e32 v3, s4
	v_mov_b32_e32 v4, s13
	;; [unrolled: 1-line block ×3, first 2 shown]
.LBB185_31:                             ; =>This Inner Loop Header: Depth=1
	v_ashrrev_i32_e32 v7, 31, v0
	v_add_co_u32_e32 v6, vcc, s2, v0
	v_addc_co_u32_e32 v7, vcc, v3, v7, vcc
	v_add_u32_e32 v0, s3, v0
	v_cmp_le_i32_e32 vcc, s17, v0
	v_lshlrev_b64 v[6:7], 2, v[6:7]
	s_or_b64 s[0:1], vcc, s[0:1]
	v_add_co_u32_e32 v8, vcc, s12, v6
	v_addc_co_u32_e32 v9, vcc, v4, v7, vcc
	v_add_co_u32_e32 v6, vcc, s14, v6
	v_addc_co_u32_e32 v7, vcc, v5, v7, vcc
	global_store_dword v[8:9], v1, off
	global_store_dword v[6:7], v2, off
	s_andn2_b64 exec, exec, s[0:1]
	s_cbranch_execnz .LBB185_31
.LBB185_32:
	s_endpgm
	.section	.rodata,"a",@progbits
	.p2align	6, 0x0
	.amdhsa_kernel _ZN5aiter20topk_softplus_kernelI6__half12hip_bfloat16Dv4_fLb1ELi2EEEvPKT_PKT0_PfPimiiif
		.amdhsa_group_segment_fixed_size 0
		.amdhsa_private_segment_fixed_size 0
		.amdhsa_kernarg_size 312
		.amdhsa_user_sgpr_count 6
		.amdhsa_user_sgpr_private_segment_buffer 1
		.amdhsa_user_sgpr_dispatch_ptr 0
		.amdhsa_user_sgpr_queue_ptr 0
		.amdhsa_user_sgpr_kernarg_segment_ptr 1
		.amdhsa_user_sgpr_dispatch_id 0
		.amdhsa_user_sgpr_flat_scratch_init 0
		.amdhsa_user_sgpr_kernarg_preload_length 0
		.amdhsa_user_sgpr_kernarg_preload_offset 0
		.amdhsa_user_sgpr_private_segment_size 0
		.amdhsa_uses_dynamic_stack 0
		.amdhsa_system_sgpr_private_segment_wavefront_offset 0
		.amdhsa_system_sgpr_workgroup_id_x 1
		.amdhsa_system_sgpr_workgroup_id_y 0
		.amdhsa_system_sgpr_workgroup_id_z 0
		.amdhsa_system_sgpr_workgroup_info 0
		.amdhsa_system_vgpr_workitem_id 0
		.amdhsa_next_free_vgpr 21
		.amdhsa_next_free_sgpr 26
		.amdhsa_accum_offset 24
		.amdhsa_reserve_vcc 1
		.amdhsa_reserve_flat_scratch 0
		.amdhsa_float_round_mode_32 0
		.amdhsa_float_round_mode_16_64 0
		.amdhsa_float_denorm_mode_32 3
		.amdhsa_float_denorm_mode_16_64 3
		.amdhsa_dx10_clamp 1
		.amdhsa_ieee_mode 1
		.amdhsa_fp16_overflow 0
		.amdhsa_tg_split 0
		.amdhsa_exception_fp_ieee_invalid_op 0
		.amdhsa_exception_fp_denorm_src 0
		.amdhsa_exception_fp_ieee_div_zero 0
		.amdhsa_exception_fp_ieee_overflow 0
		.amdhsa_exception_fp_ieee_underflow 0
		.amdhsa_exception_fp_ieee_inexact 0
		.amdhsa_exception_int_div_zero 0
	.end_amdhsa_kernel
	.section	.text._ZN5aiter20topk_softplus_kernelI6__half12hip_bfloat16Dv4_fLb1ELi2EEEvPKT_PKT0_PfPimiiif,"axG",@progbits,_ZN5aiter20topk_softplus_kernelI6__half12hip_bfloat16Dv4_fLb1ELi2EEEvPKT_PKT0_PfPimiiif,comdat
.Lfunc_end185:
	.size	_ZN5aiter20topk_softplus_kernelI6__half12hip_bfloat16Dv4_fLb1ELi2EEEvPKT_PKT0_PfPimiiif, .Lfunc_end185-_ZN5aiter20topk_softplus_kernelI6__half12hip_bfloat16Dv4_fLb1ELi2EEEvPKT_PKT0_PfPimiiif
                                        ; -- End function
	.section	.AMDGPU.csdata,"",@progbits
; Kernel info:
; codeLenInByte = 1832
; NumSgprs: 30
; NumVgprs: 21
; NumAgprs: 0
; TotalNumVgprs: 21
; ScratchSize: 0
; MemoryBound: 0
; FloatMode: 240
; IeeeMode: 1
; LDSByteSize: 0 bytes/workgroup (compile time only)
; SGPRBlocks: 3
; VGPRBlocks: 2
; NumSGPRsForWavesPerEU: 30
; NumVGPRsForWavesPerEU: 21
; AccumOffset: 24
; Occupancy: 8
; WaveLimiterHint : 0
; COMPUTE_PGM_RSRC2:SCRATCH_EN: 0
; COMPUTE_PGM_RSRC2:USER_SGPR: 6
; COMPUTE_PGM_RSRC2:TRAP_HANDLER: 0
; COMPUTE_PGM_RSRC2:TGID_X_EN: 1
; COMPUTE_PGM_RSRC2:TGID_Y_EN: 0
; COMPUTE_PGM_RSRC2:TGID_Z_EN: 0
; COMPUTE_PGM_RSRC2:TIDIG_COMP_CNT: 0
; COMPUTE_PGM_RSRC3_GFX90A:ACCUM_OFFSET: 5
; COMPUTE_PGM_RSRC3_GFX90A:TG_SPLIT: 0
	.section	.text._ZN5aiter20topk_softplus_kernelI6__half12hip_bfloat16Dv4_fLb0ELi2EEEvPKT_PKT0_PfPimiiif,"axG",@progbits,_ZN5aiter20topk_softplus_kernelI6__half12hip_bfloat16Dv4_fLb0ELi2EEEvPKT_PKT0_PfPimiiif,comdat
	.protected	_ZN5aiter20topk_softplus_kernelI6__half12hip_bfloat16Dv4_fLb0ELi2EEEvPKT_PKT0_PfPimiiif ; -- Begin function _ZN5aiter20topk_softplus_kernelI6__half12hip_bfloat16Dv4_fLb0ELi2EEEvPKT_PKT0_PfPimiiif
	.globl	_ZN5aiter20topk_softplus_kernelI6__half12hip_bfloat16Dv4_fLb0ELi2EEEvPKT_PKT0_PfPimiiif
	.p2align	8
	.type	_ZN5aiter20topk_softplus_kernelI6__half12hip_bfloat16Dv4_fLb0ELi2EEEvPKT_PKT0_PfPimiiif,@function
_ZN5aiter20topk_softplus_kernelI6__half12hip_bfloat16Dv4_fLb0ELi2EEEvPKT_PKT0_PfPimiiif: ; @_ZN5aiter20topk_softplus_kernelI6__half12hip_bfloat16Dv4_fLb0ELi2EEEvPKT_PKT0_PfPimiiif
; %bb.0:
	s_load_dwordx2 s[16:17], s[4:5], 0x28
	s_load_dwordx8 s[8:15], s[4:5], 0x0
	v_lshl_add_u32 v1, v0, 4, 0
	s_waitcnt lgkmcnt(0)
	s_ashr_i32 s0, s16, 31
	s_lshr_b32 s0, s0, 30
	s_add_i32 s0, s16, s0
	s_mul_i32 s2, s6, s16
	s_ashr_i32 s7, s0, 2
	s_ashr_i32 s3, s2, 31
	v_cmp_gt_i32_e64 s[0:1], s7, v0
	s_and_saveexec_b64 s[18:19], s[0:1]
	s_cbranch_execz .LBB186_3
; %bb.1:
	s_load_dword s22, s[4:5], 0x44
	s_lshl_b64 s[20:21], s[2:3], 1
	v_lshlrev_b32_e32 v2, 3, v0
	s_mov_b32 s25, 0
	v_lshl_add_u32 v4, v0, 4, 0
	s_waitcnt lgkmcnt(0)
	s_and_b32 s22, s22, 0xffff
	s_add_u32 s20, s8, s20
	s_addc_u32 s21, s9, s21
	v_mov_b32_e32 v3, s21
	v_add_co_u32_e32 v2, vcc, s20, v2
	v_addc_co_u32_e32 v3, vcc, 0, v3, vcc
	s_lshl_b32 s23, s22, 3
	s_lshl_b32 s24, s22, 4
	s_mov_b64 s[20:21], 0
	v_mov_b32_e32 v5, s25
	v_mov_b32_e32 v6, v0
.LBB186_2:                              ; =>This Inner Loop Header: Depth=1
	global_load_dwordx2 v[12:13], v[2:3], off
	v_add_co_u32_e32 v2, vcc, s23, v2
	v_add_u32_e32 v6, s22, v6
	v_addc_co_u32_e32 v3, vcc, v3, v5, vcc
	v_cmp_le_i32_e32 vcc, s7, v6
	s_or_b64 s[20:21], vcc, s[20:21]
	s_waitcnt vmcnt(0)
	v_cvt_f32_f16_sdwa v9, v12 dst_sel:DWORD dst_unused:UNUSED_PAD src0_sel:WORD_1
	v_cvt_f32_f16_e32 v8, v12
	v_cvt_f32_f16_sdwa v11, v13 dst_sel:DWORD dst_unused:UNUSED_PAD src0_sel:WORD_1
	v_cvt_f32_f16_e32 v10, v13
	ds_write_b128 v4, v[8:11]
	v_add_u32_e32 v4, s24, v4
	s_andn2_b64 exec, exec, s[20:21]
	s_cbranch_execnz .LBB186_2
.LBB186_3:
	s_or_b64 exec, exec, s[18:19]
	v_lshl_add_u32 v2, s7, 2, v0
	v_cmp_gt_i32_e32 vcc, s16, v2
	s_and_saveexec_b64 s[18:19], vcc
	s_cbranch_execz .LBB186_6
; %bb.4:
	s_load_dword s20, s[4:5], 0x44
	s_lshl_b64 s[2:3], s[2:3], 1
	s_add_u32 s8, s8, s2
	s_addc_u32 s21, s9, s3
	s_lshl_b32 s2, s7, 4
	s_waitcnt lgkmcnt(0)
	s_and_b32 s9, s20, 0xffff
	s_add_i32 s2, s2, 0
	v_lshl_add_u32 v4, v0, 2, s2
	s_lshl_b32 s20, s9, 2
	s_mov_b64 s[2:3], 0
	v_mov_b32_e32 v5, s21
.LBB186_5:                              ; =>This Inner Loop Header: Depth=1
	v_ashrrev_i32_e32 v3, 31, v2
	v_lshlrev_b64 v[6:7], 1, v[2:3]
	v_add_co_u32_e32 v6, vcc, s8, v6
	v_addc_co_u32_e32 v7, vcc, v5, v7, vcc
	global_load_ushort v3, v[6:7], off
	v_add_u32_e32 v2, s9, v2
	v_cmp_le_i32_e32 vcc, s16, v2
	s_or_b64 s[2:3], vcc, s[2:3]
	s_waitcnt vmcnt(0)
	v_cvt_f32_f16_e32 v3, v3
	ds_write_b32 v4, v3
	v_add_u32_e32 v4, s20, v4
	s_andn2_b64 exec, exec, s[2:3]
	s_cbranch_execnz .LBB186_5
.LBB186_6:
	s_or_b64 exec, exec, s[18:19]
	v_cmp_gt_i32_e32 vcc, s16, v0
	v_mov_b32_e32 v2, 0xff800000
	s_waitcnt lgkmcnt(0)
	s_barrier
	s_and_saveexec_b64 s[8:9], vcc
	s_cbranch_execz .LBB186_10
; %bb.7:
	s_load_dword s2, s[4:5], 0x44
	v_lshl_add_u32 v3, v0, 2, 0
	s_mov_b64 s[18:19], 0
	v_mov_b32_e32 v2, 0xff800000
	v_mov_b32_e32 v4, v0
	s_waitcnt lgkmcnt(0)
	s_and_b32 s20, s2, 0xffff
	s_lshl_b32 s21, s20, 2
.LBB186_8:                              ; =>This Inner Loop Header: Depth=1
	ds_read_b32 v5, v3
	v_add_u32_e32 v4, s20, v4
	v_max_f32_e32 v2, v2, v2
	v_cmp_le_i32_e64 s[2:3], s16, v4
	v_add_u32_e32 v3, s21, v3
	s_waitcnt lgkmcnt(0)
	v_max_f32_e32 v5, v5, v5
	s_or_b64 s[18:19], s[2:3], s[18:19]
	v_max_f32_e32 v2, v2, v5
	s_andn2_b64 exec, exec, s[18:19]
	s_cbranch_execnz .LBB186_8
; %bb.9:
	s_or_b64 exec, exec, s[18:19]
.LBB186_10:
	s_or_b64 exec, exec, s[8:9]
	;;#ASMSTART
	v_max_f32 v3, v2, v2 quad_perm:[1,0,3,2] row_mask:0xf bank_mask:0xf bound_ctrl:1
	;;#ASMEND
	;;#ASMSTART
	v_max_f32 v2, v3, v3 quad_perm:[2,3,0,1] row_mask:0xf bank_mask:0xf bound_ctrl:1
	;;#ASMEND
	;;#ASMSTART
	v_max_f32 v3, v2, v2 row_half_mirror row_mask:0xf bank_mask:0xf bound_ctrl:1
	;;#ASMEND
	;;#ASMSTART
	v_max_f32 v2, v3, v3 row_mirror row_mask:0xf bank_mask:0xf bound_ctrl:1
	;;#ASMEND
	;;#ASMSTART
	v_max_f32 v3, v2, v2 row_ror:4 row_mask:0xf bank_mask:0xf bound_ctrl:1
	;;#ASMEND
	;;#ASMSTART
	v_max_f32 v2, v3, v3 row_ror:8 row_mask:0xf bank_mask:0xf bound_ctrl:1
	;;#ASMEND
	;;#ASMSTART
	v_max_f32 v3, v2, v2 row_bcast:15 row_mask:0xf bank_mask:0xf bound_ctrl:1
	;;#ASMEND
	;;#ASMSTART
	v_max_f32 v2, v3, v3 row_bcast:31 row_mask:0xf bank_mask:0xf bound_ctrl:1
	;;#ASMEND
	v_mbcnt_lo_u32_b32 v3, -1, 0
	v_mbcnt_hi_u32_b32 v3, -1, v3
	v_bfrev_b32_e32 v4, 0.5
	v_lshl_or_b32 v4, v3, 2, v4
	ds_bpermute_b32 v3, v4, v2
	v_mov_b32_e32 v2, 0
	s_and_saveexec_b64 s[18:19], vcc
	s_cbranch_execz .LBB186_14
; %bb.11:
	s_load_dword s2, s[4:5], 0x44
	v_lshl_add_u32 v5, v0, 2, 0
	s_mov_b64 s[20:21], 0
	v_mov_b32_e32 v2, 0
	s_mov_b32 s22, 0xc2fc0000
	s_waitcnt lgkmcnt(0)
	s_and_b32 s23, s2, 0xffff
	s_lshl_b32 s24, s23, 2
	v_mov_b32_e32 v6, 0x42800000
	v_mov_b32_e32 v7, 0x1f800000
	;; [unrolled: 1-line block ×3, first 2 shown]
.LBB186_12:                             ; =>This Inner Loop Header: Depth=1
	ds_read_b32 v9, v5
	v_add_u32_e32 v8, s23, v8
	v_cmp_le_i32_e64 s[8:9], s16, v8
	s_or_b64 s[20:21], s[8:9], s[20:21]
	s_waitcnt lgkmcnt(0)
	v_sub_f32_e32 v9, v9, v3
	v_mul_f32_e32 v10, 0x3fb8aa3b, v9
	v_cmp_gt_f32_e64 s[2:3], s22, v10
	v_cndmask_b32_e64 v10, 0, v6, s[2:3]
	v_fmac_f32_e32 v10, 0x3fb8aa3b, v9
	v_exp_f32_e32 v9, v10
	v_cndmask_b32_e64 v10, 1.0, v7, s[2:3]
	v_mul_f32_e32 v11, v9, v10
	v_fmac_f32_e32 v2, v9, v10
	ds_write_b32 v5, v11
	v_add_u32_e32 v5, s24, v5
	s_andn2_b64 exec, exec, s[20:21]
	s_cbranch_execnz .LBB186_12
; %bb.13:
	s_or_b64 exec, exec, s[20:21]
.LBB186_14:
	s_or_b64 exec, exec, s[18:19]
	s_waitcnt lgkmcnt(0)
	v_mov_b32_dpp v3, v2 quad_perm:[1,0,3,2] row_mask:0xf bank_mask:0xf
	v_add_f32_e32 v2, v2, v3
	s_nop 1
	v_mov_b32_dpp v3, v2 quad_perm:[2,3,0,1] row_mask:0xf bank_mask:0xf
	v_add_f32_e32 v2, v2, v3
	s_nop 1
	v_mov_b32_dpp v3, v2 row_half_mirror row_mask:0xf bank_mask:0xf
	v_add_f32_e32 v2, v2, v3
	s_nop 1
	v_mov_b32_dpp v3, v2 row_mirror row_mask:0xf bank_mask:0xf
	v_add_f32_e32 v2, v2, v3
	s_nop 1
	v_mov_b32_dpp v3, v2 row_bcast:15 row_mask:0xf bank_mask:0xf
	v_add_f32_e32 v2, v2, v3
	s_nop 1
	v_mov_b32_dpp v3, v2 row_bcast:31 row_mask:0xf bank_mask:0xf
	v_add_f32_e32 v2, v2, v3
	ds_bpermute_b32 v2, v4, v2
	s_and_saveexec_b64 s[8:9], vcc
	s_cbranch_execz .LBB186_19
; %bb.15:
	s_load_dword s20, s[4:5], 0x44
	s_waitcnt lgkmcnt(0)
	v_rcp_f32_e32 v5, v2
	s_cmp_lg_u64 s[10:11], 0
	s_cselect_b64 s[2:3], -1, 0
	v_cndmask_b32_e64 v2, 0, 1, s[2:3]
	s_and_b32 s20, s20, 0xffff
	s_mov_b64 s[18:19], 0
	v_lshl_add_u32 v6, v0, 2, 0
	s_lshl_b32 s21, s20, 2
	v_cmp_ne_u32_e64 s[2:3], 1, v2
	v_mov_b32_e32 v2, v0
	s_branch .LBB186_17
.LBB186_16:                             ;   in Loop: Header=BB186_17 Depth=1
	v_add_u32_e32 v2, s20, v2
	v_cmp_le_i32_e32 vcc, s16, v2
	s_or_b64 s[18:19], vcc, s[18:19]
	v_add_u32_e32 v6, s21, v6
	s_andn2_b64 exec, exec, s[18:19]
	s_cbranch_execz .LBB186_19
.LBB186_17:                             ; =>This Inner Loop Header: Depth=1
	ds_read_b32 v3, v6
	s_and_b64 vcc, exec, s[2:3]
	s_waitcnt lgkmcnt(0)
	v_mul_f32_e32 v7, v5, v3
	ds_write_b32 v6, v7
	s_cbranch_vccnz .LBB186_16
; %bb.18:                               ;   in Loop: Header=BB186_17 Depth=1
	v_ashrrev_i32_e32 v3, 31, v2
	v_lshlrev_b64 v[8:9], 1, v[2:3]
	v_mov_b32_e32 v3, s11
	v_add_co_u32_e32 v8, vcc, s10, v8
	v_addc_co_u32_e32 v9, vcc, v3, v9, vcc
	global_load_ushort v3, v[8:9], off
	s_waitcnt vmcnt(0)
	v_lshlrev_b32_e32 v3, 16, v3
	v_add_f32_e32 v3, v7, v3
	ds_write_b32 v6, v3
	s_branch .LBB186_16
.LBB186_19:
	s_or_b64 exec, exec, s[8:9]
	s_cmp_lt_i32 s17, 1
	s_waitcnt lgkmcnt(0)
	s_barrier
	s_cbranch_scc1 .LBB186_28
; %bb.20:
	s_add_u32 s2, s4, 56
	s_addc_u32 s3, s5, 0
	s_cmp_lg_u64 s[10:11], 0
	s_cselect_b64 s[8:9], -1, 0
	v_lshlrev_b32_e32 v5, 2, v0
	s_mov_b32 s16, 0
	v_mov_b32_e32 v2, 0
	v_mov_b32_e32 v6, 0
	;; [unrolled: 1-line block ×4, first 2 shown]
	s_branch .LBB186_22
.LBB186_21:                             ;   in Loop: Header=BB186_22 Depth=1
	s_lshl_b32 s19, s18, 2
	s_add_i32 s19, s19, 0
	v_mov_b32_e32 v8, s19
	ds_write_b32 v8, v7
	v_mov_b32_e32 v8, s18
	v_cmp_eq_u32_e32 vcc, s16, v0
	s_add_i32 s16, s16, 1
	v_cndmask_b32_e32 v2, v2, v8, vcc
	s_cmp_eq_u32 s16, s17
	v_cndmask_b32_e32 v3, v3, v10, vcc
	s_cbranch_scc1 .LBB186_29
.LBB186_22:                             ; =>This Loop Header: Depth=1
                                        ;     Child Loop BB186_24 Depth 2
	v_mov_b32_e32 v8, s16
	v_mov_b32_e32 v9, 0xff800000
	s_and_saveexec_b64 s[18:19], s[0:1]
	s_cbranch_execz .LBB186_26
; %bb.23:                               ;   in Loop: Header=BB186_22 Depth=1
	s_load_dword s22, s[2:3], 0xc
	s_mov_b64 s[20:21], 0
	v_mov_b32_e32 v8, s16
	v_mov_b32_e32 v9, 0xff800000
	;; [unrolled: 1-line block ×3, first 2 shown]
	s_waitcnt lgkmcnt(0)
	s_and_b32 s22, s22, 0xffff
	s_lshl_b32 s23, s22, 2
	s_lshl_b32 s24, s22, 4
	v_mov_b32_e32 v11, v5
	v_mov_b32_e32 v12, v0
.LBB186_24:                             ;   Parent Loop BB186_22 Depth=1
                                        ; =>  This Inner Loop Header: Depth=2
	ds_read_b128 v[14:17], v10
	v_add_u32_e32 v12, s22, v12
	v_cmp_le_i32_e32 vcc, s7, v12
	s_or_b64 s[20:21], vcc, s[20:21]
	v_add_u32_e32 v13, 1, v11
	s_waitcnt lgkmcnt(0)
	v_cmp_gt_f32_e32 vcc, v14, v9
	v_cndmask_b32_e32 v9, v9, v14, vcc
	v_cndmask_b32_e32 v8, v8, v11, vcc
	v_cmp_gt_f32_e32 vcc, v15, v9
	v_cndmask_b32_e32 v9, v9, v15, vcc
	v_cndmask_b32_e32 v8, v8, v13, vcc
	v_cmp_gt_f32_e32 vcc, v16, v9
	v_add_u32_e32 v18, 2, v11
	v_cndmask_b32_e32 v9, v9, v16, vcc
	v_add_u32_e32 v19, 3, v11
	v_cndmask_b32_e32 v8, v8, v18, vcc
	v_cmp_gt_f32_e32 vcc, v17, v9
	v_add_u32_e32 v10, s24, v10
	v_add_u32_e32 v11, s23, v11
	v_cndmask_b32_e32 v9, v9, v17, vcc
	v_cndmask_b32_e32 v8, v8, v19, vcc
	s_andn2_b64 exec, exec, s[20:21]
	s_cbranch_execnz .LBB186_24
; %bb.25:                               ;   in Loop: Header=BB186_22 Depth=1
	s_or_b64 exec, exec, s[20:21]
.LBB186_26:                             ;   in Loop: Header=BB186_22 Depth=1
	s_or_b64 exec, exec, s[18:19]
	;;#ASMSTART
	v_max_f32 v10, v9, v9 quad_perm:[1,0,3,2] row_mask:0xf bank_mask:0xf bound_ctrl:1
	;;#ASMEND
	;;#ASMSTART
	v_max_f32 v11, v10, v10 quad_perm:[2,3,0,1] row_mask:0xf bank_mask:0xf bound_ctrl:1
	;;#ASMEND
	;;#ASMSTART
	v_max_f32 v10, v11, v11 row_half_mirror row_mask:0xf bank_mask:0xf bound_ctrl:1
	;;#ASMEND
	;;#ASMSTART
	v_max_f32 v11, v10, v10 row_mirror row_mask:0xf bank_mask:0xf bound_ctrl:1
	;;#ASMEND
	;;#ASMSTART
	v_max_f32 v10, v11, v11 row_ror:4 row_mask:0xf bank_mask:0xf bound_ctrl:1
	;;#ASMEND
	;;#ASMSTART
	v_max_f32 v11, v10, v10 row_ror:8 row_mask:0xf bank_mask:0xf bound_ctrl:1
	;;#ASMEND
	;;#ASMSTART
	v_max_f32 v10, v11, v11 row_bcast:15 row_mask:0xf bank_mask:0xf bound_ctrl:1
	;;#ASMEND
	;;#ASMSTART
	v_max_f32 v11, v10, v10 row_bcast:31 row_mask:0xf bank_mask:0xf bound_ctrl:1
	;;#ASMEND
	ds_bpermute_b32 v10, v4, v11
	s_waitcnt lgkmcnt(0)
	v_cmp_eq_f32_e32 vcc, v9, v10
	s_ff1_i32_b64 s18, vcc
	s_cmp_lg_u64 vcc, 0
	s_cselect_b32 s18, s18, 0
	s_and_b64 vcc, exec, s[8:9]
	v_readlane_b32 s18, v8, s18
	s_cbranch_vccz .LBB186_21
; %bb.27:                               ;   in Loop: Header=BB186_22 Depth=1
	s_ashr_i32 s19, s18, 31
	s_lshl_b64 s[20:21], s[18:19], 1
	s_add_u32 s20, s10, s20
	s_addc_u32 s21, s11, s21
	global_load_ushort v8, v6, s[20:21]
	s_waitcnt vmcnt(0)
	v_lshlrev_b32_e32 v8, 16, v8
	v_sub_f32_e32 v10, v10, v8
	s_branch .LBB186_21
.LBB186_28:
	v_mov_b32_e32 v3, 0
	v_mov_b32_e32 v2, 0
.LBB186_29:
	v_cmp_gt_i32_e32 vcc, s17, v0
	s_and_saveexec_b64 s[0:1], vcc
	s_cbranch_execz .LBB186_32
; %bb.30:
	s_load_dword s2, s[4:5], 0x34
	s_load_dwordx2 s[0:1], s[4:5], 0x20
	s_ashr_i32 s3, s6, 31
	s_load_dword s4, s[4:5], 0x44
	v_mov_b32_e32 v4, s13
	s_waitcnt lgkmcnt(0)
	v_mul_f32_e32 v1, s2, v3
	s_mul_i32 s1, s6, s1
	s_mul_hi_u32 s2, s6, s0
	s_add_i32 s1, s2, s1
	s_mul_i32 s3, s3, s0
	s_add_i32 s5, s1, s3
	s_mul_i32 s2, s6, s0
	s_and_b32 s3, s4, 0xffff
	s_mov_b64 s[0:1], 0
	v_mov_b32_e32 v3, s5
	v_mov_b32_e32 v5, s15
.LBB186_31:                             ; =>This Inner Loop Header: Depth=1
	v_ashrrev_i32_e32 v7, 31, v0
	v_add_co_u32_e32 v6, vcc, s2, v0
	v_addc_co_u32_e32 v7, vcc, v3, v7, vcc
	v_add_u32_e32 v0, s3, v0
	v_cmp_le_i32_e32 vcc, s17, v0
	v_lshlrev_b64 v[6:7], 2, v[6:7]
	s_or_b64 s[0:1], vcc, s[0:1]
	v_add_co_u32_e32 v8, vcc, s12, v6
	v_addc_co_u32_e32 v9, vcc, v4, v7, vcc
	v_add_co_u32_e32 v6, vcc, s14, v6
	v_addc_co_u32_e32 v7, vcc, v5, v7, vcc
	global_store_dword v[8:9], v1, off
	global_store_dword v[6:7], v2, off
	s_andn2_b64 exec, exec, s[0:1]
	s_cbranch_execnz .LBB186_31
.LBB186_32:
	s_endpgm
	.section	.rodata,"a",@progbits
	.p2align	6, 0x0
	.amdhsa_kernel _ZN5aiter20topk_softplus_kernelI6__half12hip_bfloat16Dv4_fLb0ELi2EEEvPKT_PKT0_PfPimiiif
		.amdhsa_group_segment_fixed_size 0
		.amdhsa_private_segment_fixed_size 0
		.amdhsa_kernarg_size 312
		.amdhsa_user_sgpr_count 6
		.amdhsa_user_sgpr_private_segment_buffer 1
		.amdhsa_user_sgpr_dispatch_ptr 0
		.amdhsa_user_sgpr_queue_ptr 0
		.amdhsa_user_sgpr_kernarg_segment_ptr 1
		.amdhsa_user_sgpr_dispatch_id 0
		.amdhsa_user_sgpr_flat_scratch_init 0
		.amdhsa_user_sgpr_kernarg_preload_length 0
		.amdhsa_user_sgpr_kernarg_preload_offset 0
		.amdhsa_user_sgpr_private_segment_size 0
		.amdhsa_uses_dynamic_stack 0
		.amdhsa_system_sgpr_private_segment_wavefront_offset 0
		.amdhsa_system_sgpr_workgroup_id_x 1
		.amdhsa_system_sgpr_workgroup_id_y 0
		.amdhsa_system_sgpr_workgroup_id_z 0
		.amdhsa_system_sgpr_workgroup_info 0
		.amdhsa_system_vgpr_workitem_id 0
		.amdhsa_next_free_vgpr 20
		.amdhsa_next_free_sgpr 26
		.amdhsa_accum_offset 20
		.amdhsa_reserve_vcc 1
		.amdhsa_reserve_flat_scratch 0
		.amdhsa_float_round_mode_32 0
		.amdhsa_float_round_mode_16_64 0
		.amdhsa_float_denorm_mode_32 3
		.amdhsa_float_denorm_mode_16_64 3
		.amdhsa_dx10_clamp 1
		.amdhsa_ieee_mode 1
		.amdhsa_fp16_overflow 0
		.amdhsa_tg_split 0
		.amdhsa_exception_fp_ieee_invalid_op 0
		.amdhsa_exception_fp_denorm_src 0
		.amdhsa_exception_fp_ieee_div_zero 0
		.amdhsa_exception_fp_ieee_overflow 0
		.amdhsa_exception_fp_ieee_underflow 0
		.amdhsa_exception_fp_ieee_inexact 0
		.amdhsa_exception_int_div_zero 0
	.end_amdhsa_kernel
	.section	.text._ZN5aiter20topk_softplus_kernelI6__half12hip_bfloat16Dv4_fLb0ELi2EEEvPKT_PKT0_PfPimiiif,"axG",@progbits,_ZN5aiter20topk_softplus_kernelI6__half12hip_bfloat16Dv4_fLb0ELi2EEEvPKT_PKT0_PfPimiiif,comdat
.Lfunc_end186:
	.size	_ZN5aiter20topk_softplus_kernelI6__half12hip_bfloat16Dv4_fLb0ELi2EEEvPKT_PKT0_PfPimiiif, .Lfunc_end186-_ZN5aiter20topk_softplus_kernelI6__half12hip_bfloat16Dv4_fLb0ELi2EEEvPKT_PKT0_PfPimiiif
                                        ; -- End function
	.section	.AMDGPU.csdata,"",@progbits
; Kernel info:
; codeLenInByte = 1732
; NumSgprs: 30
; NumVgprs: 20
; NumAgprs: 0
; TotalNumVgprs: 20
; ScratchSize: 0
; MemoryBound: 0
; FloatMode: 240
; IeeeMode: 1
; LDSByteSize: 0 bytes/workgroup (compile time only)
; SGPRBlocks: 3
; VGPRBlocks: 2
; NumSGPRsForWavesPerEU: 30
; NumVGPRsForWavesPerEU: 20
; AccumOffset: 20
; Occupancy: 8
; WaveLimiterHint : 0
; COMPUTE_PGM_RSRC2:SCRATCH_EN: 0
; COMPUTE_PGM_RSRC2:USER_SGPR: 6
; COMPUTE_PGM_RSRC2:TRAP_HANDLER: 0
; COMPUTE_PGM_RSRC2:TGID_X_EN: 1
; COMPUTE_PGM_RSRC2:TGID_Y_EN: 0
; COMPUTE_PGM_RSRC2:TGID_Z_EN: 0
; COMPUTE_PGM_RSRC2:TIDIG_COMP_CNT: 0
; COMPUTE_PGM_RSRC3_GFX90A:ACCUM_OFFSET: 4
; COMPUTE_PGM_RSRC3_GFX90A:TG_SPLIT: 0
	.section	.text._ZN5aiter20topk_softplus_kernelI6__half12hip_bfloat16Dv2_fLb1ELi2EEEvPKT_PKT0_PfPimiiif,"axG",@progbits,_ZN5aiter20topk_softplus_kernelI6__half12hip_bfloat16Dv2_fLb1ELi2EEEvPKT_PKT0_PfPimiiif,comdat
	.protected	_ZN5aiter20topk_softplus_kernelI6__half12hip_bfloat16Dv2_fLb1ELi2EEEvPKT_PKT0_PfPimiiif ; -- Begin function _ZN5aiter20topk_softplus_kernelI6__half12hip_bfloat16Dv2_fLb1ELi2EEEvPKT_PKT0_PfPimiiif
	.globl	_ZN5aiter20topk_softplus_kernelI6__half12hip_bfloat16Dv2_fLb1ELi2EEEvPKT_PKT0_PfPimiiif
	.p2align	8
	.type	_ZN5aiter20topk_softplus_kernelI6__half12hip_bfloat16Dv2_fLb1ELi2EEEvPKT_PKT0_PfPimiiif,@function
_ZN5aiter20topk_softplus_kernelI6__half12hip_bfloat16Dv2_fLb1ELi2EEEvPKT_PKT0_PfPimiiif: ; @_ZN5aiter20topk_softplus_kernelI6__half12hip_bfloat16Dv2_fLb1ELi2EEEvPKT_PKT0_PfPimiiif
; %bb.0:
	s_load_dwordx2 s[16:17], s[4:5], 0x28
	s_load_dwordx8 s[8:15], s[4:5], 0x0
	v_lshl_add_u32 v1, v0, 3, 0
	s_waitcnt lgkmcnt(0)
	s_lshr_b32 s0, s16, 31
	s_add_i32 s0, s16, s0
	s_mul_i32 s2, s6, s16
	s_ashr_i32 s7, s0, 1
	s_ashr_i32 s3, s2, 31
	v_cmp_gt_i32_e64 s[0:1], s7, v0
	s_and_saveexec_b64 s[18:19], s[0:1]
	s_cbranch_execz .LBB187_3
; %bb.1:
	s_load_dword s22, s[4:5], 0x44
	s_lshl_b64 s[20:21], s[2:3], 1
	v_lshlrev_b32_e32 v2, 2, v0
	s_mov_b32 s25, 0
	v_lshl_add_u32 v4, v0, 3, 0
	s_waitcnt lgkmcnt(0)
	s_and_b32 s22, s22, 0xffff
	s_add_u32 s20, s8, s20
	s_addc_u32 s21, s9, s21
	v_mov_b32_e32 v3, s21
	v_add_co_u32_e32 v2, vcc, s20, v2
	v_addc_co_u32_e32 v3, vcc, 0, v3, vcc
	s_lshl_b32 s23, s22, 2
	s_lshl_b32 s24, s22, 3
	s_mov_b64 s[20:21], 0
	v_mov_b32_e32 v5, s25
	v_mov_b32_e32 v6, v0
.LBB187_2:                              ; =>This Inner Loop Header: Depth=1
	global_load_dword v7, v[2:3], off
	v_add_co_u32_e32 v2, vcc, s23, v2
	v_add_u32_e32 v6, s22, v6
	v_addc_co_u32_e32 v3, vcc, v3, v5, vcc
	v_cmp_le_i32_e32 vcc, s7, v6
	s_or_b64 s[20:21], vcc, s[20:21]
	s_waitcnt vmcnt(0)
	v_cvt_f32_f16_sdwa v9, v7 dst_sel:DWORD dst_unused:UNUSED_PAD src0_sel:WORD_1
	v_cvt_f32_f16_e32 v8, v7
	ds_write_b64 v4, v[8:9]
	v_add_u32_e32 v4, s24, v4
	s_andn2_b64 exec, exec, s[20:21]
	s_cbranch_execnz .LBB187_2
.LBB187_3:
	s_or_b64 exec, exec, s[18:19]
	v_lshl_add_u32 v2, s7, 1, v0
	v_cmp_gt_i32_e32 vcc, s16, v2
	s_and_saveexec_b64 s[18:19], vcc
	s_cbranch_execz .LBB187_6
; %bb.4:
	s_load_dword s20, s[4:5], 0x44
	s_lshl_b64 s[2:3], s[2:3], 1
	s_add_u32 s8, s8, s2
	s_addc_u32 s21, s9, s3
	s_lshl_b32 s2, s7, 3
	s_waitcnt lgkmcnt(0)
	s_and_b32 s9, s20, 0xffff
	s_add_i32 s2, s2, 0
	v_lshl_add_u32 v4, v0, 2, s2
	s_lshl_b32 s20, s9, 2
	s_mov_b64 s[2:3], 0
	v_mov_b32_e32 v5, s21
.LBB187_5:                              ; =>This Inner Loop Header: Depth=1
	v_ashrrev_i32_e32 v3, 31, v2
	v_lshlrev_b64 v[6:7], 1, v[2:3]
	v_add_co_u32_e32 v6, vcc, s8, v6
	v_addc_co_u32_e32 v7, vcc, v5, v7, vcc
	global_load_ushort v3, v[6:7], off
	v_add_u32_e32 v2, s9, v2
	v_cmp_le_i32_e32 vcc, s16, v2
	s_or_b64 s[2:3], vcc, s[2:3]
	s_waitcnt vmcnt(0)
	v_cvt_f32_f16_e32 v3, v3
	ds_write_b32 v4, v3
	v_add_u32_e32 v4, s20, v4
	s_andn2_b64 exec, exec, s[2:3]
	s_cbranch_execnz .LBB187_5
.LBB187_6:
	s_or_b64 exec, exec, s[18:19]
	v_cmp_gt_i32_e32 vcc, s16, v0
	v_mov_b32_e32 v2, 0xff800000
	s_waitcnt lgkmcnt(0)
	s_barrier
	s_and_saveexec_b64 s[8:9], vcc
	s_cbranch_execz .LBB187_10
; %bb.7:
	s_load_dword s2, s[4:5], 0x44
	v_lshl_add_u32 v3, v0, 2, 0
	s_mov_b64 s[18:19], 0
	v_mov_b32_e32 v2, 0xff800000
	v_mov_b32_e32 v4, v0
	s_waitcnt lgkmcnt(0)
	s_and_b32 s20, s2, 0xffff
	s_lshl_b32 s21, s20, 2
.LBB187_8:                              ; =>This Inner Loop Header: Depth=1
	ds_read_b32 v5, v3
	v_add_u32_e32 v4, s20, v4
	v_max_f32_e32 v2, v2, v2
	v_cmp_le_i32_e64 s[2:3], s16, v4
	v_add_u32_e32 v3, s21, v3
	s_waitcnt lgkmcnt(0)
	v_max_f32_e32 v5, v5, v5
	s_or_b64 s[18:19], s[2:3], s[18:19]
	v_max_f32_e32 v2, v2, v5
	s_andn2_b64 exec, exec, s[18:19]
	s_cbranch_execnz .LBB187_8
; %bb.9:
	s_or_b64 exec, exec, s[18:19]
.LBB187_10:
	s_or_b64 exec, exec, s[8:9]
	;;#ASMSTART
	v_max_f32 v3, v2, v2 quad_perm:[1,0,3,2] row_mask:0xf bank_mask:0xf bound_ctrl:1
	;;#ASMEND
	;;#ASMSTART
	v_max_f32 v2, v3, v3 quad_perm:[2,3,0,1] row_mask:0xf bank_mask:0xf bound_ctrl:1
	;;#ASMEND
	;;#ASMSTART
	v_max_f32 v3, v2, v2 row_half_mirror row_mask:0xf bank_mask:0xf bound_ctrl:1
	;;#ASMEND
	;;#ASMSTART
	v_max_f32 v2, v3, v3 row_mirror row_mask:0xf bank_mask:0xf bound_ctrl:1
	;;#ASMEND
	;;#ASMSTART
	v_max_f32 v3, v2, v2 row_ror:4 row_mask:0xf bank_mask:0xf bound_ctrl:1
	;;#ASMEND
	;;#ASMSTART
	v_max_f32 v2, v3, v3 row_ror:8 row_mask:0xf bank_mask:0xf bound_ctrl:1
	;;#ASMEND
	;;#ASMSTART
	v_max_f32 v3, v2, v2 row_bcast:15 row_mask:0xf bank_mask:0xf bound_ctrl:1
	;;#ASMEND
	;;#ASMSTART
	v_max_f32 v2, v3, v3 row_bcast:31 row_mask:0xf bank_mask:0xf bound_ctrl:1
	;;#ASMEND
	v_mbcnt_lo_u32_b32 v3, -1, 0
	v_mbcnt_hi_u32_b32 v3, -1, v3
	v_bfrev_b32_e32 v4, 0.5
	v_lshl_or_b32 v4, v3, 2, v4
	ds_bpermute_b32 v3, v4, v2
	v_mov_b32_e32 v2, 0
	s_and_saveexec_b64 s[18:19], vcc
	s_cbranch_execz .LBB187_14
; %bb.11:
	s_load_dword s2, s[4:5], 0x44
	v_lshl_add_u32 v5, v0, 2, 0
	s_mov_b64 s[20:21], 0
	v_mov_b32_e32 v2, 0
	s_mov_b32 s22, 0xc2fc0000
	s_waitcnt lgkmcnt(0)
	s_and_b32 s23, s2, 0xffff
	s_lshl_b32 s24, s23, 2
	v_mov_b32_e32 v6, 0x42800000
	v_mov_b32_e32 v7, 0x1f800000
	;; [unrolled: 1-line block ×3, first 2 shown]
.LBB187_12:                             ; =>This Inner Loop Header: Depth=1
	ds_read_b32 v9, v5
	v_add_u32_e32 v8, s23, v8
	v_cmp_le_i32_e64 s[8:9], s16, v8
	s_or_b64 s[20:21], s[8:9], s[20:21]
	s_waitcnt lgkmcnt(0)
	v_sub_f32_e32 v9, v9, v3
	v_mul_f32_e32 v10, 0x3fb8aa3b, v9
	v_cmp_gt_f32_e64 s[2:3], s22, v10
	v_cndmask_b32_e64 v10, 0, v6, s[2:3]
	v_fmac_f32_e32 v10, 0x3fb8aa3b, v9
	v_exp_f32_e32 v9, v10
	v_cndmask_b32_e64 v10, 1.0, v7, s[2:3]
	v_mul_f32_e32 v11, v9, v10
	v_fmac_f32_e32 v2, v9, v10
	ds_write_b32 v5, v11
	v_add_u32_e32 v5, s24, v5
	s_andn2_b64 exec, exec, s[20:21]
	s_cbranch_execnz .LBB187_12
; %bb.13:
	s_or_b64 exec, exec, s[20:21]
.LBB187_14:
	s_or_b64 exec, exec, s[18:19]
	s_waitcnt lgkmcnt(0)
	v_mov_b32_dpp v3, v2 quad_perm:[1,0,3,2] row_mask:0xf bank_mask:0xf
	v_add_f32_e32 v2, v2, v3
	s_nop 1
	v_mov_b32_dpp v3, v2 quad_perm:[2,3,0,1] row_mask:0xf bank_mask:0xf
	v_add_f32_e32 v2, v2, v3
	s_nop 1
	v_mov_b32_dpp v3, v2 row_half_mirror row_mask:0xf bank_mask:0xf
	v_add_f32_e32 v2, v2, v3
	s_nop 1
	v_mov_b32_dpp v3, v2 row_mirror row_mask:0xf bank_mask:0xf
	v_add_f32_e32 v2, v2, v3
	s_nop 1
	v_mov_b32_dpp v3, v2 row_bcast:15 row_mask:0xf bank_mask:0xf
	v_add_f32_e32 v2, v2, v3
	s_nop 1
	v_mov_b32_dpp v3, v2 row_bcast:31 row_mask:0xf bank_mask:0xf
	v_add_f32_e32 v2, v2, v3
	ds_bpermute_b32 v2, v4, v2
	s_and_saveexec_b64 s[8:9], vcc
	s_cbranch_execz .LBB187_19
; %bb.15:
	s_load_dword s20, s[4:5], 0x44
	s_waitcnt lgkmcnt(0)
	v_rcp_f32_e32 v5, v2
	s_cmp_lg_u64 s[10:11], 0
	s_cselect_b64 s[2:3], -1, 0
	v_cndmask_b32_e64 v2, 0, 1, s[2:3]
	s_and_b32 s20, s20, 0xffff
	s_mov_b64 s[18:19], 0
	v_lshl_add_u32 v6, v0, 2, 0
	s_lshl_b32 s21, s20, 2
	v_cmp_ne_u32_e64 s[2:3], 1, v2
	v_mov_b32_e32 v2, v0
	s_branch .LBB187_17
.LBB187_16:                             ;   in Loop: Header=BB187_17 Depth=1
	v_add_u32_e32 v2, s20, v2
	v_cmp_le_i32_e32 vcc, s16, v2
	s_or_b64 s[18:19], vcc, s[18:19]
	v_add_u32_e32 v6, s21, v6
	s_andn2_b64 exec, exec, s[18:19]
	s_cbranch_execz .LBB187_19
.LBB187_17:                             ; =>This Inner Loop Header: Depth=1
	ds_read_b32 v3, v6
	s_and_b64 vcc, exec, s[2:3]
	s_waitcnt lgkmcnt(0)
	v_mul_f32_e32 v7, v5, v3
	ds_write_b32 v6, v7
	s_cbranch_vccnz .LBB187_16
; %bb.18:                               ;   in Loop: Header=BB187_17 Depth=1
	v_ashrrev_i32_e32 v3, 31, v2
	v_lshlrev_b64 v[8:9], 1, v[2:3]
	v_mov_b32_e32 v3, s11
	v_add_co_u32_e32 v8, vcc, s10, v8
	v_addc_co_u32_e32 v9, vcc, v3, v9, vcc
	global_load_ushort v3, v[8:9], off
	s_waitcnt vmcnt(0)
	v_lshlrev_b32_e32 v3, 16, v3
	v_add_f32_e32 v3, v7, v3
	ds_write_b32 v6, v3
	s_branch .LBB187_16
.LBB187_19:
	s_or_b64 exec, exec, s[8:9]
	s_cmp_lt_i32 s17, 1
	v_mov_b32_e32 v3, 0
	s_waitcnt lgkmcnt(0)
	s_barrier
	s_cbranch_scc1 .LBB187_28
; %bb.20:
	s_add_u32 s2, s4, 56
	s_addc_u32 s3, s5, 0
	s_cmp_lg_u64 s[10:11], 0
	s_cselect_b64 s[8:9], -1, 0
	v_lshlrev_b32_e32 v6, 1, v0
	s_mov_b32 s16, 0
	v_mov_b32_e32 v3, 0
	v_mov_b32_e32 v7, 0
	;; [unrolled: 1-line block ×5, first 2 shown]
	s_branch .LBB187_22
.LBB187_21:                             ;   in Loop: Header=BB187_22 Depth=1
	s_lshl_b32 s19, s18, 2
	s_add_i32 s19, s19, 0
	v_mov_b32_e32 v9, s19
	ds_write_b32 v9, v8
	v_mov_b32_e32 v9, s18
	v_cmp_eq_u32_e32 vcc, s16, v0
	s_add_i32 s16, s16, 1
	v_cndmask_b32_e32 v2, v2, v9, vcc
	v_cndmask_b32_e32 v3, v3, v11, vcc
	s_cmp_eq_u32 s16, s17
	v_add_f32_e32 v5, v5, v11
	s_cbranch_scc1 .LBB187_29
.LBB187_22:                             ; =>This Loop Header: Depth=1
                                        ;     Child Loop BB187_24 Depth 2
	v_mov_b32_e32 v9, s16
	v_mov_b32_e32 v10, 0xff800000
	s_and_saveexec_b64 s[18:19], s[0:1]
	s_cbranch_execz .LBB187_26
; %bb.23:                               ;   in Loop: Header=BB187_22 Depth=1
	s_load_dword s22, s[2:3], 0xc
	s_mov_b64 s[20:21], 0
	v_mov_b32_e32 v9, s16
	v_mov_b32_e32 v10, 0xff800000
	;; [unrolled: 1-line block ×3, first 2 shown]
	s_waitcnt lgkmcnt(0)
	s_and_b32 s22, s22, 0xffff
	s_lshl_b32 s23, s22, 1
	s_lshl_b32 s24, s22, 3
	v_mov_b32_e32 v12, v6
	v_mov_b32_e32 v13, v0
.LBB187_24:                             ;   Parent Loop BB187_22 Depth=1
                                        ; =>  This Inner Loop Header: Depth=2
	ds_read_b64 v[14:15], v11
	v_add_u32_e32 v13, s22, v13
	v_cmp_le_i32_e32 vcc, s7, v13
	s_or_b64 s[20:21], vcc, s[20:21]
	v_add_u32_e32 v16, 1, v12
	s_waitcnt lgkmcnt(0)
	v_cmp_gt_f32_e32 vcc, v14, v10
	v_cndmask_b32_e32 v10, v10, v14, vcc
	v_cndmask_b32_e32 v9, v9, v12, vcc
	v_cmp_gt_f32_e32 vcc, v15, v10
	v_add_u32_e32 v11, s24, v11
	v_cndmask_b32_e32 v10, v10, v15, vcc
	v_add_u32_e32 v12, s23, v12
	v_cndmask_b32_e32 v9, v9, v16, vcc
	s_andn2_b64 exec, exec, s[20:21]
	s_cbranch_execnz .LBB187_24
; %bb.25:                               ;   in Loop: Header=BB187_22 Depth=1
	s_or_b64 exec, exec, s[20:21]
.LBB187_26:                             ;   in Loop: Header=BB187_22 Depth=1
	s_or_b64 exec, exec, s[18:19]
	;;#ASMSTART
	v_max_f32 v11, v10, v10 quad_perm:[1,0,3,2] row_mask:0xf bank_mask:0xf bound_ctrl:1
	;;#ASMEND
	;;#ASMSTART
	v_max_f32 v12, v11, v11 quad_perm:[2,3,0,1] row_mask:0xf bank_mask:0xf bound_ctrl:1
	;;#ASMEND
	;;#ASMSTART
	v_max_f32 v11, v12, v12 row_half_mirror row_mask:0xf bank_mask:0xf bound_ctrl:1
	;;#ASMEND
	;;#ASMSTART
	v_max_f32 v12, v11, v11 row_mirror row_mask:0xf bank_mask:0xf bound_ctrl:1
	;;#ASMEND
	;;#ASMSTART
	v_max_f32 v11, v12, v12 row_ror:4 row_mask:0xf bank_mask:0xf bound_ctrl:1
	;;#ASMEND
	;;#ASMSTART
	v_max_f32 v12, v11, v11 row_ror:8 row_mask:0xf bank_mask:0xf bound_ctrl:1
	;;#ASMEND
	;;#ASMSTART
	v_max_f32 v11, v12, v12 row_bcast:15 row_mask:0xf bank_mask:0xf bound_ctrl:1
	;;#ASMEND
	;;#ASMSTART
	v_max_f32 v12, v11, v11 row_bcast:31 row_mask:0xf bank_mask:0xf bound_ctrl:1
	;;#ASMEND
	ds_bpermute_b32 v11, v4, v12
	s_waitcnt lgkmcnt(0)
	v_cmp_eq_f32_e32 vcc, v10, v11
	s_ff1_i32_b64 s18, vcc
	s_cmp_lg_u64 vcc, 0
	s_cselect_b32 s18, s18, 0
	s_and_b64 vcc, exec, s[8:9]
	v_readlane_b32 s18, v9, s18
	s_cbranch_vccz .LBB187_21
; %bb.27:                               ;   in Loop: Header=BB187_22 Depth=1
	s_ashr_i32 s19, s18, 31
	s_lshl_b64 s[20:21], s[18:19], 1
	s_add_u32 s20, s10, s20
	s_addc_u32 s21, s11, s21
	global_load_ushort v9, v7, s[20:21]
	s_waitcnt vmcnt(0)
	v_lshlrev_b32_e32 v9, 16, v9
	v_sub_f32_e32 v11, v11, v9
	s_branch .LBB187_21
.LBB187_28:
	v_mov_b32_e32 v2, 0
	v_mov_b32_e32 v5, 0
.LBB187_29:
	v_cmp_gt_i32_e32 vcc, s17, v0
	s_and_saveexec_b64 s[0:1], vcc
	s_cbranch_execz .LBB187_32
; %bb.30:
	s_load_dword s2, s[4:5], 0x34
	v_max_f32_e32 v1, v5, v5
	v_max_f32_e32 v1, 0x1e3ce508, v1
	s_load_dword s3, s[4:5], 0x44
	s_waitcnt lgkmcnt(0)
	v_div_scale_f32 v4, s[0:1], v1, v1, s2
	s_load_dwordx2 s[0:1], s[4:5], 0x20
	v_rcp_f32_e32 v5, v4
	v_div_scale_f32 v6, vcc, s2, v1, s2
	s_and_b32 s3, s3, 0xffff
	v_fma_f32 v7, -v4, v5, 1.0
	v_fmac_f32_e32 v5, v7, v5
	v_mul_f32_e32 v7, v6, v5
	v_fma_f32 v8, -v4, v7, v6
	v_fmac_f32_e32 v7, v8, v5
	v_fma_f32 v4, -v4, v7, v6
	v_div_fmas_f32 v4, v4, v5, v7
	v_div_fixup_f32 v1, v4, v1, s2
	s_ashr_i32 s2, s6, 31
	s_waitcnt lgkmcnt(0)
	s_mul_i32 s1, s6, s1
	s_mul_hi_u32 s4, s6, s0
	s_add_i32 s1, s4, s1
	s_mul_i32 s2, s2, s0
	s_add_i32 s4, s1, s2
	v_mul_f32_e32 v1, v3, v1
	s_mul_i32 s2, s6, s0
	s_mov_b64 s[0:1], 0
	v_mov_b32_e32 v3, s4
	v_mov_b32_e32 v4, s13
	;; [unrolled: 1-line block ×3, first 2 shown]
.LBB187_31:                             ; =>This Inner Loop Header: Depth=1
	v_ashrrev_i32_e32 v7, 31, v0
	v_add_co_u32_e32 v6, vcc, s2, v0
	v_addc_co_u32_e32 v7, vcc, v3, v7, vcc
	v_add_u32_e32 v0, s3, v0
	v_cmp_le_i32_e32 vcc, s17, v0
	v_lshlrev_b64 v[6:7], 2, v[6:7]
	s_or_b64 s[0:1], vcc, s[0:1]
	v_add_co_u32_e32 v8, vcc, s12, v6
	v_addc_co_u32_e32 v9, vcc, v4, v7, vcc
	v_add_co_u32_e32 v6, vcc, s14, v6
	v_addc_co_u32_e32 v7, vcc, v5, v7, vcc
	global_store_dword v[8:9], v1, off
	global_store_dword v[6:7], v2, off
	s_andn2_b64 exec, exec, s[0:1]
	s_cbranch_execnz .LBB187_31
.LBB187_32:
	s_endpgm
	.section	.rodata,"a",@progbits
	.p2align	6, 0x0
	.amdhsa_kernel _ZN5aiter20topk_softplus_kernelI6__half12hip_bfloat16Dv2_fLb1ELi2EEEvPKT_PKT0_PfPimiiif
		.amdhsa_group_segment_fixed_size 0
		.amdhsa_private_segment_fixed_size 0
		.amdhsa_kernarg_size 312
		.amdhsa_user_sgpr_count 6
		.amdhsa_user_sgpr_private_segment_buffer 1
		.amdhsa_user_sgpr_dispatch_ptr 0
		.amdhsa_user_sgpr_queue_ptr 0
		.amdhsa_user_sgpr_kernarg_segment_ptr 1
		.amdhsa_user_sgpr_dispatch_id 0
		.amdhsa_user_sgpr_flat_scratch_init 0
		.amdhsa_user_sgpr_kernarg_preload_length 0
		.amdhsa_user_sgpr_kernarg_preload_offset 0
		.amdhsa_user_sgpr_private_segment_size 0
		.amdhsa_uses_dynamic_stack 0
		.amdhsa_system_sgpr_private_segment_wavefront_offset 0
		.amdhsa_system_sgpr_workgroup_id_x 1
		.amdhsa_system_sgpr_workgroup_id_y 0
		.amdhsa_system_sgpr_workgroup_id_z 0
		.amdhsa_system_sgpr_workgroup_info 0
		.amdhsa_system_vgpr_workitem_id 0
		.amdhsa_next_free_vgpr 17
		.amdhsa_next_free_sgpr 26
		.amdhsa_accum_offset 20
		.amdhsa_reserve_vcc 1
		.amdhsa_reserve_flat_scratch 0
		.amdhsa_float_round_mode_32 0
		.amdhsa_float_round_mode_16_64 0
		.amdhsa_float_denorm_mode_32 3
		.amdhsa_float_denorm_mode_16_64 3
		.amdhsa_dx10_clamp 1
		.amdhsa_ieee_mode 1
		.amdhsa_fp16_overflow 0
		.amdhsa_tg_split 0
		.amdhsa_exception_fp_ieee_invalid_op 0
		.amdhsa_exception_fp_denorm_src 0
		.amdhsa_exception_fp_ieee_div_zero 0
		.amdhsa_exception_fp_ieee_overflow 0
		.amdhsa_exception_fp_ieee_underflow 0
		.amdhsa_exception_fp_ieee_inexact 0
		.amdhsa_exception_int_div_zero 0
	.end_amdhsa_kernel
	.section	.text._ZN5aiter20topk_softplus_kernelI6__half12hip_bfloat16Dv2_fLb1ELi2EEEvPKT_PKT0_PfPimiiif,"axG",@progbits,_ZN5aiter20topk_softplus_kernelI6__half12hip_bfloat16Dv2_fLb1ELi2EEEvPKT_PKT0_PfPimiiif,comdat
.Lfunc_end187:
	.size	_ZN5aiter20topk_softplus_kernelI6__half12hip_bfloat16Dv2_fLb1ELi2EEEvPKT_PKT0_PfPimiiif, .Lfunc_end187-_ZN5aiter20topk_softplus_kernelI6__half12hip_bfloat16Dv2_fLb1ELi2EEEvPKT_PKT0_PfPimiiif
                                        ; -- End function
	.section	.AMDGPU.csdata,"",@progbits
; Kernel info:
; codeLenInByte = 1784
; NumSgprs: 30
; NumVgprs: 17
; NumAgprs: 0
; TotalNumVgprs: 17
; ScratchSize: 0
; MemoryBound: 0
; FloatMode: 240
; IeeeMode: 1
; LDSByteSize: 0 bytes/workgroup (compile time only)
; SGPRBlocks: 3
; VGPRBlocks: 2
; NumSGPRsForWavesPerEU: 30
; NumVGPRsForWavesPerEU: 17
; AccumOffset: 20
; Occupancy: 8
; WaveLimiterHint : 0
; COMPUTE_PGM_RSRC2:SCRATCH_EN: 0
; COMPUTE_PGM_RSRC2:USER_SGPR: 6
; COMPUTE_PGM_RSRC2:TRAP_HANDLER: 0
; COMPUTE_PGM_RSRC2:TGID_X_EN: 1
; COMPUTE_PGM_RSRC2:TGID_Y_EN: 0
; COMPUTE_PGM_RSRC2:TGID_Z_EN: 0
; COMPUTE_PGM_RSRC2:TIDIG_COMP_CNT: 0
; COMPUTE_PGM_RSRC3_GFX90A:ACCUM_OFFSET: 4
; COMPUTE_PGM_RSRC3_GFX90A:TG_SPLIT: 0
	.section	.text._ZN5aiter20topk_softplus_kernelI6__half12hip_bfloat16Dv2_fLb0ELi2EEEvPKT_PKT0_PfPimiiif,"axG",@progbits,_ZN5aiter20topk_softplus_kernelI6__half12hip_bfloat16Dv2_fLb0ELi2EEEvPKT_PKT0_PfPimiiif,comdat
	.protected	_ZN5aiter20topk_softplus_kernelI6__half12hip_bfloat16Dv2_fLb0ELi2EEEvPKT_PKT0_PfPimiiif ; -- Begin function _ZN5aiter20topk_softplus_kernelI6__half12hip_bfloat16Dv2_fLb0ELi2EEEvPKT_PKT0_PfPimiiif
	.globl	_ZN5aiter20topk_softplus_kernelI6__half12hip_bfloat16Dv2_fLb0ELi2EEEvPKT_PKT0_PfPimiiif
	.p2align	8
	.type	_ZN5aiter20topk_softplus_kernelI6__half12hip_bfloat16Dv2_fLb0ELi2EEEvPKT_PKT0_PfPimiiif,@function
_ZN5aiter20topk_softplus_kernelI6__half12hip_bfloat16Dv2_fLb0ELi2EEEvPKT_PKT0_PfPimiiif: ; @_ZN5aiter20topk_softplus_kernelI6__half12hip_bfloat16Dv2_fLb0ELi2EEEvPKT_PKT0_PfPimiiif
; %bb.0:
	s_load_dwordx2 s[16:17], s[4:5], 0x28
	s_load_dwordx8 s[8:15], s[4:5], 0x0
	v_lshl_add_u32 v1, v0, 3, 0
	s_waitcnt lgkmcnt(0)
	s_lshr_b32 s0, s16, 31
	s_add_i32 s0, s16, s0
	s_mul_i32 s2, s6, s16
	s_ashr_i32 s7, s0, 1
	s_ashr_i32 s3, s2, 31
	v_cmp_gt_i32_e64 s[0:1], s7, v0
	s_and_saveexec_b64 s[18:19], s[0:1]
	s_cbranch_execz .LBB188_3
; %bb.1:
	s_load_dword s22, s[4:5], 0x44
	s_lshl_b64 s[20:21], s[2:3], 1
	v_lshlrev_b32_e32 v2, 2, v0
	s_mov_b32 s25, 0
	v_lshl_add_u32 v4, v0, 3, 0
	s_waitcnt lgkmcnt(0)
	s_and_b32 s22, s22, 0xffff
	s_add_u32 s20, s8, s20
	s_addc_u32 s21, s9, s21
	v_mov_b32_e32 v3, s21
	v_add_co_u32_e32 v2, vcc, s20, v2
	v_addc_co_u32_e32 v3, vcc, 0, v3, vcc
	s_lshl_b32 s23, s22, 2
	s_lshl_b32 s24, s22, 3
	s_mov_b64 s[20:21], 0
	v_mov_b32_e32 v5, s25
	v_mov_b32_e32 v6, v0
.LBB188_2:                              ; =>This Inner Loop Header: Depth=1
	global_load_dword v7, v[2:3], off
	v_add_co_u32_e32 v2, vcc, s23, v2
	v_add_u32_e32 v6, s22, v6
	v_addc_co_u32_e32 v3, vcc, v3, v5, vcc
	v_cmp_le_i32_e32 vcc, s7, v6
	s_or_b64 s[20:21], vcc, s[20:21]
	s_waitcnt vmcnt(0)
	v_cvt_f32_f16_sdwa v9, v7 dst_sel:DWORD dst_unused:UNUSED_PAD src0_sel:WORD_1
	v_cvt_f32_f16_e32 v8, v7
	ds_write_b64 v4, v[8:9]
	v_add_u32_e32 v4, s24, v4
	s_andn2_b64 exec, exec, s[20:21]
	s_cbranch_execnz .LBB188_2
.LBB188_3:
	s_or_b64 exec, exec, s[18:19]
	v_lshl_add_u32 v2, s7, 1, v0
	v_cmp_gt_i32_e32 vcc, s16, v2
	s_and_saveexec_b64 s[18:19], vcc
	s_cbranch_execz .LBB188_6
; %bb.4:
	s_load_dword s20, s[4:5], 0x44
	s_lshl_b64 s[2:3], s[2:3], 1
	s_add_u32 s8, s8, s2
	s_addc_u32 s21, s9, s3
	s_lshl_b32 s2, s7, 3
	s_waitcnt lgkmcnt(0)
	s_and_b32 s9, s20, 0xffff
	s_add_i32 s2, s2, 0
	v_lshl_add_u32 v4, v0, 2, s2
	s_lshl_b32 s20, s9, 2
	s_mov_b64 s[2:3], 0
	v_mov_b32_e32 v5, s21
.LBB188_5:                              ; =>This Inner Loop Header: Depth=1
	v_ashrrev_i32_e32 v3, 31, v2
	v_lshlrev_b64 v[6:7], 1, v[2:3]
	v_add_co_u32_e32 v6, vcc, s8, v6
	v_addc_co_u32_e32 v7, vcc, v5, v7, vcc
	global_load_ushort v3, v[6:7], off
	v_add_u32_e32 v2, s9, v2
	v_cmp_le_i32_e32 vcc, s16, v2
	s_or_b64 s[2:3], vcc, s[2:3]
	s_waitcnt vmcnt(0)
	v_cvt_f32_f16_e32 v3, v3
	ds_write_b32 v4, v3
	v_add_u32_e32 v4, s20, v4
	s_andn2_b64 exec, exec, s[2:3]
	s_cbranch_execnz .LBB188_5
.LBB188_6:
	s_or_b64 exec, exec, s[18:19]
	v_cmp_gt_i32_e32 vcc, s16, v0
	v_mov_b32_e32 v2, 0xff800000
	s_waitcnt lgkmcnt(0)
	s_barrier
	s_and_saveexec_b64 s[8:9], vcc
	s_cbranch_execz .LBB188_10
; %bb.7:
	s_load_dword s2, s[4:5], 0x44
	v_lshl_add_u32 v3, v0, 2, 0
	s_mov_b64 s[18:19], 0
	v_mov_b32_e32 v2, 0xff800000
	v_mov_b32_e32 v4, v0
	s_waitcnt lgkmcnt(0)
	s_and_b32 s20, s2, 0xffff
	s_lshl_b32 s21, s20, 2
.LBB188_8:                              ; =>This Inner Loop Header: Depth=1
	ds_read_b32 v5, v3
	v_add_u32_e32 v4, s20, v4
	v_max_f32_e32 v2, v2, v2
	v_cmp_le_i32_e64 s[2:3], s16, v4
	v_add_u32_e32 v3, s21, v3
	s_waitcnt lgkmcnt(0)
	v_max_f32_e32 v5, v5, v5
	s_or_b64 s[18:19], s[2:3], s[18:19]
	v_max_f32_e32 v2, v2, v5
	s_andn2_b64 exec, exec, s[18:19]
	s_cbranch_execnz .LBB188_8
; %bb.9:
	s_or_b64 exec, exec, s[18:19]
.LBB188_10:
	s_or_b64 exec, exec, s[8:9]
	;;#ASMSTART
	v_max_f32 v3, v2, v2 quad_perm:[1,0,3,2] row_mask:0xf bank_mask:0xf bound_ctrl:1
	;;#ASMEND
	;;#ASMSTART
	v_max_f32 v2, v3, v3 quad_perm:[2,3,0,1] row_mask:0xf bank_mask:0xf bound_ctrl:1
	;;#ASMEND
	;;#ASMSTART
	v_max_f32 v3, v2, v2 row_half_mirror row_mask:0xf bank_mask:0xf bound_ctrl:1
	;;#ASMEND
	;;#ASMSTART
	v_max_f32 v2, v3, v3 row_mirror row_mask:0xf bank_mask:0xf bound_ctrl:1
	;;#ASMEND
	;;#ASMSTART
	v_max_f32 v3, v2, v2 row_ror:4 row_mask:0xf bank_mask:0xf bound_ctrl:1
	;;#ASMEND
	;;#ASMSTART
	v_max_f32 v2, v3, v3 row_ror:8 row_mask:0xf bank_mask:0xf bound_ctrl:1
	;;#ASMEND
	;;#ASMSTART
	v_max_f32 v3, v2, v2 row_bcast:15 row_mask:0xf bank_mask:0xf bound_ctrl:1
	;;#ASMEND
	;;#ASMSTART
	v_max_f32 v2, v3, v3 row_bcast:31 row_mask:0xf bank_mask:0xf bound_ctrl:1
	;;#ASMEND
	v_mbcnt_lo_u32_b32 v3, -1, 0
	v_mbcnt_hi_u32_b32 v3, -1, v3
	v_bfrev_b32_e32 v4, 0.5
	v_lshl_or_b32 v4, v3, 2, v4
	ds_bpermute_b32 v3, v4, v2
	v_mov_b32_e32 v2, 0
	s_and_saveexec_b64 s[18:19], vcc
	s_cbranch_execz .LBB188_14
; %bb.11:
	s_load_dword s2, s[4:5], 0x44
	v_lshl_add_u32 v5, v0, 2, 0
	s_mov_b64 s[20:21], 0
	v_mov_b32_e32 v2, 0
	s_mov_b32 s22, 0xc2fc0000
	s_waitcnt lgkmcnt(0)
	s_and_b32 s23, s2, 0xffff
	s_lshl_b32 s24, s23, 2
	v_mov_b32_e32 v6, 0x42800000
	v_mov_b32_e32 v7, 0x1f800000
	;; [unrolled: 1-line block ×3, first 2 shown]
.LBB188_12:                             ; =>This Inner Loop Header: Depth=1
	ds_read_b32 v9, v5
	v_add_u32_e32 v8, s23, v8
	v_cmp_le_i32_e64 s[8:9], s16, v8
	s_or_b64 s[20:21], s[8:9], s[20:21]
	s_waitcnt lgkmcnt(0)
	v_sub_f32_e32 v9, v9, v3
	v_mul_f32_e32 v10, 0x3fb8aa3b, v9
	v_cmp_gt_f32_e64 s[2:3], s22, v10
	v_cndmask_b32_e64 v10, 0, v6, s[2:3]
	v_fmac_f32_e32 v10, 0x3fb8aa3b, v9
	v_exp_f32_e32 v9, v10
	v_cndmask_b32_e64 v10, 1.0, v7, s[2:3]
	v_mul_f32_e32 v11, v9, v10
	v_fmac_f32_e32 v2, v9, v10
	ds_write_b32 v5, v11
	v_add_u32_e32 v5, s24, v5
	s_andn2_b64 exec, exec, s[20:21]
	s_cbranch_execnz .LBB188_12
; %bb.13:
	s_or_b64 exec, exec, s[20:21]
.LBB188_14:
	s_or_b64 exec, exec, s[18:19]
	s_waitcnt lgkmcnt(0)
	v_mov_b32_dpp v3, v2 quad_perm:[1,0,3,2] row_mask:0xf bank_mask:0xf
	v_add_f32_e32 v2, v2, v3
	s_nop 1
	v_mov_b32_dpp v3, v2 quad_perm:[2,3,0,1] row_mask:0xf bank_mask:0xf
	v_add_f32_e32 v2, v2, v3
	s_nop 1
	v_mov_b32_dpp v3, v2 row_half_mirror row_mask:0xf bank_mask:0xf
	v_add_f32_e32 v2, v2, v3
	s_nop 1
	v_mov_b32_dpp v3, v2 row_mirror row_mask:0xf bank_mask:0xf
	v_add_f32_e32 v2, v2, v3
	s_nop 1
	v_mov_b32_dpp v3, v2 row_bcast:15 row_mask:0xf bank_mask:0xf
	v_add_f32_e32 v2, v2, v3
	s_nop 1
	v_mov_b32_dpp v3, v2 row_bcast:31 row_mask:0xf bank_mask:0xf
	v_add_f32_e32 v2, v2, v3
	ds_bpermute_b32 v2, v4, v2
	s_and_saveexec_b64 s[8:9], vcc
	s_cbranch_execz .LBB188_19
; %bb.15:
	s_load_dword s20, s[4:5], 0x44
	s_waitcnt lgkmcnt(0)
	v_rcp_f32_e32 v5, v2
	s_cmp_lg_u64 s[10:11], 0
	s_cselect_b64 s[2:3], -1, 0
	v_cndmask_b32_e64 v2, 0, 1, s[2:3]
	s_and_b32 s20, s20, 0xffff
	s_mov_b64 s[18:19], 0
	v_lshl_add_u32 v6, v0, 2, 0
	s_lshl_b32 s21, s20, 2
	v_cmp_ne_u32_e64 s[2:3], 1, v2
	v_mov_b32_e32 v2, v0
	s_branch .LBB188_17
.LBB188_16:                             ;   in Loop: Header=BB188_17 Depth=1
	v_add_u32_e32 v2, s20, v2
	v_cmp_le_i32_e32 vcc, s16, v2
	s_or_b64 s[18:19], vcc, s[18:19]
	v_add_u32_e32 v6, s21, v6
	s_andn2_b64 exec, exec, s[18:19]
	s_cbranch_execz .LBB188_19
.LBB188_17:                             ; =>This Inner Loop Header: Depth=1
	ds_read_b32 v3, v6
	s_and_b64 vcc, exec, s[2:3]
	s_waitcnt lgkmcnt(0)
	v_mul_f32_e32 v7, v5, v3
	ds_write_b32 v6, v7
	s_cbranch_vccnz .LBB188_16
; %bb.18:                               ;   in Loop: Header=BB188_17 Depth=1
	v_ashrrev_i32_e32 v3, 31, v2
	v_lshlrev_b64 v[8:9], 1, v[2:3]
	v_mov_b32_e32 v3, s11
	v_add_co_u32_e32 v8, vcc, s10, v8
	v_addc_co_u32_e32 v9, vcc, v3, v9, vcc
	global_load_ushort v3, v[8:9], off
	s_waitcnt vmcnt(0)
	v_lshlrev_b32_e32 v3, 16, v3
	v_add_f32_e32 v3, v7, v3
	ds_write_b32 v6, v3
	s_branch .LBB188_16
.LBB188_19:
	s_or_b64 exec, exec, s[8:9]
	s_cmp_lt_i32 s17, 1
	s_waitcnt lgkmcnt(0)
	s_barrier
	s_cbranch_scc1 .LBB188_28
; %bb.20:
	s_add_u32 s2, s4, 56
	s_addc_u32 s3, s5, 0
	s_cmp_lg_u64 s[10:11], 0
	s_cselect_b64 s[8:9], -1, 0
	v_lshlrev_b32_e32 v5, 1, v0
	s_mov_b32 s16, 0
	v_mov_b32_e32 v2, 0
	v_mov_b32_e32 v6, 0
	;; [unrolled: 1-line block ×4, first 2 shown]
	s_branch .LBB188_22
.LBB188_21:                             ;   in Loop: Header=BB188_22 Depth=1
	s_lshl_b32 s19, s18, 2
	s_add_i32 s19, s19, 0
	v_mov_b32_e32 v8, s19
	ds_write_b32 v8, v7
	v_mov_b32_e32 v8, s18
	v_cmp_eq_u32_e32 vcc, s16, v0
	s_add_i32 s16, s16, 1
	v_cndmask_b32_e32 v2, v2, v8, vcc
	s_cmp_eq_u32 s16, s17
	v_cndmask_b32_e32 v3, v3, v10, vcc
	s_cbranch_scc1 .LBB188_29
.LBB188_22:                             ; =>This Loop Header: Depth=1
                                        ;     Child Loop BB188_24 Depth 2
	v_mov_b32_e32 v8, s16
	v_mov_b32_e32 v9, 0xff800000
	s_and_saveexec_b64 s[18:19], s[0:1]
	s_cbranch_execz .LBB188_26
; %bb.23:                               ;   in Loop: Header=BB188_22 Depth=1
	s_load_dword s22, s[2:3], 0xc
	s_mov_b64 s[20:21], 0
	v_mov_b32_e32 v8, s16
	v_mov_b32_e32 v9, 0xff800000
	;; [unrolled: 1-line block ×3, first 2 shown]
	s_waitcnt lgkmcnt(0)
	s_and_b32 s22, s22, 0xffff
	s_lshl_b32 s23, s22, 1
	s_lshl_b32 s24, s22, 3
	v_mov_b32_e32 v11, v5
	v_mov_b32_e32 v12, v0
.LBB188_24:                             ;   Parent Loop BB188_22 Depth=1
                                        ; =>  This Inner Loop Header: Depth=2
	ds_read_b64 v[14:15], v10
	v_add_u32_e32 v12, s22, v12
	v_cmp_le_i32_e32 vcc, s7, v12
	s_or_b64 s[20:21], vcc, s[20:21]
	v_add_u32_e32 v13, 1, v11
	s_waitcnt lgkmcnt(0)
	v_cmp_gt_f32_e32 vcc, v14, v9
	v_cndmask_b32_e32 v9, v9, v14, vcc
	v_cndmask_b32_e32 v8, v8, v11, vcc
	v_cmp_gt_f32_e32 vcc, v15, v9
	v_add_u32_e32 v10, s24, v10
	v_cndmask_b32_e32 v9, v9, v15, vcc
	v_add_u32_e32 v11, s23, v11
	v_cndmask_b32_e32 v8, v8, v13, vcc
	s_andn2_b64 exec, exec, s[20:21]
	s_cbranch_execnz .LBB188_24
; %bb.25:                               ;   in Loop: Header=BB188_22 Depth=1
	s_or_b64 exec, exec, s[20:21]
.LBB188_26:                             ;   in Loop: Header=BB188_22 Depth=1
	s_or_b64 exec, exec, s[18:19]
	;;#ASMSTART
	v_max_f32 v10, v9, v9 quad_perm:[1,0,3,2] row_mask:0xf bank_mask:0xf bound_ctrl:1
	;;#ASMEND
	;;#ASMSTART
	v_max_f32 v11, v10, v10 quad_perm:[2,3,0,1] row_mask:0xf bank_mask:0xf bound_ctrl:1
	;;#ASMEND
	;;#ASMSTART
	v_max_f32 v10, v11, v11 row_half_mirror row_mask:0xf bank_mask:0xf bound_ctrl:1
	;;#ASMEND
	;;#ASMSTART
	v_max_f32 v11, v10, v10 row_mirror row_mask:0xf bank_mask:0xf bound_ctrl:1
	;;#ASMEND
	;;#ASMSTART
	v_max_f32 v10, v11, v11 row_ror:4 row_mask:0xf bank_mask:0xf bound_ctrl:1
	;;#ASMEND
	;;#ASMSTART
	v_max_f32 v11, v10, v10 row_ror:8 row_mask:0xf bank_mask:0xf bound_ctrl:1
	;;#ASMEND
	;;#ASMSTART
	v_max_f32 v10, v11, v11 row_bcast:15 row_mask:0xf bank_mask:0xf bound_ctrl:1
	;;#ASMEND
	;;#ASMSTART
	v_max_f32 v11, v10, v10 row_bcast:31 row_mask:0xf bank_mask:0xf bound_ctrl:1
	;;#ASMEND
	ds_bpermute_b32 v10, v4, v11
	s_waitcnt lgkmcnt(0)
	v_cmp_eq_f32_e32 vcc, v9, v10
	s_ff1_i32_b64 s18, vcc
	s_cmp_lg_u64 vcc, 0
	s_cselect_b32 s18, s18, 0
	s_and_b64 vcc, exec, s[8:9]
	v_readlane_b32 s18, v8, s18
	s_cbranch_vccz .LBB188_21
; %bb.27:                               ;   in Loop: Header=BB188_22 Depth=1
	s_ashr_i32 s19, s18, 31
	s_lshl_b64 s[20:21], s[18:19], 1
	s_add_u32 s20, s10, s20
	s_addc_u32 s21, s11, s21
	global_load_ushort v8, v6, s[20:21]
	s_waitcnt vmcnt(0)
	v_lshlrev_b32_e32 v8, 16, v8
	v_sub_f32_e32 v10, v10, v8
	s_branch .LBB188_21
.LBB188_28:
	v_mov_b32_e32 v3, 0
	v_mov_b32_e32 v2, 0
.LBB188_29:
	v_cmp_gt_i32_e32 vcc, s17, v0
	s_and_saveexec_b64 s[0:1], vcc
	s_cbranch_execz .LBB188_32
; %bb.30:
	s_load_dword s2, s[4:5], 0x34
	s_load_dwordx2 s[0:1], s[4:5], 0x20
	s_ashr_i32 s3, s6, 31
	s_load_dword s4, s[4:5], 0x44
	v_mov_b32_e32 v4, s13
	s_waitcnt lgkmcnt(0)
	v_mul_f32_e32 v1, s2, v3
	s_mul_i32 s1, s6, s1
	s_mul_hi_u32 s2, s6, s0
	s_add_i32 s1, s2, s1
	s_mul_i32 s3, s3, s0
	s_add_i32 s5, s1, s3
	s_mul_i32 s2, s6, s0
	s_and_b32 s3, s4, 0xffff
	s_mov_b64 s[0:1], 0
	v_mov_b32_e32 v3, s5
	v_mov_b32_e32 v5, s15
.LBB188_31:                             ; =>This Inner Loop Header: Depth=1
	v_ashrrev_i32_e32 v7, 31, v0
	v_add_co_u32_e32 v6, vcc, s2, v0
	v_addc_co_u32_e32 v7, vcc, v3, v7, vcc
	v_add_u32_e32 v0, s3, v0
	v_cmp_le_i32_e32 vcc, s17, v0
	v_lshlrev_b64 v[6:7], 2, v[6:7]
	s_or_b64 s[0:1], vcc, s[0:1]
	v_add_co_u32_e32 v8, vcc, s12, v6
	v_addc_co_u32_e32 v9, vcc, v4, v7, vcc
	v_add_co_u32_e32 v6, vcc, s14, v6
	v_addc_co_u32_e32 v7, vcc, v5, v7, vcc
	global_store_dword v[8:9], v1, off
	global_store_dword v[6:7], v2, off
	s_andn2_b64 exec, exec, s[0:1]
	s_cbranch_execnz .LBB188_31
.LBB188_32:
	s_endpgm
	.section	.rodata,"a",@progbits
	.p2align	6, 0x0
	.amdhsa_kernel _ZN5aiter20topk_softplus_kernelI6__half12hip_bfloat16Dv2_fLb0ELi2EEEvPKT_PKT0_PfPimiiif
		.amdhsa_group_segment_fixed_size 0
		.amdhsa_private_segment_fixed_size 0
		.amdhsa_kernarg_size 312
		.amdhsa_user_sgpr_count 6
		.amdhsa_user_sgpr_private_segment_buffer 1
		.amdhsa_user_sgpr_dispatch_ptr 0
		.amdhsa_user_sgpr_queue_ptr 0
		.amdhsa_user_sgpr_kernarg_segment_ptr 1
		.amdhsa_user_sgpr_dispatch_id 0
		.amdhsa_user_sgpr_flat_scratch_init 0
		.amdhsa_user_sgpr_kernarg_preload_length 0
		.amdhsa_user_sgpr_kernarg_preload_offset 0
		.amdhsa_user_sgpr_private_segment_size 0
		.amdhsa_uses_dynamic_stack 0
		.amdhsa_system_sgpr_private_segment_wavefront_offset 0
		.amdhsa_system_sgpr_workgroup_id_x 1
		.amdhsa_system_sgpr_workgroup_id_y 0
		.amdhsa_system_sgpr_workgroup_id_z 0
		.amdhsa_system_sgpr_workgroup_info 0
		.amdhsa_system_vgpr_workitem_id 0
		.amdhsa_next_free_vgpr 16
		.amdhsa_next_free_sgpr 26
		.amdhsa_accum_offset 16
		.amdhsa_reserve_vcc 1
		.amdhsa_reserve_flat_scratch 0
		.amdhsa_float_round_mode_32 0
		.amdhsa_float_round_mode_16_64 0
		.amdhsa_float_denorm_mode_32 3
		.amdhsa_float_denorm_mode_16_64 3
		.amdhsa_dx10_clamp 1
		.amdhsa_ieee_mode 1
		.amdhsa_fp16_overflow 0
		.amdhsa_tg_split 0
		.amdhsa_exception_fp_ieee_invalid_op 0
		.amdhsa_exception_fp_denorm_src 0
		.amdhsa_exception_fp_ieee_div_zero 0
		.amdhsa_exception_fp_ieee_overflow 0
		.amdhsa_exception_fp_ieee_underflow 0
		.amdhsa_exception_fp_ieee_inexact 0
		.amdhsa_exception_int_div_zero 0
	.end_amdhsa_kernel
	.section	.text._ZN5aiter20topk_softplus_kernelI6__half12hip_bfloat16Dv2_fLb0ELi2EEEvPKT_PKT0_PfPimiiif,"axG",@progbits,_ZN5aiter20topk_softplus_kernelI6__half12hip_bfloat16Dv2_fLb0ELi2EEEvPKT_PKT0_PfPimiiif,comdat
.Lfunc_end188:
	.size	_ZN5aiter20topk_softplus_kernelI6__half12hip_bfloat16Dv2_fLb0ELi2EEEvPKT_PKT0_PfPimiiif, .Lfunc_end188-_ZN5aiter20topk_softplus_kernelI6__half12hip_bfloat16Dv2_fLb0ELi2EEEvPKT_PKT0_PfPimiiif
                                        ; -- End function
	.section	.AMDGPU.csdata,"",@progbits
; Kernel info:
; codeLenInByte = 1684
; NumSgprs: 30
; NumVgprs: 16
; NumAgprs: 0
; TotalNumVgprs: 16
; ScratchSize: 0
; MemoryBound: 0
; FloatMode: 240
; IeeeMode: 1
; LDSByteSize: 0 bytes/workgroup (compile time only)
; SGPRBlocks: 3
; VGPRBlocks: 1
; NumSGPRsForWavesPerEU: 30
; NumVGPRsForWavesPerEU: 16
; AccumOffset: 16
; Occupancy: 8
; WaveLimiterHint : 0
; COMPUTE_PGM_RSRC2:SCRATCH_EN: 0
; COMPUTE_PGM_RSRC2:USER_SGPR: 6
; COMPUTE_PGM_RSRC2:TRAP_HANDLER: 0
; COMPUTE_PGM_RSRC2:TGID_X_EN: 1
; COMPUTE_PGM_RSRC2:TGID_Y_EN: 0
; COMPUTE_PGM_RSRC2:TGID_Z_EN: 0
; COMPUTE_PGM_RSRC2:TIDIG_COMP_CNT: 0
; COMPUTE_PGM_RSRC3_GFX90A:ACCUM_OFFSET: 3
; COMPUTE_PGM_RSRC3_GFX90A:TG_SPLIT: 0
	.section	.text._ZN5aiter20topk_softplus_kernelI6__half12hip_bfloat16Dv1_fLb1ELi2EEEvPKT_PKT0_PfPimiiif,"axG",@progbits,_ZN5aiter20topk_softplus_kernelI6__half12hip_bfloat16Dv1_fLb1ELi2EEEvPKT_PKT0_PfPimiiif,comdat
	.protected	_ZN5aiter20topk_softplus_kernelI6__half12hip_bfloat16Dv1_fLb1ELi2EEEvPKT_PKT0_PfPimiiif ; -- Begin function _ZN5aiter20topk_softplus_kernelI6__half12hip_bfloat16Dv1_fLb1ELi2EEEvPKT_PKT0_PfPimiiif
	.globl	_ZN5aiter20topk_softplus_kernelI6__half12hip_bfloat16Dv1_fLb1ELi2EEEvPKT_PKT0_PfPimiiif
	.p2align	8
	.type	_ZN5aiter20topk_softplus_kernelI6__half12hip_bfloat16Dv1_fLb1ELi2EEEvPKT_PKT0_PfPimiiif,@function
_ZN5aiter20topk_softplus_kernelI6__half12hip_bfloat16Dv1_fLb1ELi2EEEvPKT_PKT0_PfPimiiif: ; @_ZN5aiter20topk_softplus_kernelI6__half12hip_bfloat16Dv1_fLb1ELi2EEEvPKT_PKT0_PfPimiiif
; %bb.0:
	s_load_dwordx2 s[16:17], s[4:5], 0x28
	s_load_dwordx8 s[8:15], s[4:5], 0x0
	v_lshl_add_u32 v1, v0, 2, 0
	s_waitcnt lgkmcnt(0)
	s_mul_i32 s2, s6, s16
	s_ashr_i32 s3, s2, 31
	s_lshl_b64 s[2:3], s[2:3], 1
	s_add_u32 s7, s8, s2
	v_cmp_gt_i32_e64 s[0:1], s16, v0
	s_addc_u32 s18, s9, s3
	s_and_saveexec_b64 s[2:3], s[0:1]
	s_cbranch_execz .LBB189_3
; %bb.1:
	s_load_dword s19, s[4:5], 0x44
	v_lshl_add_u32 v4, v0, 2, 0
	s_mov_b64 s[8:9], 0
	v_mov_b32_e32 v5, s18
	v_mov_b32_e32 v2, v0
	s_waitcnt lgkmcnt(0)
	s_and_b32 s19, s19, 0xffff
	s_lshl_b32 s20, s19, 2
.LBB189_2:                              ; =>This Inner Loop Header: Depth=1
	v_ashrrev_i32_e32 v3, 31, v2
	v_lshlrev_b64 v[6:7], 1, v[2:3]
	v_add_co_u32_e32 v6, vcc, s7, v6
	v_addc_co_u32_e32 v7, vcc, v5, v7, vcc
	global_load_ushort v3, v[6:7], off
	v_add_u32_e32 v2, s19, v2
	v_cmp_le_i32_e32 vcc, s16, v2
	s_or_b64 s[8:9], vcc, s[8:9]
	s_waitcnt vmcnt(0)
	v_cvt_f32_f16_e32 v3, v3
	ds_write_b32 v4, v3
	v_add_u32_e32 v4, s20, v4
	s_andn2_b64 exec, exec, s[8:9]
	s_cbranch_execnz .LBB189_2
.LBB189_3:
	s_or_b64 exec, exec, s[2:3]
	v_add_u32_e32 v2, s16, v0
	v_cmp_gt_i32_e32 vcc, s16, v2
	s_and_saveexec_b64 s[2:3], vcc
	s_cbranch_execz .LBB189_6
; %bb.4:
	s_load_dword s19, s[4:5], 0x44
	v_lshl_add_u32 v4, v2, 2, 0
	s_mov_b64 s[8:9], 0
	v_mov_b32_e32 v5, s18
	s_waitcnt lgkmcnt(0)
	s_and_b32 s19, s19, 0xffff
	s_lshl_b32 s20, s19, 2
.LBB189_5:                              ; =>This Inner Loop Header: Depth=1
	v_ashrrev_i32_e32 v3, 31, v2
	v_lshlrev_b64 v[6:7], 1, v[2:3]
	v_add_co_u32_e32 v6, vcc, s7, v6
	v_addc_co_u32_e32 v7, vcc, v5, v7, vcc
	global_load_ushort v3, v[6:7], off
	v_add_u32_e32 v2, s19, v2
	v_cmp_le_i32_e32 vcc, s16, v2
	s_or_b64 s[8:9], vcc, s[8:9]
	s_waitcnt vmcnt(0)
	v_cvt_f32_f16_e32 v3, v3
	ds_write_b32 v4, v3
	v_add_u32_e32 v4, s20, v4
	s_andn2_b64 exec, exec, s[8:9]
	s_cbranch_execnz .LBB189_5
.LBB189_6:
	s_or_b64 exec, exec, s[2:3]
	v_mov_b32_e32 v2, 0xff800000
	s_waitcnt lgkmcnt(0)
	s_barrier
	s_and_saveexec_b64 s[2:3], s[0:1]
	s_cbranch_execz .LBB189_10
; %bb.7:
	s_load_dword s7, s[4:5], 0x44
	v_lshl_add_u32 v3, v0, 2, 0
	s_mov_b64 s[8:9], 0
	v_mov_b32_e32 v2, 0xff800000
	v_mov_b32_e32 v4, v0
	s_waitcnt lgkmcnt(0)
	s_and_b32 s7, s7, 0xffff
	s_lshl_b32 s18, s7, 2
.LBB189_8:                              ; =>This Inner Loop Header: Depth=1
	ds_read_b32 v5, v3
	v_add_u32_e32 v4, s7, v4
	v_max_f32_e32 v2, v2, v2
	v_cmp_le_i32_e32 vcc, s16, v4
	v_add_u32_e32 v3, s18, v3
	s_waitcnt lgkmcnt(0)
	v_max_f32_e32 v5, v5, v5
	s_or_b64 s[8:9], vcc, s[8:9]
	v_max_f32_e32 v2, v2, v5
	s_andn2_b64 exec, exec, s[8:9]
	s_cbranch_execnz .LBB189_8
; %bb.9:
	s_or_b64 exec, exec, s[8:9]
.LBB189_10:
	s_or_b64 exec, exec, s[2:3]
	;;#ASMSTART
	v_max_f32 v3, v2, v2 quad_perm:[1,0,3,2] row_mask:0xf bank_mask:0xf bound_ctrl:1
	;;#ASMEND
	;;#ASMSTART
	v_max_f32 v2, v3, v3 quad_perm:[2,3,0,1] row_mask:0xf bank_mask:0xf bound_ctrl:1
	;;#ASMEND
	;;#ASMSTART
	v_max_f32 v3, v2, v2 row_half_mirror row_mask:0xf bank_mask:0xf bound_ctrl:1
	;;#ASMEND
	;;#ASMSTART
	v_max_f32 v2, v3, v3 row_mirror row_mask:0xf bank_mask:0xf bound_ctrl:1
	;;#ASMEND
	;;#ASMSTART
	v_max_f32 v3, v2, v2 row_ror:4 row_mask:0xf bank_mask:0xf bound_ctrl:1
	;;#ASMEND
	;;#ASMSTART
	v_max_f32 v2, v3, v3 row_ror:8 row_mask:0xf bank_mask:0xf bound_ctrl:1
	;;#ASMEND
	;;#ASMSTART
	v_max_f32 v3, v2, v2 row_bcast:15 row_mask:0xf bank_mask:0xf bound_ctrl:1
	;;#ASMEND
	;;#ASMSTART
	v_max_f32 v2, v3, v3 row_bcast:31 row_mask:0xf bank_mask:0xf bound_ctrl:1
	;;#ASMEND
	v_mbcnt_lo_u32_b32 v3, -1, 0
	v_mbcnt_hi_u32_b32 v3, -1, v3
	v_bfrev_b32_e32 v4, 0.5
	v_lshl_or_b32 v4, v3, 2, v4
	ds_bpermute_b32 v3, v4, v2
	v_mov_b32_e32 v2, 0
	s_and_saveexec_b64 s[8:9], s[0:1]
	s_cbranch_execz .LBB189_14
; %bb.11:
	s_load_dword s2, s[4:5], 0x44
	v_lshl_add_u32 v5, v0, 2, 0
	s_mov_b64 s[18:19], 0
	v_mov_b32_e32 v2, 0
	s_mov_b32 s7, 0xc2fc0000
	s_waitcnt lgkmcnt(0)
	s_and_b32 s20, s2, 0xffff
	s_lshl_b32 s21, s20, 2
	v_mov_b32_e32 v6, 0x42800000
	v_mov_b32_e32 v7, 0x1f800000
	;; [unrolled: 1-line block ×3, first 2 shown]
.LBB189_12:                             ; =>This Inner Loop Header: Depth=1
	ds_read_b32 v9, v5
	v_add_u32_e32 v8, s20, v8
	v_cmp_le_i32_e64 s[2:3], s16, v8
	s_or_b64 s[18:19], s[2:3], s[18:19]
	s_waitcnt lgkmcnt(0)
	v_sub_f32_e32 v9, v9, v3
	v_mul_f32_e32 v10, 0x3fb8aa3b, v9
	v_cmp_gt_f32_e32 vcc, s7, v10
	v_cndmask_b32_e32 v10, 0, v6, vcc
	v_fmac_f32_e32 v10, 0x3fb8aa3b, v9
	v_exp_f32_e32 v9, v10
	v_cndmask_b32_e32 v10, 1.0, v7, vcc
	v_mul_f32_e32 v11, v9, v10
	v_fmac_f32_e32 v2, v9, v10
	ds_write_b32 v5, v11
	v_add_u32_e32 v5, s21, v5
	s_andn2_b64 exec, exec, s[18:19]
	s_cbranch_execnz .LBB189_12
; %bb.13:
	s_or_b64 exec, exec, s[18:19]
.LBB189_14:
	s_or_b64 exec, exec, s[8:9]
	s_waitcnt lgkmcnt(0)
	v_mov_b32_dpp v3, v2 quad_perm:[1,0,3,2] row_mask:0xf bank_mask:0xf
	v_add_f32_e32 v2, v2, v3
	s_nop 1
	v_mov_b32_dpp v3, v2 quad_perm:[2,3,0,1] row_mask:0xf bank_mask:0xf
	v_add_f32_e32 v2, v2, v3
	s_nop 1
	v_mov_b32_dpp v3, v2 row_half_mirror row_mask:0xf bank_mask:0xf
	v_add_f32_e32 v2, v2, v3
	s_nop 1
	v_mov_b32_dpp v3, v2 row_mirror row_mask:0xf bank_mask:0xf
	v_add_f32_e32 v2, v2, v3
	s_nop 1
	v_mov_b32_dpp v3, v2 row_bcast:15 row_mask:0xf bank_mask:0xf
	v_add_f32_e32 v2, v2, v3
	s_nop 1
	v_mov_b32_dpp v3, v2 row_bcast:31 row_mask:0xf bank_mask:0xf
	v_add_f32_e32 v2, v2, v3
	ds_bpermute_b32 v2, v4, v2
	s_and_saveexec_b64 s[8:9], s[0:1]
	s_cbranch_execz .LBB189_19
; %bb.15:
	s_load_dword s7, s[4:5], 0x44
	s_waitcnt lgkmcnt(0)
	v_rcp_f32_e32 v5, v2
	s_cmp_lg_u64 s[10:11], 0
	s_cselect_b64 s[2:3], -1, 0
	v_cndmask_b32_e64 v2, 0, 1, s[2:3]
	s_and_b32 s7, s7, 0xffff
	s_mov_b64 s[18:19], 0
	v_lshl_add_u32 v6, v0, 2, 0
	s_lshl_b32 s20, s7, 2
	v_cmp_ne_u32_e64 s[2:3], 1, v2
	v_mov_b32_e32 v2, v0
	s_branch .LBB189_17
.LBB189_16:                             ;   in Loop: Header=BB189_17 Depth=1
	v_add_u32_e32 v2, s7, v2
	v_cmp_le_i32_e32 vcc, s16, v2
	s_or_b64 s[18:19], vcc, s[18:19]
	v_add_u32_e32 v6, s20, v6
	s_andn2_b64 exec, exec, s[18:19]
	s_cbranch_execz .LBB189_19
.LBB189_17:                             ; =>This Inner Loop Header: Depth=1
	ds_read_b32 v3, v6
	s_and_b64 vcc, exec, s[2:3]
	s_waitcnt lgkmcnt(0)
	v_mul_f32_e32 v7, v5, v3
	ds_write_b32 v6, v7
	s_cbranch_vccnz .LBB189_16
; %bb.18:                               ;   in Loop: Header=BB189_17 Depth=1
	v_ashrrev_i32_e32 v3, 31, v2
	v_lshlrev_b64 v[8:9], 1, v[2:3]
	v_mov_b32_e32 v3, s11
	v_add_co_u32_e32 v8, vcc, s10, v8
	v_addc_co_u32_e32 v9, vcc, v3, v9, vcc
	global_load_ushort v3, v[8:9], off
	s_waitcnt vmcnt(0)
	v_lshlrev_b32_e32 v3, 16, v3
	v_add_f32_e32 v3, v7, v3
	ds_write_b32 v6, v3
	s_branch .LBB189_16
.LBB189_19:
	s_or_b64 exec, exec, s[8:9]
	s_cmp_lt_i32 s17, 1
	v_mov_b32_e32 v3, 0
	s_waitcnt lgkmcnt(0)
	s_barrier
	s_cbranch_scc1 .LBB189_28
; %bb.20:
	s_add_u32 s2, s4, 56
	s_addc_u32 s3, s5, 0
	s_cmp_lg_u64 s[10:11], 0
	s_cselect_b64 s[8:9], -1, 0
	s_mov_b32 s7, 0
	v_mov_b32_e32 v3, 0
	v_mov_b32_e32 v6, 0
	;; [unrolled: 1-line block ×5, first 2 shown]
	s_branch .LBB189_22
.LBB189_21:                             ;   in Loop: Header=BB189_22 Depth=1
	s_lshl_b32 s19, s18, 2
	s_add_i32 s19, s19, 0
	v_mov_b32_e32 v8, s19
	ds_write_b32 v8, v7
	v_mov_b32_e32 v8, s18
	v_cmp_eq_u32_e32 vcc, s7, v0
	s_add_i32 s7, s7, 1
	v_cndmask_b32_e32 v2, v2, v8, vcc
	v_cndmask_b32_e32 v3, v3, v10, vcc
	s_cmp_eq_u32 s7, s17
	v_add_f32_e32 v5, v5, v10
	s_cbranch_scc1 .LBB189_29
.LBB189_22:                             ; =>This Loop Header: Depth=1
                                        ;     Child Loop BB189_24 Depth 2
	v_mov_b32_e32 v8, s7
	v_mov_b32_e32 v9, 0xff800000
	s_and_saveexec_b64 s[18:19], s[0:1]
	s_cbranch_execz .LBB189_26
; %bb.23:                               ;   in Loop: Header=BB189_22 Depth=1
	s_load_dword s22, s[2:3], 0xc
	s_mov_b64 s[20:21], 0
	v_mov_b32_e32 v8, s7
	v_mov_b32_e32 v9, 0xff800000
	;; [unrolled: 1-line block ×3, first 2 shown]
	s_waitcnt lgkmcnt(0)
	s_and_b32 s22, s22, 0xffff
	s_lshl_b32 s23, s22, 2
	v_mov_b32_e32 v11, v0
.LBB189_24:                             ;   Parent Loop BB189_22 Depth=1
                                        ; =>  This Inner Loop Header: Depth=2
	ds_read_b32 v12, v10
	v_add_u32_e32 v10, s23, v10
	s_waitcnt lgkmcnt(0)
	v_cmp_gt_f32_e32 vcc, v12, v9
	v_cndmask_b32_e32 v8, v8, v11, vcc
	v_add_u32_e32 v11, s22, v11
	v_cndmask_b32_e32 v9, v9, v12, vcc
	v_cmp_le_i32_e32 vcc, s16, v11
	s_or_b64 s[20:21], vcc, s[20:21]
	s_andn2_b64 exec, exec, s[20:21]
	s_cbranch_execnz .LBB189_24
; %bb.25:                               ;   in Loop: Header=BB189_22 Depth=1
	s_or_b64 exec, exec, s[20:21]
.LBB189_26:                             ;   in Loop: Header=BB189_22 Depth=1
	s_or_b64 exec, exec, s[18:19]
	;;#ASMSTART
	v_max_f32 v10, v9, v9 quad_perm:[1,0,3,2] row_mask:0xf bank_mask:0xf bound_ctrl:1
	;;#ASMEND
	;;#ASMSTART
	v_max_f32 v11, v10, v10 quad_perm:[2,3,0,1] row_mask:0xf bank_mask:0xf bound_ctrl:1
	;;#ASMEND
	;;#ASMSTART
	v_max_f32 v10, v11, v11 row_half_mirror row_mask:0xf bank_mask:0xf bound_ctrl:1
	;;#ASMEND
	;;#ASMSTART
	v_max_f32 v11, v10, v10 row_mirror row_mask:0xf bank_mask:0xf bound_ctrl:1
	;;#ASMEND
	;;#ASMSTART
	v_max_f32 v10, v11, v11 row_ror:4 row_mask:0xf bank_mask:0xf bound_ctrl:1
	;;#ASMEND
	;;#ASMSTART
	v_max_f32 v11, v10, v10 row_ror:8 row_mask:0xf bank_mask:0xf bound_ctrl:1
	;;#ASMEND
	;;#ASMSTART
	v_max_f32 v10, v11, v11 row_bcast:15 row_mask:0xf bank_mask:0xf bound_ctrl:1
	;;#ASMEND
	;;#ASMSTART
	v_max_f32 v11, v10, v10 row_bcast:31 row_mask:0xf bank_mask:0xf bound_ctrl:1
	;;#ASMEND
	ds_bpermute_b32 v10, v4, v11
	s_waitcnt lgkmcnt(0)
	v_cmp_eq_f32_e32 vcc, v9, v10
	s_ff1_i32_b64 s18, vcc
	s_cmp_lg_u64 vcc, 0
	s_cselect_b32 s18, s18, 0
	s_and_b64 vcc, exec, s[8:9]
	v_readlane_b32 s18, v8, s18
	s_cbranch_vccz .LBB189_21
; %bb.27:                               ;   in Loop: Header=BB189_22 Depth=1
	s_ashr_i32 s19, s18, 31
	s_lshl_b64 s[20:21], s[18:19], 1
	s_add_u32 s20, s10, s20
	s_addc_u32 s21, s11, s21
	global_load_ushort v8, v6, s[20:21]
	s_waitcnt vmcnt(0)
	v_lshlrev_b32_e32 v8, 16, v8
	v_sub_f32_e32 v10, v10, v8
	s_branch .LBB189_21
.LBB189_28:
	v_mov_b32_e32 v2, 0
	v_mov_b32_e32 v5, 0
.LBB189_29:
	v_cmp_gt_i32_e32 vcc, s17, v0
	s_and_saveexec_b64 s[0:1], vcc
	s_cbranch_execz .LBB189_32
; %bb.30:
	s_load_dword s2, s[4:5], 0x34
	v_max_f32_e32 v1, v5, v5
	v_max_f32_e32 v1, 0x1e3ce508, v1
	s_load_dword s3, s[4:5], 0x44
	s_waitcnt lgkmcnt(0)
	v_div_scale_f32 v4, s[0:1], v1, v1, s2
	s_load_dwordx2 s[0:1], s[4:5], 0x20
	v_rcp_f32_e32 v5, v4
	v_div_scale_f32 v6, vcc, s2, v1, s2
	s_and_b32 s3, s3, 0xffff
	v_fma_f32 v7, -v4, v5, 1.0
	v_fmac_f32_e32 v5, v7, v5
	v_mul_f32_e32 v7, v6, v5
	v_fma_f32 v8, -v4, v7, v6
	v_fmac_f32_e32 v7, v8, v5
	v_fma_f32 v4, -v4, v7, v6
	v_div_fmas_f32 v4, v4, v5, v7
	v_div_fixup_f32 v1, v4, v1, s2
	s_ashr_i32 s2, s6, 31
	s_waitcnt lgkmcnt(0)
	s_mul_i32 s1, s6, s1
	s_mul_hi_u32 s4, s6, s0
	s_add_i32 s1, s4, s1
	s_mul_i32 s2, s2, s0
	s_add_i32 s4, s1, s2
	v_mul_f32_e32 v1, v3, v1
	s_mul_i32 s2, s6, s0
	s_mov_b64 s[0:1], 0
	v_mov_b32_e32 v3, s4
	v_mov_b32_e32 v4, s13
	;; [unrolled: 1-line block ×3, first 2 shown]
.LBB189_31:                             ; =>This Inner Loop Header: Depth=1
	v_ashrrev_i32_e32 v7, 31, v0
	v_add_co_u32_e32 v6, vcc, s2, v0
	v_addc_co_u32_e32 v7, vcc, v3, v7, vcc
	v_add_u32_e32 v0, s3, v0
	v_cmp_le_i32_e32 vcc, s17, v0
	v_lshlrev_b64 v[6:7], 2, v[6:7]
	s_or_b64 s[0:1], vcc, s[0:1]
	v_add_co_u32_e32 v8, vcc, s12, v6
	v_addc_co_u32_e32 v9, vcc, v4, v7, vcc
	v_add_co_u32_e32 v6, vcc, s14, v6
	v_addc_co_u32_e32 v7, vcc, v5, v7, vcc
	global_store_dword v[8:9], v1, off
	global_store_dword v[6:7], v2, off
	s_andn2_b64 exec, exec, s[0:1]
	s_cbranch_execnz .LBB189_31
.LBB189_32:
	s_endpgm
	.section	.rodata,"a",@progbits
	.p2align	6, 0x0
	.amdhsa_kernel _ZN5aiter20topk_softplus_kernelI6__half12hip_bfloat16Dv1_fLb1ELi2EEEvPKT_PKT0_PfPimiiif
		.amdhsa_group_segment_fixed_size 0
		.amdhsa_private_segment_fixed_size 0
		.amdhsa_kernarg_size 312
		.amdhsa_user_sgpr_count 6
		.amdhsa_user_sgpr_private_segment_buffer 1
		.amdhsa_user_sgpr_dispatch_ptr 0
		.amdhsa_user_sgpr_queue_ptr 0
		.amdhsa_user_sgpr_kernarg_segment_ptr 1
		.amdhsa_user_sgpr_dispatch_id 0
		.amdhsa_user_sgpr_flat_scratch_init 0
		.amdhsa_user_sgpr_kernarg_preload_length 0
		.amdhsa_user_sgpr_kernarg_preload_offset 0
		.amdhsa_user_sgpr_private_segment_size 0
		.amdhsa_uses_dynamic_stack 0
		.amdhsa_system_sgpr_private_segment_wavefront_offset 0
		.amdhsa_system_sgpr_workgroup_id_x 1
		.amdhsa_system_sgpr_workgroup_id_y 0
		.amdhsa_system_sgpr_workgroup_id_z 0
		.amdhsa_system_sgpr_workgroup_info 0
		.amdhsa_system_vgpr_workitem_id 0
		.amdhsa_next_free_vgpr 13
		.amdhsa_next_free_sgpr 24
		.amdhsa_accum_offset 16
		.amdhsa_reserve_vcc 1
		.amdhsa_reserve_flat_scratch 0
		.amdhsa_float_round_mode_32 0
		.amdhsa_float_round_mode_16_64 0
		.amdhsa_float_denorm_mode_32 3
		.amdhsa_float_denorm_mode_16_64 3
		.amdhsa_dx10_clamp 1
		.amdhsa_ieee_mode 1
		.amdhsa_fp16_overflow 0
		.amdhsa_tg_split 0
		.amdhsa_exception_fp_ieee_invalid_op 0
		.amdhsa_exception_fp_denorm_src 0
		.amdhsa_exception_fp_ieee_div_zero 0
		.amdhsa_exception_fp_ieee_overflow 0
		.amdhsa_exception_fp_ieee_underflow 0
		.amdhsa_exception_fp_ieee_inexact 0
		.amdhsa_exception_int_div_zero 0
	.end_amdhsa_kernel
	.section	.text._ZN5aiter20topk_softplus_kernelI6__half12hip_bfloat16Dv1_fLb1ELi2EEEvPKT_PKT0_PfPimiiif,"axG",@progbits,_ZN5aiter20topk_softplus_kernelI6__half12hip_bfloat16Dv1_fLb1ELi2EEEvPKT_PKT0_PfPimiiif,comdat
.Lfunc_end189:
	.size	_ZN5aiter20topk_softplus_kernelI6__half12hip_bfloat16Dv1_fLb1ELi2EEEvPKT_PKT0_PfPimiiif, .Lfunc_end189-_ZN5aiter20topk_softplus_kernelI6__half12hip_bfloat16Dv1_fLb1ELi2EEEvPKT_PKT0_PfPimiiif
                                        ; -- End function
	.section	.AMDGPU.csdata,"",@progbits
; Kernel info:
; codeLenInByte = 1676
; NumSgprs: 28
; NumVgprs: 13
; NumAgprs: 0
; TotalNumVgprs: 13
; ScratchSize: 0
; MemoryBound: 0
; FloatMode: 240
; IeeeMode: 1
; LDSByteSize: 0 bytes/workgroup (compile time only)
; SGPRBlocks: 3
; VGPRBlocks: 1
; NumSGPRsForWavesPerEU: 28
; NumVGPRsForWavesPerEU: 13
; AccumOffset: 16
; Occupancy: 8
; WaveLimiterHint : 0
; COMPUTE_PGM_RSRC2:SCRATCH_EN: 0
; COMPUTE_PGM_RSRC2:USER_SGPR: 6
; COMPUTE_PGM_RSRC2:TRAP_HANDLER: 0
; COMPUTE_PGM_RSRC2:TGID_X_EN: 1
; COMPUTE_PGM_RSRC2:TGID_Y_EN: 0
; COMPUTE_PGM_RSRC2:TGID_Z_EN: 0
; COMPUTE_PGM_RSRC2:TIDIG_COMP_CNT: 0
; COMPUTE_PGM_RSRC3_GFX90A:ACCUM_OFFSET: 3
; COMPUTE_PGM_RSRC3_GFX90A:TG_SPLIT: 0
	.section	.text._ZN5aiter20topk_softplus_kernelI6__half12hip_bfloat16Dv1_fLb0ELi2EEEvPKT_PKT0_PfPimiiif,"axG",@progbits,_ZN5aiter20topk_softplus_kernelI6__half12hip_bfloat16Dv1_fLb0ELi2EEEvPKT_PKT0_PfPimiiif,comdat
	.protected	_ZN5aiter20topk_softplus_kernelI6__half12hip_bfloat16Dv1_fLb0ELi2EEEvPKT_PKT0_PfPimiiif ; -- Begin function _ZN5aiter20topk_softplus_kernelI6__half12hip_bfloat16Dv1_fLb0ELi2EEEvPKT_PKT0_PfPimiiif
	.globl	_ZN5aiter20topk_softplus_kernelI6__half12hip_bfloat16Dv1_fLb0ELi2EEEvPKT_PKT0_PfPimiiif
	.p2align	8
	.type	_ZN5aiter20topk_softplus_kernelI6__half12hip_bfloat16Dv1_fLb0ELi2EEEvPKT_PKT0_PfPimiiif,@function
_ZN5aiter20topk_softplus_kernelI6__half12hip_bfloat16Dv1_fLb0ELi2EEEvPKT_PKT0_PfPimiiif: ; @_ZN5aiter20topk_softplus_kernelI6__half12hip_bfloat16Dv1_fLb0ELi2EEEvPKT_PKT0_PfPimiiif
; %bb.0:
	s_load_dwordx2 s[16:17], s[4:5], 0x28
	s_load_dwordx8 s[8:15], s[4:5], 0x0
	v_lshl_add_u32 v1, v0, 2, 0
	s_waitcnt lgkmcnt(0)
	s_mul_i32 s2, s6, s16
	s_ashr_i32 s3, s2, 31
	s_lshl_b64 s[2:3], s[2:3], 1
	s_add_u32 s7, s8, s2
	v_cmp_gt_i32_e64 s[0:1], s16, v0
	s_addc_u32 s18, s9, s3
	s_and_saveexec_b64 s[2:3], s[0:1]
	s_cbranch_execz .LBB190_3
; %bb.1:
	s_load_dword s19, s[4:5], 0x44
	v_lshl_add_u32 v4, v0, 2, 0
	s_mov_b64 s[8:9], 0
	v_mov_b32_e32 v5, s18
	v_mov_b32_e32 v2, v0
	s_waitcnt lgkmcnt(0)
	s_and_b32 s19, s19, 0xffff
	s_lshl_b32 s20, s19, 2
.LBB190_2:                              ; =>This Inner Loop Header: Depth=1
	v_ashrrev_i32_e32 v3, 31, v2
	v_lshlrev_b64 v[6:7], 1, v[2:3]
	v_add_co_u32_e32 v6, vcc, s7, v6
	v_addc_co_u32_e32 v7, vcc, v5, v7, vcc
	global_load_ushort v3, v[6:7], off
	v_add_u32_e32 v2, s19, v2
	v_cmp_le_i32_e32 vcc, s16, v2
	s_or_b64 s[8:9], vcc, s[8:9]
	s_waitcnt vmcnt(0)
	v_cvt_f32_f16_e32 v3, v3
	ds_write_b32 v4, v3
	v_add_u32_e32 v4, s20, v4
	s_andn2_b64 exec, exec, s[8:9]
	s_cbranch_execnz .LBB190_2
.LBB190_3:
	s_or_b64 exec, exec, s[2:3]
	v_add_u32_e32 v2, s16, v0
	v_cmp_gt_i32_e32 vcc, s16, v2
	s_and_saveexec_b64 s[2:3], vcc
	s_cbranch_execz .LBB190_6
; %bb.4:
	s_load_dword s19, s[4:5], 0x44
	v_lshl_add_u32 v4, v2, 2, 0
	s_mov_b64 s[8:9], 0
	v_mov_b32_e32 v5, s18
	s_waitcnt lgkmcnt(0)
	s_and_b32 s19, s19, 0xffff
	s_lshl_b32 s20, s19, 2
.LBB190_5:                              ; =>This Inner Loop Header: Depth=1
	v_ashrrev_i32_e32 v3, 31, v2
	v_lshlrev_b64 v[6:7], 1, v[2:3]
	v_add_co_u32_e32 v6, vcc, s7, v6
	v_addc_co_u32_e32 v7, vcc, v5, v7, vcc
	global_load_ushort v3, v[6:7], off
	v_add_u32_e32 v2, s19, v2
	v_cmp_le_i32_e32 vcc, s16, v2
	s_or_b64 s[8:9], vcc, s[8:9]
	s_waitcnt vmcnt(0)
	v_cvt_f32_f16_e32 v3, v3
	ds_write_b32 v4, v3
	v_add_u32_e32 v4, s20, v4
	s_andn2_b64 exec, exec, s[8:9]
	s_cbranch_execnz .LBB190_5
.LBB190_6:
	s_or_b64 exec, exec, s[2:3]
	v_mov_b32_e32 v2, 0xff800000
	s_waitcnt lgkmcnt(0)
	s_barrier
	s_and_saveexec_b64 s[2:3], s[0:1]
	s_cbranch_execz .LBB190_10
; %bb.7:
	s_load_dword s7, s[4:5], 0x44
	v_lshl_add_u32 v3, v0, 2, 0
	s_mov_b64 s[8:9], 0
	v_mov_b32_e32 v2, 0xff800000
	v_mov_b32_e32 v4, v0
	s_waitcnt lgkmcnt(0)
	s_and_b32 s7, s7, 0xffff
	s_lshl_b32 s18, s7, 2
.LBB190_8:                              ; =>This Inner Loop Header: Depth=1
	ds_read_b32 v5, v3
	v_add_u32_e32 v4, s7, v4
	v_max_f32_e32 v2, v2, v2
	v_cmp_le_i32_e32 vcc, s16, v4
	v_add_u32_e32 v3, s18, v3
	s_waitcnt lgkmcnt(0)
	v_max_f32_e32 v5, v5, v5
	s_or_b64 s[8:9], vcc, s[8:9]
	v_max_f32_e32 v2, v2, v5
	s_andn2_b64 exec, exec, s[8:9]
	s_cbranch_execnz .LBB190_8
; %bb.9:
	s_or_b64 exec, exec, s[8:9]
.LBB190_10:
	s_or_b64 exec, exec, s[2:3]
	;;#ASMSTART
	v_max_f32 v3, v2, v2 quad_perm:[1,0,3,2] row_mask:0xf bank_mask:0xf bound_ctrl:1
	;;#ASMEND
	;;#ASMSTART
	v_max_f32 v2, v3, v3 quad_perm:[2,3,0,1] row_mask:0xf bank_mask:0xf bound_ctrl:1
	;;#ASMEND
	;;#ASMSTART
	v_max_f32 v3, v2, v2 row_half_mirror row_mask:0xf bank_mask:0xf bound_ctrl:1
	;;#ASMEND
	;;#ASMSTART
	v_max_f32 v2, v3, v3 row_mirror row_mask:0xf bank_mask:0xf bound_ctrl:1
	;;#ASMEND
	;;#ASMSTART
	v_max_f32 v3, v2, v2 row_ror:4 row_mask:0xf bank_mask:0xf bound_ctrl:1
	;;#ASMEND
	;;#ASMSTART
	v_max_f32 v2, v3, v3 row_ror:8 row_mask:0xf bank_mask:0xf bound_ctrl:1
	;;#ASMEND
	;;#ASMSTART
	v_max_f32 v3, v2, v2 row_bcast:15 row_mask:0xf bank_mask:0xf bound_ctrl:1
	;;#ASMEND
	;;#ASMSTART
	v_max_f32 v2, v3, v3 row_bcast:31 row_mask:0xf bank_mask:0xf bound_ctrl:1
	;;#ASMEND
	v_mbcnt_lo_u32_b32 v3, -1, 0
	v_mbcnt_hi_u32_b32 v3, -1, v3
	v_bfrev_b32_e32 v4, 0.5
	v_lshl_or_b32 v4, v3, 2, v4
	ds_bpermute_b32 v3, v4, v2
	v_mov_b32_e32 v2, 0
	s_and_saveexec_b64 s[8:9], s[0:1]
	s_cbranch_execz .LBB190_14
; %bb.11:
	s_load_dword s2, s[4:5], 0x44
	v_lshl_add_u32 v5, v0, 2, 0
	s_mov_b64 s[18:19], 0
	v_mov_b32_e32 v2, 0
	s_mov_b32 s7, 0xc2fc0000
	s_waitcnt lgkmcnt(0)
	s_and_b32 s20, s2, 0xffff
	s_lshl_b32 s21, s20, 2
	v_mov_b32_e32 v6, 0x42800000
	v_mov_b32_e32 v7, 0x1f800000
	;; [unrolled: 1-line block ×3, first 2 shown]
.LBB190_12:                             ; =>This Inner Loop Header: Depth=1
	ds_read_b32 v9, v5
	v_add_u32_e32 v8, s20, v8
	v_cmp_le_i32_e64 s[2:3], s16, v8
	s_or_b64 s[18:19], s[2:3], s[18:19]
	s_waitcnt lgkmcnt(0)
	v_sub_f32_e32 v9, v9, v3
	v_mul_f32_e32 v10, 0x3fb8aa3b, v9
	v_cmp_gt_f32_e32 vcc, s7, v10
	v_cndmask_b32_e32 v10, 0, v6, vcc
	v_fmac_f32_e32 v10, 0x3fb8aa3b, v9
	v_exp_f32_e32 v9, v10
	v_cndmask_b32_e32 v10, 1.0, v7, vcc
	v_mul_f32_e32 v11, v9, v10
	v_fmac_f32_e32 v2, v9, v10
	ds_write_b32 v5, v11
	v_add_u32_e32 v5, s21, v5
	s_andn2_b64 exec, exec, s[18:19]
	s_cbranch_execnz .LBB190_12
; %bb.13:
	s_or_b64 exec, exec, s[18:19]
.LBB190_14:
	s_or_b64 exec, exec, s[8:9]
	s_waitcnt lgkmcnt(0)
	v_mov_b32_dpp v3, v2 quad_perm:[1,0,3,2] row_mask:0xf bank_mask:0xf
	v_add_f32_e32 v2, v2, v3
	s_nop 1
	v_mov_b32_dpp v3, v2 quad_perm:[2,3,0,1] row_mask:0xf bank_mask:0xf
	v_add_f32_e32 v2, v2, v3
	s_nop 1
	v_mov_b32_dpp v3, v2 row_half_mirror row_mask:0xf bank_mask:0xf
	v_add_f32_e32 v2, v2, v3
	s_nop 1
	v_mov_b32_dpp v3, v2 row_mirror row_mask:0xf bank_mask:0xf
	v_add_f32_e32 v2, v2, v3
	s_nop 1
	v_mov_b32_dpp v3, v2 row_bcast:15 row_mask:0xf bank_mask:0xf
	v_add_f32_e32 v2, v2, v3
	s_nop 1
	v_mov_b32_dpp v3, v2 row_bcast:31 row_mask:0xf bank_mask:0xf
	v_add_f32_e32 v2, v2, v3
	ds_bpermute_b32 v2, v4, v2
	s_and_saveexec_b64 s[8:9], s[0:1]
	s_cbranch_execz .LBB190_19
; %bb.15:
	s_load_dword s7, s[4:5], 0x44
	s_waitcnt lgkmcnt(0)
	v_rcp_f32_e32 v5, v2
	s_cmp_lg_u64 s[10:11], 0
	s_cselect_b64 s[2:3], -1, 0
	v_cndmask_b32_e64 v2, 0, 1, s[2:3]
	s_and_b32 s7, s7, 0xffff
	s_mov_b64 s[18:19], 0
	v_lshl_add_u32 v6, v0, 2, 0
	s_lshl_b32 s20, s7, 2
	v_cmp_ne_u32_e64 s[2:3], 1, v2
	v_mov_b32_e32 v2, v0
	s_branch .LBB190_17
.LBB190_16:                             ;   in Loop: Header=BB190_17 Depth=1
	v_add_u32_e32 v2, s7, v2
	v_cmp_le_i32_e32 vcc, s16, v2
	s_or_b64 s[18:19], vcc, s[18:19]
	v_add_u32_e32 v6, s20, v6
	s_andn2_b64 exec, exec, s[18:19]
	s_cbranch_execz .LBB190_19
.LBB190_17:                             ; =>This Inner Loop Header: Depth=1
	ds_read_b32 v3, v6
	s_and_b64 vcc, exec, s[2:3]
	s_waitcnt lgkmcnt(0)
	v_mul_f32_e32 v7, v5, v3
	ds_write_b32 v6, v7
	s_cbranch_vccnz .LBB190_16
; %bb.18:                               ;   in Loop: Header=BB190_17 Depth=1
	v_ashrrev_i32_e32 v3, 31, v2
	v_lshlrev_b64 v[8:9], 1, v[2:3]
	v_mov_b32_e32 v3, s11
	v_add_co_u32_e32 v8, vcc, s10, v8
	v_addc_co_u32_e32 v9, vcc, v3, v9, vcc
	global_load_ushort v3, v[8:9], off
	s_waitcnt vmcnt(0)
	v_lshlrev_b32_e32 v3, 16, v3
	v_add_f32_e32 v3, v7, v3
	ds_write_b32 v6, v3
	s_branch .LBB190_16
.LBB190_19:
	s_or_b64 exec, exec, s[8:9]
	s_cmp_lt_i32 s17, 1
	s_waitcnt lgkmcnt(0)
	s_barrier
	s_cbranch_scc1 .LBB190_28
; %bb.20:
	s_add_u32 s2, s4, 56
	s_addc_u32 s3, s5, 0
	s_cmp_lg_u64 s[10:11], 0
	s_cselect_b64 s[8:9], -1, 0
	s_mov_b32 s7, 0
	v_mov_b32_e32 v2, 0
	v_mov_b32_e32 v5, 0
	;; [unrolled: 1-line block ×4, first 2 shown]
	s_branch .LBB190_22
.LBB190_21:                             ;   in Loop: Header=BB190_22 Depth=1
	s_lshl_b32 s19, s18, 2
	s_add_i32 s19, s19, 0
	v_mov_b32_e32 v7, s19
	ds_write_b32 v7, v6
	v_mov_b32_e32 v7, s18
	v_cmp_eq_u32_e32 vcc, s7, v0
	s_add_i32 s7, s7, 1
	v_cndmask_b32_e32 v2, v2, v7, vcc
	s_cmp_eq_u32 s7, s17
	v_cndmask_b32_e32 v3, v3, v9, vcc
	s_cbranch_scc1 .LBB190_29
.LBB190_22:                             ; =>This Loop Header: Depth=1
                                        ;     Child Loop BB190_24 Depth 2
	v_mov_b32_e32 v7, s7
	v_mov_b32_e32 v8, 0xff800000
	s_and_saveexec_b64 s[18:19], s[0:1]
	s_cbranch_execz .LBB190_26
; %bb.23:                               ;   in Loop: Header=BB190_22 Depth=1
	s_load_dword s22, s[2:3], 0xc
	s_mov_b64 s[20:21], 0
	v_mov_b32_e32 v7, s7
	v_mov_b32_e32 v8, 0xff800000
	;; [unrolled: 1-line block ×3, first 2 shown]
	s_waitcnt lgkmcnt(0)
	s_and_b32 s22, s22, 0xffff
	s_lshl_b32 s23, s22, 2
	v_mov_b32_e32 v10, v0
.LBB190_24:                             ;   Parent Loop BB190_22 Depth=1
                                        ; =>  This Inner Loop Header: Depth=2
	ds_read_b32 v11, v9
	v_add_u32_e32 v9, s23, v9
	s_waitcnt lgkmcnt(0)
	v_cmp_gt_f32_e32 vcc, v11, v8
	v_cndmask_b32_e32 v7, v7, v10, vcc
	v_add_u32_e32 v10, s22, v10
	v_cndmask_b32_e32 v8, v8, v11, vcc
	v_cmp_le_i32_e32 vcc, s16, v10
	s_or_b64 s[20:21], vcc, s[20:21]
	s_andn2_b64 exec, exec, s[20:21]
	s_cbranch_execnz .LBB190_24
; %bb.25:                               ;   in Loop: Header=BB190_22 Depth=1
	s_or_b64 exec, exec, s[20:21]
.LBB190_26:                             ;   in Loop: Header=BB190_22 Depth=1
	s_or_b64 exec, exec, s[18:19]
	;;#ASMSTART
	v_max_f32 v9, v8, v8 quad_perm:[1,0,3,2] row_mask:0xf bank_mask:0xf bound_ctrl:1
	;;#ASMEND
	;;#ASMSTART
	v_max_f32 v10, v9, v9 quad_perm:[2,3,0,1] row_mask:0xf bank_mask:0xf bound_ctrl:1
	;;#ASMEND
	;;#ASMSTART
	v_max_f32 v9, v10, v10 row_half_mirror row_mask:0xf bank_mask:0xf bound_ctrl:1
	;;#ASMEND
	;;#ASMSTART
	v_max_f32 v10, v9, v9 row_mirror row_mask:0xf bank_mask:0xf bound_ctrl:1
	;;#ASMEND
	;;#ASMSTART
	v_max_f32 v9, v10, v10 row_ror:4 row_mask:0xf bank_mask:0xf bound_ctrl:1
	;;#ASMEND
	;;#ASMSTART
	v_max_f32 v10, v9, v9 row_ror:8 row_mask:0xf bank_mask:0xf bound_ctrl:1
	;;#ASMEND
	;;#ASMSTART
	v_max_f32 v9, v10, v10 row_bcast:15 row_mask:0xf bank_mask:0xf bound_ctrl:1
	;;#ASMEND
	;;#ASMSTART
	v_max_f32 v10, v9, v9 row_bcast:31 row_mask:0xf bank_mask:0xf bound_ctrl:1
	;;#ASMEND
	ds_bpermute_b32 v9, v4, v10
	s_waitcnt lgkmcnt(0)
	v_cmp_eq_f32_e32 vcc, v8, v9
	s_ff1_i32_b64 s18, vcc
	s_cmp_lg_u64 vcc, 0
	s_cselect_b32 s18, s18, 0
	s_and_b64 vcc, exec, s[8:9]
	v_readlane_b32 s18, v7, s18
	s_cbranch_vccz .LBB190_21
; %bb.27:                               ;   in Loop: Header=BB190_22 Depth=1
	s_ashr_i32 s19, s18, 31
	s_lshl_b64 s[20:21], s[18:19], 1
	s_add_u32 s20, s10, s20
	s_addc_u32 s21, s11, s21
	global_load_ushort v7, v5, s[20:21]
	s_waitcnt vmcnt(0)
	v_lshlrev_b32_e32 v7, 16, v7
	v_sub_f32_e32 v9, v9, v7
	s_branch .LBB190_21
.LBB190_28:
	v_mov_b32_e32 v3, 0
	v_mov_b32_e32 v2, 0
.LBB190_29:
	v_cmp_gt_i32_e32 vcc, s17, v0
	s_and_saveexec_b64 s[0:1], vcc
	s_cbranch_execz .LBB190_32
; %bb.30:
	s_load_dword s2, s[4:5], 0x34
	s_load_dwordx2 s[0:1], s[4:5], 0x20
	s_ashr_i32 s3, s6, 31
	s_load_dword s4, s[4:5], 0x44
	v_mov_b32_e32 v4, s13
	s_waitcnt lgkmcnt(0)
	v_mul_f32_e32 v1, s2, v3
	s_mul_i32 s1, s6, s1
	s_mul_hi_u32 s2, s6, s0
	s_add_i32 s1, s2, s1
	s_mul_i32 s3, s3, s0
	s_add_i32 s5, s1, s3
	s_mul_i32 s2, s6, s0
	s_and_b32 s3, s4, 0xffff
	s_mov_b64 s[0:1], 0
	v_mov_b32_e32 v3, s5
	v_mov_b32_e32 v5, s15
.LBB190_31:                             ; =>This Inner Loop Header: Depth=1
	v_ashrrev_i32_e32 v7, 31, v0
	v_add_co_u32_e32 v6, vcc, s2, v0
	v_addc_co_u32_e32 v7, vcc, v3, v7, vcc
	v_add_u32_e32 v0, s3, v0
	v_cmp_le_i32_e32 vcc, s17, v0
	v_lshlrev_b64 v[6:7], 2, v[6:7]
	s_or_b64 s[0:1], vcc, s[0:1]
	v_add_co_u32_e32 v8, vcc, s12, v6
	v_addc_co_u32_e32 v9, vcc, v4, v7, vcc
	v_add_co_u32_e32 v6, vcc, s14, v6
	v_addc_co_u32_e32 v7, vcc, v5, v7, vcc
	global_store_dword v[8:9], v1, off
	global_store_dword v[6:7], v2, off
	s_andn2_b64 exec, exec, s[0:1]
	s_cbranch_execnz .LBB190_31
.LBB190_32:
	s_endpgm
	.section	.rodata,"a",@progbits
	.p2align	6, 0x0
	.amdhsa_kernel _ZN5aiter20topk_softplus_kernelI6__half12hip_bfloat16Dv1_fLb0ELi2EEEvPKT_PKT0_PfPimiiif
		.amdhsa_group_segment_fixed_size 0
		.amdhsa_private_segment_fixed_size 0
		.amdhsa_kernarg_size 312
		.amdhsa_user_sgpr_count 6
		.amdhsa_user_sgpr_private_segment_buffer 1
		.amdhsa_user_sgpr_dispatch_ptr 0
		.amdhsa_user_sgpr_queue_ptr 0
		.amdhsa_user_sgpr_kernarg_segment_ptr 1
		.amdhsa_user_sgpr_dispatch_id 0
		.amdhsa_user_sgpr_flat_scratch_init 0
		.amdhsa_user_sgpr_kernarg_preload_length 0
		.amdhsa_user_sgpr_kernarg_preload_offset 0
		.amdhsa_user_sgpr_private_segment_size 0
		.amdhsa_uses_dynamic_stack 0
		.amdhsa_system_sgpr_private_segment_wavefront_offset 0
		.amdhsa_system_sgpr_workgroup_id_x 1
		.amdhsa_system_sgpr_workgroup_id_y 0
		.amdhsa_system_sgpr_workgroup_id_z 0
		.amdhsa_system_sgpr_workgroup_info 0
		.amdhsa_system_vgpr_workitem_id 0
		.amdhsa_next_free_vgpr 12
		.amdhsa_next_free_sgpr 24
		.amdhsa_accum_offset 12
		.amdhsa_reserve_vcc 1
		.amdhsa_reserve_flat_scratch 0
		.amdhsa_float_round_mode_32 0
		.amdhsa_float_round_mode_16_64 0
		.amdhsa_float_denorm_mode_32 3
		.amdhsa_float_denorm_mode_16_64 3
		.amdhsa_dx10_clamp 1
		.amdhsa_ieee_mode 1
		.amdhsa_fp16_overflow 0
		.amdhsa_tg_split 0
		.amdhsa_exception_fp_ieee_invalid_op 0
		.amdhsa_exception_fp_denorm_src 0
		.amdhsa_exception_fp_ieee_div_zero 0
		.amdhsa_exception_fp_ieee_overflow 0
		.amdhsa_exception_fp_ieee_underflow 0
		.amdhsa_exception_fp_ieee_inexact 0
		.amdhsa_exception_int_div_zero 0
	.end_amdhsa_kernel
	.section	.text._ZN5aiter20topk_softplus_kernelI6__half12hip_bfloat16Dv1_fLb0ELi2EEEvPKT_PKT0_PfPimiiif,"axG",@progbits,_ZN5aiter20topk_softplus_kernelI6__half12hip_bfloat16Dv1_fLb0ELi2EEEvPKT_PKT0_PfPimiiif,comdat
.Lfunc_end190:
	.size	_ZN5aiter20topk_softplus_kernelI6__half12hip_bfloat16Dv1_fLb0ELi2EEEvPKT_PKT0_PfPimiiif, .Lfunc_end190-_ZN5aiter20topk_softplus_kernelI6__half12hip_bfloat16Dv1_fLb0ELi2EEEvPKT_PKT0_PfPimiiif
                                        ; -- End function
	.section	.AMDGPU.csdata,"",@progbits
; Kernel info:
; codeLenInByte = 1576
; NumSgprs: 28
; NumVgprs: 12
; NumAgprs: 0
; TotalNumVgprs: 12
; ScratchSize: 0
; MemoryBound: 0
; FloatMode: 240
; IeeeMode: 1
; LDSByteSize: 0 bytes/workgroup (compile time only)
; SGPRBlocks: 3
; VGPRBlocks: 1
; NumSGPRsForWavesPerEU: 28
; NumVGPRsForWavesPerEU: 12
; AccumOffset: 12
; Occupancy: 8
; WaveLimiterHint : 0
; COMPUTE_PGM_RSRC2:SCRATCH_EN: 0
; COMPUTE_PGM_RSRC2:USER_SGPR: 6
; COMPUTE_PGM_RSRC2:TRAP_HANDLER: 0
; COMPUTE_PGM_RSRC2:TGID_X_EN: 1
; COMPUTE_PGM_RSRC2:TGID_Y_EN: 0
; COMPUTE_PGM_RSRC2:TGID_Z_EN: 0
; COMPUTE_PGM_RSRC2:TIDIG_COMP_CNT: 0
; COMPUTE_PGM_RSRC3_GFX90A:ACCUM_OFFSET: 2
; COMPUTE_PGM_RSRC3_GFX90A:TG_SPLIT: 0
	.section	.text._ZN5aiter24topk_softplus_kernel_optI6__half12hip_bfloat16Li64ELb1ELi0EEEvPKT_PKT0_PfPimiif,"axG",@progbits,_ZN5aiter24topk_softplus_kernel_optI6__half12hip_bfloat16Li64ELb1ELi0EEEvPKT_PKT0_PfPimiif,comdat
	.protected	_ZN5aiter24topk_softplus_kernel_optI6__half12hip_bfloat16Li64ELb1ELi0EEEvPKT_PKT0_PfPimiif ; -- Begin function _ZN5aiter24topk_softplus_kernel_optI6__half12hip_bfloat16Li64ELb1ELi0EEEvPKT_PKT0_PfPimiif
	.globl	_ZN5aiter24topk_softplus_kernel_optI6__half12hip_bfloat16Li64ELb1ELi0EEEvPKT_PKT0_PfPimiif
	.p2align	8
	.type	_ZN5aiter24topk_softplus_kernel_optI6__half12hip_bfloat16Li64ELb1ELi0EEEvPKT_PKT0_PfPimiif,@function
_ZN5aiter24topk_softplus_kernel_optI6__half12hip_bfloat16Li64ELb1ELi0EEEvPKT_PKT0_PfPimiif: ; @_ZN5aiter24topk_softplus_kernel_optI6__half12hip_bfloat16Li64ELb1ELi0EEEvPKT_PKT0_PfPimiif
; %bb.0:
	s_load_dwordx4 s[0:3], s[4:5], 0x0
	s_lshl_b32 s8, s6, 6
	s_ashr_i32 s9, s8, 31
	s_lshl_b64 s[8:9], s[8:9], 1
	v_lshlrev_b32_e32 v2, 1, v0
	s_waitcnt lgkmcnt(0)
	s_add_u32 s0, s0, s8
	s_addc_u32 s1, s1, s9
	global_load_ushort v1, v2, s[0:1]
	s_mov_b32 s7, 0xc2fc0000
	v_mov_b32_e32 v4, 0x42800000
	s_mov_b32 s1, 0x3fb8aa3b
	v_mov_b32_e32 v5, 0x1f800000
	s_movk_i32 s0, 0x4d00
	s_cmp_eq_u64 s[2:3], 0
	s_waitcnt vmcnt(0)
	v_cvt_f32_f16_e32 v3, v1
	v_mul_f32_e32 v6, 0x3fb8aa3b, v3
	v_cmp_gt_f32_e32 vcc, s7, v6
	v_cndmask_b32_e32 v4, 0, v4, vcc
	v_fma_mix_f32 v4, v1, s1, v4 op_sel_hi:[1,0,0]
	v_exp_f32_e32 v4, v4
	v_cndmask_b32_e32 v5, 1.0, v5, vcc
	s_mov_b32 s1, 0x800000
	v_mov_b32_e32 v6, 0x4f800000
	v_fma_f32 v4, v4, v5, 1.0
	v_cmp_gt_f32_e32 vcc, s1, v4
	v_cndmask_b32_e32 v5, 1.0, v6, vcc
	v_mul_f32_e32 v4, v4, v5
	v_log_f32_e32 v4, v4
	v_mov_b32_e32 v5, 0x42000000
	v_cndmask_b32_e32 v5, 0, v5, vcc
	v_cmp_lt_f16_e32 vcc, s0, v1
	v_sub_f32_e32 v4, v4, v5
	v_mul_f32_e32 v4, 0x3f317218, v4
	s_mov_b32 s1, 0xf800000
	v_cndmask_b32_e32 v1, v4, v3, vcc
	v_mul_f32_e32 v3, 0x4f800000, v1
	v_cmp_gt_f32_e32 vcc, s1, v1
	v_cndmask_b32_e32 v3, v1, v3, vcc
	v_sqrt_f32_e32 v4, v3
	v_mov_b32_e32 v5, 0x260
	v_mov_b32_e32 v1, 0
	v_add_u32_e32 v6, -1, v4
	v_add_u32_e32 v7, 1, v4
	v_fma_f32 v8, -v6, v4, v3
	v_fma_f32 v9, -v7, v4, v3
	v_cmp_ge_f32_e64 s[0:1], 0, v8
	v_cndmask_b32_e64 v4, v4, v6, s[0:1]
	v_cmp_lt_f32_e64 s[0:1], 0, v9
	v_cndmask_b32_e64 v4, v4, v7, s[0:1]
	v_mul_f32_e32 v6, 0x37800000, v4
	v_cndmask_b32_e32 v4, v4, v6, vcc
	v_cmp_class_f32_e32 vcc, v3, v5
	v_cndmask_b32_e32 v3, v4, v3, vcc
	v_mov_b32_e32 v4, v3
	s_cbranch_scc1 .LBB191_2
; %bb.1:
	global_load_ushort v2, v2, s[2:3]
	s_waitcnt vmcnt(0)
	v_lshlrev_b32_e32 v2, 16, v2
	v_add_f32_e32 v4, v3, v2
.LBB191_2:
	s_load_dword s2, s[4:5], 0x28
	s_load_dwordx4 s[8:11], s[4:5], 0x10
	s_mov_b32 s3, 0
	v_mov_b32_e32 v5, 0
	v_mov_b32_e32 v2, 0
	s_waitcnt lgkmcnt(0)
	s_cmp_lt_i32 s2, 1
	s_cbranch_scc1 .LBB191_5
; %bb.3:
	v_mbcnt_lo_u32_b32 v1, -1, 0
	v_mbcnt_hi_u32_b32 v1, -1, v1
	v_bfrev_b32_e32 v2, 0.5
	v_mov_b32_e32 v6, 0
	v_mov_b32_e32 v7, 0xff800000
	v_lshl_or_b32 v8, v1, 2, v2
	v_mov_b32_e32 v5, 0
	v_mov_b32_e32 v1, 0
	;; [unrolled: 1-line block ×3, first 2 shown]
.LBB191_4:                              ; =>This Inner Loop Header: Depth=1
	v_cmp_eq_u32_e32 vcc, 0, v6
	v_cndmask_b32_e32 v9, v7, v4, vcc
	;;#ASMSTART
	v_max_f32 v11, v9, v9 quad_perm:[1,0,3,2] row_mask:0xf bank_mask:0xf bound_ctrl:1
	;;#ASMEND
	;;#ASMSTART
	v_max_f32 v12, v11, v11 quad_perm:[2,3,0,1] row_mask:0xf bank_mask:0xf bound_ctrl:1
	;;#ASMEND
	;;#ASMSTART
	v_max_f32 v11, v12, v12 row_half_mirror row_mask:0xf bank_mask:0xf bound_ctrl:1
	;;#ASMEND
	;;#ASMSTART
	v_max_f32 v12, v11, v11 row_mirror row_mask:0xf bank_mask:0xf bound_ctrl:1
	;;#ASMEND
	;;#ASMSTART
	v_max_f32 v11, v12, v12 row_ror:4 row_mask:0xf bank_mask:0xf bound_ctrl:1
	;;#ASMEND
	;;#ASMSTART
	v_max_f32 v12, v11, v11 row_ror:8 row_mask:0xf bank_mask:0xf bound_ctrl:1
	;;#ASMEND
	;;#ASMSTART
	v_max_f32 v11, v12, v12 row_bcast:15 row_mask:0xf bank_mask:0xf bound_ctrl:1
	;;#ASMEND
	;;#ASMSTART
	v_max_f32 v12, v11, v11 row_bcast:31 row_mask:0xf bank_mask:0xf bound_ctrl:1
	;;#ASMEND
	ds_bpermute_b32 v11, v8, v12
	v_cndmask_b32_e32 v10, 0, v0, vcc
	s_waitcnt lgkmcnt(0)
	v_cmp_eq_f32_e64 s[0:1], v9, v11
	s_ff1_i32_b64 s7, s[0:1]
	s_cmp_lg_u64 s[0:1], 0
	s_cselect_b32 s0, s7, 0
	s_nop 0
	v_readlane_b32 s7, v10, s0
	v_cmp_eq_u32_e64 s[0:1], s7, v0
	s_and_b64 vcc, vcc, s[0:1]
	s_and_b32 s12, s7, 63
	v_cndmask_b32_e32 v10, 0, v3, vcc
	v_addc_co_u32_e32 v6, vcc, 0, v6, vcc
	v_readlane_b32 s0, v10, s12
	v_mov_b32_e32 v9, s7
	v_mov_b32_e32 v10, s0
	v_cmp_eq_u32_e32 vcc, s3, v0
	s_add_i32 s3, s3, 1
	v_add_f32_e32 v5, s0, v5
	v_cndmask_b32_e32 v2, v2, v10, vcc
	s_cmp_eq_u32 s2, s3
	v_cndmask_b32_e32 v1, v1, v9, vcc
	s_cbranch_scc0 .LBB191_4
.LBB191_5:
	v_cmp_gt_i32_e32 vcc, s2, v0
	s_and_saveexec_b64 s[0:1], vcc
	s_cbranch_execz .LBB191_7
; %bb.6:
	s_load_dword s2, s[4:5], 0x30
	v_max_f32_e32 v3, v5, v5
	v_max_f32_e32 v3, 0x1e3ce508, v3
	v_lshlrev_b32_e32 v0, 2, v0
	s_waitcnt lgkmcnt(0)
	v_div_scale_f32 v4, s[0:1], v3, v3, s2
	v_rcp_f32_e32 v5, v4
	v_div_scale_f32 v6, vcc, s2, v3, s2
	s_load_dwordx2 s[0:1], s[4:5], 0x20
	v_fma_f32 v7, -v4, v5, 1.0
	v_fmac_f32_e32 v5, v7, v5
	v_mul_f32_e32 v7, v6, v5
	v_fma_f32 v8, -v4, v7, v6
	v_fmac_f32_e32 v7, v8, v5
	v_fma_f32 v4, -v4, v7, v6
	v_div_fmas_f32 v4, v4, v5, v7
	v_div_fixup_f32 v3, v4, v3, s2
	s_ashr_i32 s2, s6, 31
	s_waitcnt lgkmcnt(0)
	s_mul_i32 s1, s6, s1
	s_mul_hi_u32 s3, s6, s0
	s_add_i32 s1, s3, s1
	s_mul_i32 s2, s2, s0
	s_add_i32 s1, s1, s2
	s_mul_i32 s0, s6, s0
	s_lshl_b64 s[0:1], s[0:1], 2
	s_add_u32 s2, s8, s0
	s_addc_u32 s3, s9, s1
	s_add_u32 s0, s10, s0
	v_mul_f32_e32 v2, v2, v3
	s_addc_u32 s1, s11, s1
	global_store_dword v0, v2, s[2:3]
	global_store_dword v0, v1, s[0:1]
.LBB191_7:
	s_endpgm
	.section	.rodata,"a",@progbits
	.p2align	6, 0x0
	.amdhsa_kernel _ZN5aiter24topk_softplus_kernel_optI6__half12hip_bfloat16Li64ELb1ELi0EEEvPKT_PKT0_PfPimiif
		.amdhsa_group_segment_fixed_size 0
		.amdhsa_private_segment_fixed_size 0
		.amdhsa_kernarg_size 52
		.amdhsa_user_sgpr_count 6
		.amdhsa_user_sgpr_private_segment_buffer 1
		.amdhsa_user_sgpr_dispatch_ptr 0
		.amdhsa_user_sgpr_queue_ptr 0
		.amdhsa_user_sgpr_kernarg_segment_ptr 1
		.amdhsa_user_sgpr_dispatch_id 0
		.amdhsa_user_sgpr_flat_scratch_init 0
		.amdhsa_user_sgpr_kernarg_preload_length 0
		.amdhsa_user_sgpr_kernarg_preload_offset 0
		.amdhsa_user_sgpr_private_segment_size 0
		.amdhsa_uses_dynamic_stack 0
		.amdhsa_system_sgpr_private_segment_wavefront_offset 0
		.amdhsa_system_sgpr_workgroup_id_x 1
		.amdhsa_system_sgpr_workgroup_id_y 0
		.amdhsa_system_sgpr_workgroup_id_z 0
		.amdhsa_system_sgpr_workgroup_info 0
		.amdhsa_system_vgpr_workitem_id 0
		.amdhsa_next_free_vgpr 13
		.amdhsa_next_free_sgpr 13
		.amdhsa_accum_offset 16
		.amdhsa_reserve_vcc 1
		.amdhsa_reserve_flat_scratch 0
		.amdhsa_float_round_mode_32 0
		.amdhsa_float_round_mode_16_64 0
		.amdhsa_float_denorm_mode_32 3
		.amdhsa_float_denorm_mode_16_64 3
		.amdhsa_dx10_clamp 1
		.amdhsa_ieee_mode 1
		.amdhsa_fp16_overflow 0
		.amdhsa_tg_split 0
		.amdhsa_exception_fp_ieee_invalid_op 0
		.amdhsa_exception_fp_denorm_src 0
		.amdhsa_exception_fp_ieee_div_zero 0
		.amdhsa_exception_fp_ieee_overflow 0
		.amdhsa_exception_fp_ieee_underflow 0
		.amdhsa_exception_fp_ieee_inexact 0
		.amdhsa_exception_int_div_zero 0
	.end_amdhsa_kernel
	.section	.text._ZN5aiter24topk_softplus_kernel_optI6__half12hip_bfloat16Li64ELb1ELi0EEEvPKT_PKT0_PfPimiif,"axG",@progbits,_ZN5aiter24topk_softplus_kernel_optI6__half12hip_bfloat16Li64ELb1ELi0EEEvPKT_PKT0_PfPimiif,comdat
.Lfunc_end191:
	.size	_ZN5aiter24topk_softplus_kernel_optI6__half12hip_bfloat16Li64ELb1ELi0EEEvPKT_PKT0_PfPimiif, .Lfunc_end191-_ZN5aiter24topk_softplus_kernel_optI6__half12hip_bfloat16Li64ELb1ELi0EEEvPKT_PKT0_PfPimiif
                                        ; -- End function
	.section	.AMDGPU.csdata,"",@progbits
; Kernel info:
; codeLenInByte = 816
; NumSgprs: 17
; NumVgprs: 13
; NumAgprs: 0
; TotalNumVgprs: 13
; ScratchSize: 0
; MemoryBound: 0
; FloatMode: 240
; IeeeMode: 1
; LDSByteSize: 0 bytes/workgroup (compile time only)
; SGPRBlocks: 2
; VGPRBlocks: 1
; NumSGPRsForWavesPerEU: 17
; NumVGPRsForWavesPerEU: 13
; AccumOffset: 16
; Occupancy: 8
; WaveLimiterHint : 0
; COMPUTE_PGM_RSRC2:SCRATCH_EN: 0
; COMPUTE_PGM_RSRC2:USER_SGPR: 6
; COMPUTE_PGM_RSRC2:TRAP_HANDLER: 0
; COMPUTE_PGM_RSRC2:TGID_X_EN: 1
; COMPUTE_PGM_RSRC2:TGID_Y_EN: 0
; COMPUTE_PGM_RSRC2:TGID_Z_EN: 0
; COMPUTE_PGM_RSRC2:TIDIG_COMP_CNT: 0
; COMPUTE_PGM_RSRC3_GFX90A:ACCUM_OFFSET: 3
; COMPUTE_PGM_RSRC3_GFX90A:TG_SPLIT: 0
	.section	.text._ZN5aiter24topk_softplus_kernel_optI6__half12hip_bfloat16Li64ELb0ELi0EEEvPKT_PKT0_PfPimiif,"axG",@progbits,_ZN5aiter24topk_softplus_kernel_optI6__half12hip_bfloat16Li64ELb0ELi0EEEvPKT_PKT0_PfPimiif,comdat
	.protected	_ZN5aiter24topk_softplus_kernel_optI6__half12hip_bfloat16Li64ELb0ELi0EEEvPKT_PKT0_PfPimiif ; -- Begin function _ZN5aiter24topk_softplus_kernel_optI6__half12hip_bfloat16Li64ELb0ELi0EEEvPKT_PKT0_PfPimiif
	.globl	_ZN5aiter24topk_softplus_kernel_optI6__half12hip_bfloat16Li64ELb0ELi0EEEvPKT_PKT0_PfPimiif
	.p2align	8
	.type	_ZN5aiter24topk_softplus_kernel_optI6__half12hip_bfloat16Li64ELb0ELi0EEEvPKT_PKT0_PfPimiif,@function
_ZN5aiter24topk_softplus_kernel_optI6__half12hip_bfloat16Li64ELb0ELi0EEEvPKT_PKT0_PfPimiif: ; @_ZN5aiter24topk_softplus_kernel_optI6__half12hip_bfloat16Li64ELb0ELi0EEEvPKT_PKT0_PfPimiif
; %bb.0:
	s_load_dwordx4 s[0:3], s[4:5], 0x0
	s_lshl_b32 s8, s6, 6
	s_ashr_i32 s9, s8, 31
	s_lshl_b64 s[8:9], s[8:9], 1
	v_lshlrev_b32_e32 v2, 1, v0
	s_waitcnt lgkmcnt(0)
	s_add_u32 s0, s0, s8
	s_addc_u32 s1, s1, s9
	global_load_ushort v1, v2, s[0:1]
	s_mov_b32 s7, 0xc2fc0000
	v_mov_b32_e32 v4, 0x42800000
	s_mov_b32 s1, 0x3fb8aa3b
	v_mov_b32_e32 v5, 0x1f800000
	s_movk_i32 s0, 0x4d00
	s_cmp_eq_u64 s[2:3], 0
	s_waitcnt vmcnt(0)
	v_cvt_f32_f16_e32 v3, v1
	v_mul_f32_e32 v6, 0x3fb8aa3b, v3
	v_cmp_gt_f32_e32 vcc, s7, v6
	v_cndmask_b32_e32 v4, 0, v4, vcc
	v_fma_mix_f32 v4, v1, s1, v4 op_sel_hi:[1,0,0]
	v_exp_f32_e32 v4, v4
	v_cndmask_b32_e32 v5, 1.0, v5, vcc
	s_mov_b32 s1, 0x800000
	v_mov_b32_e32 v6, 0x4f800000
	v_fma_f32 v4, v4, v5, 1.0
	v_cmp_gt_f32_e32 vcc, s1, v4
	v_cndmask_b32_e32 v5, 1.0, v6, vcc
	v_mul_f32_e32 v4, v4, v5
	v_log_f32_e32 v4, v4
	v_mov_b32_e32 v5, 0x42000000
	v_cndmask_b32_e32 v5, 0, v5, vcc
	v_cmp_lt_f16_e32 vcc, s0, v1
	v_sub_f32_e32 v4, v4, v5
	v_mul_f32_e32 v4, 0x3f317218, v4
	s_mov_b32 s1, 0xf800000
	v_cndmask_b32_e32 v1, v4, v3, vcc
	v_mul_f32_e32 v3, 0x4f800000, v1
	v_cmp_gt_f32_e32 vcc, s1, v1
	v_cndmask_b32_e32 v3, v1, v3, vcc
	v_sqrt_f32_e32 v4, v3
	v_mov_b32_e32 v5, 0x260
	v_mov_b32_e32 v1, 0
	v_add_u32_e32 v6, -1, v4
	v_add_u32_e32 v7, 1, v4
	v_fma_f32 v8, -v6, v4, v3
	v_fma_f32 v9, -v7, v4, v3
	v_cmp_ge_f32_e64 s[0:1], 0, v8
	v_cndmask_b32_e64 v4, v4, v6, s[0:1]
	v_cmp_lt_f32_e64 s[0:1], 0, v9
	v_cndmask_b32_e64 v4, v4, v7, s[0:1]
	v_mul_f32_e32 v6, 0x37800000, v4
	v_cndmask_b32_e32 v4, v4, v6, vcc
	v_cmp_class_f32_e32 vcc, v3, v5
	v_cndmask_b32_e32 v3, v4, v3, vcc
	v_mov_b32_e32 v4, v3
	s_cbranch_scc1 .LBB192_2
; %bb.1:
	global_load_ushort v2, v2, s[2:3]
	s_waitcnt vmcnt(0)
	v_lshlrev_b32_e32 v2, 16, v2
	v_add_f32_e32 v4, v3, v2
.LBB192_2:
	s_load_dword s2, s[4:5], 0x28
	s_load_dwordx4 s[8:11], s[4:5], 0x10
	s_waitcnt lgkmcnt(0)
	s_cmp_lt_i32 s2, 1
	s_cbranch_scc1 .LBB192_8
; %bb.3:
	v_mbcnt_lo_u32_b32 v1, -1, 0
	v_mbcnt_hi_u32_b32 v1, -1, v1
	v_bfrev_b32_e32 v7, 0.5
	s_mov_b32 s3, 0
	v_mov_b32_e32 v5, 0
	v_mov_b32_e32 v2, 0
	;; [unrolled: 1-line block ×3, first 2 shown]
	v_lshl_or_b32 v7, v1, 2, v7
	v_mov_b32_e32 v1, 0
.LBB192_4:                              ; =>This Inner Loop Header: Depth=1
	v_cmp_eq_u32_e32 vcc, 0, v5
	v_cndmask_b32_e32 v8, v6, v4, vcc
	;;#ASMSTART
	v_max_f32 v10, v8, v8 quad_perm:[1,0,3,2] row_mask:0xf bank_mask:0xf bound_ctrl:1
	;;#ASMEND
	;;#ASMSTART
	v_max_f32 v11, v10, v10 quad_perm:[2,3,0,1] row_mask:0xf bank_mask:0xf bound_ctrl:1
	;;#ASMEND
	;;#ASMSTART
	v_max_f32 v10, v11, v11 row_half_mirror row_mask:0xf bank_mask:0xf bound_ctrl:1
	;;#ASMEND
	;;#ASMSTART
	v_max_f32 v11, v10, v10 row_mirror row_mask:0xf bank_mask:0xf bound_ctrl:1
	;;#ASMEND
	;;#ASMSTART
	v_max_f32 v10, v11, v11 row_ror:4 row_mask:0xf bank_mask:0xf bound_ctrl:1
	;;#ASMEND
	;;#ASMSTART
	v_max_f32 v11, v10, v10 row_ror:8 row_mask:0xf bank_mask:0xf bound_ctrl:1
	;;#ASMEND
	;;#ASMSTART
	v_max_f32 v10, v11, v11 row_bcast:15 row_mask:0xf bank_mask:0xf bound_ctrl:1
	;;#ASMEND
	;;#ASMSTART
	v_max_f32 v11, v10, v10 row_bcast:31 row_mask:0xf bank_mask:0xf bound_ctrl:1
	;;#ASMEND
	ds_bpermute_b32 v10, v7, v11
	v_cndmask_b32_e32 v9, 0, v0, vcc
	s_waitcnt lgkmcnt(0)
	v_cmp_eq_f32_e64 s[0:1], v8, v10
	s_ff1_i32_b64 s7, s[0:1]
	s_cmp_lg_u64 s[0:1], 0
	s_cselect_b32 s0, s7, 0
	s_nop 0
	v_readlane_b32 s7, v9, s0
	v_cmp_eq_u32_e64 s[0:1], s7, v0
	s_and_b64 vcc, vcc, s[0:1]
	s_and_b32 s12, s7, 63
	v_cndmask_b32_e32 v9, 0, v3, vcc
	v_addc_co_u32_e32 v5, vcc, 0, v5, vcc
	v_readlane_b32 s0, v9, s12
	v_mov_b32_e32 v8, s7
	v_mov_b32_e32 v9, s0
	v_cmp_eq_u32_e32 vcc, s3, v0
	s_add_i32 s3, s3, 1
	v_cndmask_b32_e32 v2, v2, v9, vcc
	s_cmp_eq_u32 s2, s3
	v_cndmask_b32_e32 v1, v1, v8, vcc
	s_cbranch_scc0 .LBB192_4
; %bb.5:
	v_cmp_gt_i32_e32 vcc, s2, v0
	s_and_saveexec_b64 s[0:1], vcc
	s_cbranch_execz .LBB192_7
.LBB192_6:
	s_load_dword s2, s[4:5], 0x30
	s_load_dwordx2 s[0:1], s[4:5], 0x20
	s_ashr_i32 s3, s6, 31
	v_lshlrev_b32_e32 v0, 2, v0
	s_waitcnt lgkmcnt(0)
	v_mul_f32_e32 v2, s2, v2
	s_mul_i32 s1, s6, s1
	s_mul_hi_u32 s2, s6, s0
	s_add_i32 s1, s2, s1
	s_mul_i32 s3, s3, s0
	s_add_i32 s1, s1, s3
	s_mul_i32 s0, s6, s0
	s_lshl_b64 s[0:1], s[0:1], 2
	s_add_u32 s2, s8, s0
	s_addc_u32 s3, s9, s1
	s_add_u32 s0, s10, s0
	s_addc_u32 s1, s11, s1
	global_store_dword v0, v2, s[2:3]
	global_store_dword v0, v1, s[0:1]
.LBB192_7:
	s_endpgm
.LBB192_8:
	v_mov_b32_e32 v2, 0
	v_cmp_gt_i32_e32 vcc, s2, v0
	s_and_saveexec_b64 s[0:1], vcc
	s_cbranch_execnz .LBB192_6
	s_branch .LBB192_7
	.section	.rodata,"a",@progbits
	.p2align	6, 0x0
	.amdhsa_kernel _ZN5aiter24topk_softplus_kernel_optI6__half12hip_bfloat16Li64ELb0ELi0EEEvPKT_PKT0_PfPimiif
		.amdhsa_group_segment_fixed_size 0
		.amdhsa_private_segment_fixed_size 0
		.amdhsa_kernarg_size 52
		.amdhsa_user_sgpr_count 6
		.amdhsa_user_sgpr_private_segment_buffer 1
		.amdhsa_user_sgpr_dispatch_ptr 0
		.amdhsa_user_sgpr_queue_ptr 0
		.amdhsa_user_sgpr_kernarg_segment_ptr 1
		.amdhsa_user_sgpr_dispatch_id 0
		.amdhsa_user_sgpr_flat_scratch_init 0
		.amdhsa_user_sgpr_kernarg_preload_length 0
		.amdhsa_user_sgpr_kernarg_preload_offset 0
		.amdhsa_user_sgpr_private_segment_size 0
		.amdhsa_uses_dynamic_stack 0
		.amdhsa_system_sgpr_private_segment_wavefront_offset 0
		.amdhsa_system_sgpr_workgroup_id_x 1
		.amdhsa_system_sgpr_workgroup_id_y 0
		.amdhsa_system_sgpr_workgroup_id_z 0
		.amdhsa_system_sgpr_workgroup_info 0
		.amdhsa_system_vgpr_workitem_id 0
		.amdhsa_next_free_vgpr 12
		.amdhsa_next_free_sgpr 13
		.amdhsa_accum_offset 12
		.amdhsa_reserve_vcc 1
		.amdhsa_reserve_flat_scratch 0
		.amdhsa_float_round_mode_32 0
		.amdhsa_float_round_mode_16_64 0
		.amdhsa_float_denorm_mode_32 3
		.amdhsa_float_denorm_mode_16_64 3
		.amdhsa_dx10_clamp 1
		.amdhsa_ieee_mode 1
		.amdhsa_fp16_overflow 0
		.amdhsa_tg_split 0
		.amdhsa_exception_fp_ieee_invalid_op 0
		.amdhsa_exception_fp_denorm_src 0
		.amdhsa_exception_fp_ieee_div_zero 0
		.amdhsa_exception_fp_ieee_overflow 0
		.amdhsa_exception_fp_ieee_underflow 0
		.amdhsa_exception_fp_ieee_inexact 0
		.amdhsa_exception_int_div_zero 0
	.end_amdhsa_kernel
	.section	.text._ZN5aiter24topk_softplus_kernel_optI6__half12hip_bfloat16Li64ELb0ELi0EEEvPKT_PKT0_PfPimiif,"axG",@progbits,_ZN5aiter24topk_softplus_kernel_optI6__half12hip_bfloat16Li64ELb0ELi0EEEvPKT_PKT0_PfPimiif,comdat
.Lfunc_end192:
	.size	_ZN5aiter24topk_softplus_kernel_optI6__half12hip_bfloat16Li64ELb0ELi0EEEvPKT_PKT0_PfPimiif, .Lfunc_end192-_ZN5aiter24topk_softplus_kernel_optI6__half12hip_bfloat16Li64ELb0ELi0EEEvPKT_PKT0_PfPimiif
                                        ; -- End function
	.section	.AMDGPU.csdata,"",@progbits
; Kernel info:
; codeLenInByte = 732
; NumSgprs: 17
; NumVgprs: 12
; NumAgprs: 0
; TotalNumVgprs: 12
; ScratchSize: 0
; MemoryBound: 0
; FloatMode: 240
; IeeeMode: 1
; LDSByteSize: 0 bytes/workgroup (compile time only)
; SGPRBlocks: 2
; VGPRBlocks: 1
; NumSGPRsForWavesPerEU: 17
; NumVGPRsForWavesPerEU: 12
; AccumOffset: 12
; Occupancy: 8
; WaveLimiterHint : 0
; COMPUTE_PGM_RSRC2:SCRATCH_EN: 0
; COMPUTE_PGM_RSRC2:USER_SGPR: 6
; COMPUTE_PGM_RSRC2:TRAP_HANDLER: 0
; COMPUTE_PGM_RSRC2:TGID_X_EN: 1
; COMPUTE_PGM_RSRC2:TGID_Y_EN: 0
; COMPUTE_PGM_RSRC2:TGID_Z_EN: 0
; COMPUTE_PGM_RSRC2:TIDIG_COMP_CNT: 0
; COMPUTE_PGM_RSRC3_GFX90A:ACCUM_OFFSET: 2
; COMPUTE_PGM_RSRC3_GFX90A:TG_SPLIT: 0
	.section	.text._ZN5aiter24topk_softplus_kernel_optI6__half12hip_bfloat16Li128ELb1ELi0EEEvPKT_PKT0_PfPimiif,"axG",@progbits,_ZN5aiter24topk_softplus_kernel_optI6__half12hip_bfloat16Li128ELb1ELi0EEEvPKT_PKT0_PfPimiif,comdat
	.protected	_ZN5aiter24topk_softplus_kernel_optI6__half12hip_bfloat16Li128ELb1ELi0EEEvPKT_PKT0_PfPimiif ; -- Begin function _ZN5aiter24topk_softplus_kernel_optI6__half12hip_bfloat16Li128ELb1ELi0EEEvPKT_PKT0_PfPimiif
	.globl	_ZN5aiter24topk_softplus_kernel_optI6__half12hip_bfloat16Li128ELb1ELi0EEEvPKT_PKT0_PfPimiif
	.p2align	8
	.type	_ZN5aiter24topk_softplus_kernel_optI6__half12hip_bfloat16Li128ELb1ELi0EEEvPKT_PKT0_PfPimiif,@function
_ZN5aiter24topk_softplus_kernel_optI6__half12hip_bfloat16Li128ELb1ELi0EEEvPKT_PKT0_PfPimiif: ; @_ZN5aiter24topk_softplus_kernel_optI6__half12hip_bfloat16Li128ELb1ELi0EEEvPKT_PKT0_PfPimiif
; %bb.0:
	s_load_dwordx4 s[8:11], s[4:5], 0x0
	s_lshl_b32 s0, s6, 7
	s_ashr_i32 s1, s0, 31
	s_lshl_b64 s[0:1], s[0:1], 1
	v_lshlrev_b32_e32 v1, 1, v0
	s_waitcnt lgkmcnt(0)
	s_add_u32 s0, s8, s0
	s_addc_u32 s1, s9, s1
	global_load_ushort v2, v1, s[0:1]
	s_mov_b32 s13, 0xc2fc0000
	v_mov_b32_e32 v5, 0x42800000
	s_mov_b32 s12, 0x3fb8aa3b
	v_mov_b32_e32 v7, 0x1f800000
	;; [unrolled: 2-line block ×3, first 2 shown]
	v_mov_b32_e32 v9, 0x42000000
	s_movk_i32 s7, 0x4d00
	s_mov_b32 s15, 0xf800000
	s_cmp_lg_u64 s[10:11], 0
	s_cselect_b64 s[8:9], -1, 0
	s_waitcnt vmcnt(0)
	v_cvt_f32_f16_e32 v3, v2
	v_mul_f32_e32 v4, 0x3fb8aa3b, v3
	v_cmp_gt_f32_e32 vcc, s13, v4
	v_cndmask_b32_e32 v4, 0, v5, vcc
	v_fma_mix_f32 v4, v2, s12, v4 op_sel_hi:[1,0,0]
	v_exp_f32_e32 v6, v4
	v_cndmask_b32_e32 v10, 1.0, v7, vcc
	v_mov_b32_e32 v4, 0x260
	v_fma_f32 v6, v6, v10, 1.0
	v_cmp_gt_f32_e32 vcc, s14, v6
	v_cndmask_b32_e32 v10, 1.0, v8, vcc
	v_mul_f32_e32 v6, v6, v10
	v_log_f32_e32 v6, v6
	v_cndmask_b32_e32 v11, 0, v9, vcc
	v_cmp_lt_f16_e32 vcc, s7, v2
	v_mov_b32_e32 v10, s1
	v_sub_f32_e32 v6, v6, v11
	v_mul_f32_e32 v6, 0x3f317218, v6
	v_cndmask_b32_e32 v2, v6, v3, vcc
	v_mul_f32_e32 v3, 0x4f800000, v2
	v_cmp_gt_f32_e32 vcc, s15, v2
	v_cndmask_b32_e32 v6, v2, v3, vcc
	v_sqrt_f32_e32 v11, v6
	v_add_co_u32_e64 v2, s[0:1], s0, v1
	v_addc_co_u32_e64 v3, s[0:1], 0, v10, s[0:1]
	v_add_u32_e32 v10, -1, v11
	v_add_u32_e32 v12, 1, v11
	v_fma_f32 v13, -v10, v11, v6
	v_fma_f32 v14, -v12, v11, v6
	v_cmp_ge_f32_e64 s[2:3], 0, v13
	v_cndmask_b32_e64 v10, v11, v10, s[2:3]
	v_cmp_lt_f32_e64 s[2:3], 0, v14
	v_cndmask_b32_e64 v10, v10, v12, s[2:3]
	v_mul_f32_e32 v11, 0x37800000, v10
	v_cndmask_b32_e32 v10, v10, v11, vcc
	v_cmp_class_f32_e32 vcc, v6, v4
	s_and_b64 s[0:1], exec, s[8:9]
	v_cndmask_b32_e32 v6, v10, v6, vcc
	v_mov_b32_e32 v10, v6
	s_mov_b64 vcc, s[0:1]
	s_cbranch_vccz .LBB193_2
; %bb.1:
	global_load_ushort v10, v1, s[10:11]
	s_waitcnt vmcnt(0)
	v_lshlrev_b32_e32 v10, 16, v10
	v_add_f32_e32 v10, v6, v10
.LBB193_2:
	global_load_ushort v2, v[2:3], off offset:128
	s_waitcnt vmcnt(0)
	v_cvt_f32_f16_e32 v3, v2
	v_mul_f32_e32 v11, 0x3fb8aa3b, v3
	v_cmp_gt_f32_e32 vcc, s13, v11
	v_cndmask_b32_e32 v5, 0, v5, vcc
	v_fma_mix_f32 v5, v2, s12, v5 op_sel_hi:[1,0,0]
	v_exp_f32_e32 v5, v5
	v_cndmask_b32_e32 v7, 1.0, v7, vcc
	v_fma_f32 v5, v5, v7, 1.0
	v_cmp_gt_f32_e32 vcc, s14, v5
	v_cndmask_b32_e32 v7, 1.0, v8, vcc
	v_mul_f32_e32 v5, v5, v7
	v_log_f32_e32 v5, v5
	v_cndmask_b32_e32 v7, 0, v9, vcc
	v_cmp_lt_f16_e32 vcc, s7, v2
	v_sub_f32_e32 v5, v5, v7
	v_mul_f32_e32 v5, 0x3f317218, v5
	v_cndmask_b32_e32 v2, v5, v3, vcc
	v_mul_f32_e32 v3, 0x4f800000, v2
	v_cmp_gt_f32_e32 vcc, s15, v2
	v_cndmask_b32_e32 v2, v2, v3, vcc
	v_sqrt_f32_e32 v3, v2
	v_add_u32_e32 v5, -1, v3
	v_add_u32_e32 v7, 1, v3
	v_fma_f32 v8, -v5, v3, v2
	v_fma_f32 v9, -v7, v3, v2
	v_cmp_ge_f32_e64 s[0:1], 0, v8
	v_cndmask_b32_e64 v3, v3, v5, s[0:1]
	v_cmp_lt_f32_e64 s[0:1], 0, v9
	v_cndmask_b32_e64 v3, v3, v7, s[0:1]
	v_mul_f32_e32 v5, 0x37800000, v3
	v_cndmask_b32_e32 v3, v3, v5, vcc
	v_cmp_class_f32_e32 vcc, v2, v4
	v_cndmask_b32_e32 v11, v3, v2, vcc
	s_andn2_b64 vcc, exec, s[8:9]
	v_mov_b32_e32 v4, v11
	s_cbranch_vccnz .LBB193_4
; %bb.3:
	global_load_ushort v1, v1, s[10:11] offset:128
	s_waitcnt vmcnt(0)
	v_lshlrev_b32_e32 v1, 16, v1
	v_add_f32_e32 v4, v11, v1
.LBB193_4:
	s_load_dword s2, s[4:5], 0x28
	s_load_dwordx4 s[8:11], s[4:5], 0x10
	v_mov_b32_e32 v9, 0
	v_mov_b32_e32 v7, 0
	;; [unrolled: 1-line block ×3, first 2 shown]
	s_waitcnt lgkmcnt(0)
	s_cmp_gt_i32 s2, 0
	s_cbranch_scc0 .LBB193_7
; %bb.5:
	v_mbcnt_lo_u32_b32 v7, -1, 0
	v_add_u32_e32 v2, 64, v0
	v_cmp_lt_f32_e32 vcc, v10, v4
	v_mbcnt_hi_u32_b32 v7, -1, v7
	v_bfrev_b32_e32 v8, 0.5
	v_cndmask_b32_e32 v1, v2, v0, vcc
	v_cndmask_b32_e32 v2, v0, v2, vcc
	;; [unrolled: 1-line block ×6, first 2 shown]
	v_mov_b32_e32 v9, 0
	v_mov_b32_e32 v10, 0
	;; [unrolled: 1-line block ×3, first 2 shown]
	v_lshl_or_b32 v12, v7, 2, v8
	v_mov_b32_e32 v13, v0
	s_mov_b32 s3, s2
	v_mov_b32_e32 v7, 0
	v_mov_b32_e32 v8, 0
.LBB193_6:                              ; =>This Inner Loop Header: Depth=1
	v_cmp_eq_u32_e32 vcc, 1, v10
	v_cndmask_b32_e32 v14, v4, v3, vcc
	v_cmp_gt_u32_e64 s[0:1], 2, v10
	v_cndmask_b32_e64 v14, v11, v14, s[0:1]
	;;#ASMSTART
	v_max_f32 v18, v14, v14 quad_perm:[1,0,3,2] row_mask:0xf bank_mask:0xf bound_ctrl:1
	;;#ASMEND
	;;#ASMSTART
	v_max_f32 v19, v18, v18 quad_perm:[2,3,0,1] row_mask:0xf bank_mask:0xf bound_ctrl:1
	;;#ASMEND
	;;#ASMSTART
	v_max_f32 v18, v19, v19 row_half_mirror row_mask:0xf bank_mask:0xf bound_ctrl:1
	;;#ASMEND
	;;#ASMSTART
	v_max_f32 v19, v18, v18 row_mirror row_mask:0xf bank_mask:0xf bound_ctrl:1
	;;#ASMEND
	;;#ASMSTART
	v_max_f32 v18, v19, v19 row_ror:4 row_mask:0xf bank_mask:0xf bound_ctrl:1
	;;#ASMEND
	;;#ASMSTART
	v_max_f32 v19, v18, v18 row_ror:8 row_mask:0xf bank_mask:0xf bound_ctrl:1
	;;#ASMEND
	;;#ASMSTART
	v_max_f32 v18, v19, v19 row_bcast:15 row_mask:0xf bank_mask:0xf bound_ctrl:1
	;;#ASMEND
	;;#ASMSTART
	v_max_f32 v19, v18, v18 row_bcast:31 row_mask:0xf bank_mask:0xf bound_ctrl:1
	;;#ASMEND
	ds_bpermute_b32 v18, v12, v19
	v_cndmask_b32_e32 v15, v2, v1, vcc
	v_cndmask_b32_e32 v16, v6, v5, vcc
	v_cndmask_b32_e64 v17, 0, v15, s[0:1]
	s_waitcnt lgkmcnt(0)
	v_cmp_eq_f32_e32 vcc, v14, v18
	s_ff1_i32_b64 s7, vcc
	s_cmp_lg_u64 vcc, 0
	s_cselect_b32 s7, s7, 0
	v_readlane_b32 s7, v17, s7
	v_cmp_eq_u32_e32 vcc, s7, v15
	s_and_b64 vcc, s[0:1], vcc
	s_and_b32 s12, s7, 63
	v_cndmask_b32_e32 v15, 0, v16, vcc
	v_addc_co_u32_e32 v10, vcc, 0, v10, vcc
	v_readlane_b32 s0, v15, s12
	s_add_i32 s3, s3, -1
	v_mov_b32_e32 v14, s7
	v_mov_b32_e32 v15, s0
	v_cmp_eq_u32_e32 vcc, 0, v13
	s_cmp_eq_u32 s3, 0
	v_add_f32_e32 v9, s0, v9
	v_add_u32_e32 v13, -1, v13
	v_cndmask_b32_e32 v8, v8, v15, vcc
	v_cndmask_b32_e32 v7, v7, v14, vcc
	s_cbranch_scc0 .LBB193_6
.LBB193_7:
	v_cmp_gt_i32_e32 vcc, s2, v0
	s_and_saveexec_b64 s[0:1], vcc
	s_cbranch_execz .LBB193_9
; %bb.8:
	s_load_dword s2, s[4:5], 0x30
	v_max_f32_e32 v1, v9, v9
	v_max_f32_e32 v1, 0x1e3ce508, v1
	v_lshlrev_b32_e32 v0, 2, v0
	s_waitcnt lgkmcnt(0)
	v_div_scale_f32 v2, s[0:1], v1, v1, s2
	v_rcp_f32_e32 v3, v2
	v_div_scale_f32 v4, vcc, s2, v1, s2
	s_load_dwordx2 s[0:1], s[4:5], 0x20
	v_fma_f32 v5, -v2, v3, 1.0
	v_fmac_f32_e32 v3, v5, v3
	v_mul_f32_e32 v5, v4, v3
	v_fma_f32 v6, -v2, v5, v4
	v_fmac_f32_e32 v5, v6, v3
	v_fma_f32 v2, -v2, v5, v4
	v_div_fmas_f32 v2, v2, v3, v5
	v_div_fixup_f32 v1, v2, v1, s2
	s_ashr_i32 s2, s6, 31
	s_waitcnt lgkmcnt(0)
	s_mul_i32 s1, s6, s1
	s_mul_hi_u32 s3, s6, s0
	s_add_i32 s1, s3, s1
	s_mul_i32 s2, s2, s0
	s_add_i32 s1, s1, s2
	s_mul_i32 s0, s6, s0
	s_lshl_b64 s[0:1], s[0:1], 2
	s_add_u32 s2, s8, s0
	s_addc_u32 s3, s9, s1
	s_add_u32 s0, s10, s0
	v_mul_f32_e32 v1, v8, v1
	s_addc_u32 s1, s11, s1
	global_store_dword v0, v1, s[2:3]
	global_store_dword v0, v7, s[0:1]
.LBB193_9:
	s_endpgm
	.section	.rodata,"a",@progbits
	.p2align	6, 0x0
	.amdhsa_kernel _ZN5aiter24topk_softplus_kernel_optI6__half12hip_bfloat16Li128ELb1ELi0EEEvPKT_PKT0_PfPimiif
		.amdhsa_group_segment_fixed_size 0
		.amdhsa_private_segment_fixed_size 0
		.amdhsa_kernarg_size 52
		.amdhsa_user_sgpr_count 6
		.amdhsa_user_sgpr_private_segment_buffer 1
		.amdhsa_user_sgpr_dispatch_ptr 0
		.amdhsa_user_sgpr_queue_ptr 0
		.amdhsa_user_sgpr_kernarg_segment_ptr 1
		.amdhsa_user_sgpr_dispatch_id 0
		.amdhsa_user_sgpr_flat_scratch_init 0
		.amdhsa_user_sgpr_kernarg_preload_length 0
		.amdhsa_user_sgpr_kernarg_preload_offset 0
		.amdhsa_user_sgpr_private_segment_size 0
		.amdhsa_uses_dynamic_stack 0
		.amdhsa_system_sgpr_private_segment_wavefront_offset 0
		.amdhsa_system_sgpr_workgroup_id_x 1
		.amdhsa_system_sgpr_workgroup_id_y 0
		.amdhsa_system_sgpr_workgroup_id_z 0
		.amdhsa_system_sgpr_workgroup_info 0
		.amdhsa_system_vgpr_workitem_id 0
		.amdhsa_next_free_vgpr 20
		.amdhsa_next_free_sgpr 16
		.amdhsa_accum_offset 20
		.amdhsa_reserve_vcc 1
		.amdhsa_reserve_flat_scratch 0
		.amdhsa_float_round_mode_32 0
		.amdhsa_float_round_mode_16_64 0
		.amdhsa_float_denorm_mode_32 3
		.amdhsa_float_denorm_mode_16_64 3
		.amdhsa_dx10_clamp 1
		.amdhsa_ieee_mode 1
		.amdhsa_fp16_overflow 0
		.amdhsa_tg_split 0
		.amdhsa_exception_fp_ieee_invalid_op 0
		.amdhsa_exception_fp_denorm_src 0
		.amdhsa_exception_fp_ieee_div_zero 0
		.amdhsa_exception_fp_ieee_overflow 0
		.amdhsa_exception_fp_ieee_underflow 0
		.amdhsa_exception_fp_ieee_inexact 0
		.amdhsa_exception_int_div_zero 0
	.end_amdhsa_kernel
	.section	.text._ZN5aiter24topk_softplus_kernel_optI6__half12hip_bfloat16Li128ELb1ELi0EEEvPKT_PKT0_PfPimiif,"axG",@progbits,_ZN5aiter24topk_softplus_kernel_optI6__half12hip_bfloat16Li128ELb1ELi0EEEvPKT_PKT0_PfPimiif,comdat
.Lfunc_end193:
	.size	_ZN5aiter24topk_softplus_kernel_optI6__half12hip_bfloat16Li128ELb1ELi0EEEvPKT_PKT0_PfPimiif, .Lfunc_end193-_ZN5aiter24topk_softplus_kernel_optI6__half12hip_bfloat16Li128ELb1ELi0EEEvPKT_PKT0_PfPimiif
                                        ; -- End function
	.section	.AMDGPU.csdata,"",@progbits
; Kernel info:
; codeLenInByte = 1128
; NumSgprs: 20
; NumVgprs: 20
; NumAgprs: 0
; TotalNumVgprs: 20
; ScratchSize: 0
; MemoryBound: 0
; FloatMode: 240
; IeeeMode: 1
; LDSByteSize: 0 bytes/workgroup (compile time only)
; SGPRBlocks: 2
; VGPRBlocks: 2
; NumSGPRsForWavesPerEU: 20
; NumVGPRsForWavesPerEU: 20
; AccumOffset: 20
; Occupancy: 8
; WaveLimiterHint : 0
; COMPUTE_PGM_RSRC2:SCRATCH_EN: 0
; COMPUTE_PGM_RSRC2:USER_SGPR: 6
; COMPUTE_PGM_RSRC2:TRAP_HANDLER: 0
; COMPUTE_PGM_RSRC2:TGID_X_EN: 1
; COMPUTE_PGM_RSRC2:TGID_Y_EN: 0
; COMPUTE_PGM_RSRC2:TGID_Z_EN: 0
; COMPUTE_PGM_RSRC2:TIDIG_COMP_CNT: 0
; COMPUTE_PGM_RSRC3_GFX90A:ACCUM_OFFSET: 4
; COMPUTE_PGM_RSRC3_GFX90A:TG_SPLIT: 0
	.section	.text._ZN5aiter24topk_softplus_kernel_optI6__half12hip_bfloat16Li128ELb0ELi0EEEvPKT_PKT0_PfPimiif,"axG",@progbits,_ZN5aiter24topk_softplus_kernel_optI6__half12hip_bfloat16Li128ELb0ELi0EEEvPKT_PKT0_PfPimiif,comdat
	.protected	_ZN5aiter24topk_softplus_kernel_optI6__half12hip_bfloat16Li128ELb0ELi0EEEvPKT_PKT0_PfPimiif ; -- Begin function _ZN5aiter24topk_softplus_kernel_optI6__half12hip_bfloat16Li128ELb0ELi0EEEvPKT_PKT0_PfPimiif
	.globl	_ZN5aiter24topk_softplus_kernel_optI6__half12hip_bfloat16Li128ELb0ELi0EEEvPKT_PKT0_PfPimiif
	.p2align	8
	.type	_ZN5aiter24topk_softplus_kernel_optI6__half12hip_bfloat16Li128ELb0ELi0EEEvPKT_PKT0_PfPimiif,@function
_ZN5aiter24topk_softplus_kernel_optI6__half12hip_bfloat16Li128ELb0ELi0EEEvPKT_PKT0_PfPimiif: ; @_ZN5aiter24topk_softplus_kernel_optI6__half12hip_bfloat16Li128ELb0ELi0EEEvPKT_PKT0_PfPimiif
; %bb.0:
	s_load_dwordx4 s[8:11], s[4:5], 0x0
	s_lshl_b32 s0, s6, 7
	s_ashr_i32 s1, s0, 31
	s_lshl_b64 s[0:1], s[0:1], 1
	v_lshlrev_b32_e32 v1, 1, v0
	s_waitcnt lgkmcnt(0)
	s_add_u32 s0, s8, s0
	s_addc_u32 s1, s9, s1
	global_load_ushort v2, v1, s[0:1]
	s_mov_b32 s13, 0xc2fc0000
	v_mov_b32_e32 v5, 0x42800000
	s_mov_b32 s12, 0x3fb8aa3b
	v_mov_b32_e32 v7, 0x1f800000
	;; [unrolled: 2-line block ×3, first 2 shown]
	v_mov_b32_e32 v9, 0x42000000
	s_movk_i32 s7, 0x4d00
	s_mov_b32 s15, 0xf800000
	s_cmp_lg_u64 s[10:11], 0
	s_cselect_b64 s[8:9], -1, 0
	s_waitcnt vmcnt(0)
	v_cvt_f32_f16_e32 v3, v2
	v_mul_f32_e32 v4, 0x3fb8aa3b, v3
	v_cmp_gt_f32_e32 vcc, s13, v4
	v_cndmask_b32_e32 v4, 0, v5, vcc
	v_fma_mix_f32 v4, v2, s12, v4 op_sel_hi:[1,0,0]
	v_exp_f32_e32 v6, v4
	v_cndmask_b32_e32 v10, 1.0, v7, vcc
	v_mov_b32_e32 v4, 0x260
	v_fma_f32 v6, v6, v10, 1.0
	v_cmp_gt_f32_e32 vcc, s14, v6
	v_cndmask_b32_e32 v10, 1.0, v8, vcc
	v_mul_f32_e32 v6, v6, v10
	v_log_f32_e32 v6, v6
	v_cndmask_b32_e32 v11, 0, v9, vcc
	v_cmp_lt_f16_e32 vcc, s7, v2
	v_mov_b32_e32 v10, s1
	v_sub_f32_e32 v6, v6, v11
	v_mul_f32_e32 v6, 0x3f317218, v6
	v_cndmask_b32_e32 v2, v6, v3, vcc
	v_mul_f32_e32 v3, 0x4f800000, v2
	v_cmp_gt_f32_e32 vcc, s15, v2
	v_cndmask_b32_e32 v6, v2, v3, vcc
	v_sqrt_f32_e32 v11, v6
	v_add_co_u32_e64 v2, s[0:1], s0, v1
	v_addc_co_u32_e64 v3, s[0:1], 0, v10, s[0:1]
	v_add_u32_e32 v10, -1, v11
	v_add_u32_e32 v12, 1, v11
	v_fma_f32 v13, -v10, v11, v6
	v_fma_f32 v14, -v12, v11, v6
	v_cmp_ge_f32_e64 s[2:3], 0, v13
	v_cndmask_b32_e64 v10, v11, v10, s[2:3]
	v_cmp_lt_f32_e64 s[2:3], 0, v14
	v_cndmask_b32_e64 v10, v10, v12, s[2:3]
	v_mul_f32_e32 v11, 0x37800000, v10
	v_cndmask_b32_e32 v10, v10, v11, vcc
	v_cmp_class_f32_e32 vcc, v6, v4
	s_and_b64 s[0:1], exec, s[8:9]
	v_cndmask_b32_e32 v6, v10, v6, vcc
	v_mov_b32_e32 v10, v6
	s_mov_b64 vcc, s[0:1]
	s_cbranch_vccz .LBB194_2
; %bb.1:
	global_load_ushort v10, v1, s[10:11]
	s_waitcnt vmcnt(0)
	v_lshlrev_b32_e32 v10, 16, v10
	v_add_f32_e32 v10, v6, v10
.LBB194_2:
	global_load_ushort v2, v[2:3], off offset:128
	s_waitcnt vmcnt(0)
	v_cvt_f32_f16_e32 v3, v2
	v_mul_f32_e32 v11, 0x3fb8aa3b, v3
	v_cmp_gt_f32_e32 vcc, s13, v11
	v_cndmask_b32_e32 v5, 0, v5, vcc
	v_fma_mix_f32 v5, v2, s12, v5 op_sel_hi:[1,0,0]
	v_exp_f32_e32 v5, v5
	v_cndmask_b32_e32 v7, 1.0, v7, vcc
	v_fma_f32 v5, v5, v7, 1.0
	v_cmp_gt_f32_e32 vcc, s14, v5
	v_cndmask_b32_e32 v7, 1.0, v8, vcc
	v_mul_f32_e32 v5, v5, v7
	v_log_f32_e32 v5, v5
	v_cndmask_b32_e32 v7, 0, v9, vcc
	v_cmp_lt_f16_e32 vcc, s7, v2
	v_sub_f32_e32 v5, v5, v7
	v_mul_f32_e32 v5, 0x3f317218, v5
	v_cndmask_b32_e32 v2, v5, v3, vcc
	v_mul_f32_e32 v3, 0x4f800000, v2
	v_cmp_gt_f32_e32 vcc, s15, v2
	v_cndmask_b32_e32 v2, v2, v3, vcc
	v_sqrt_f32_e32 v3, v2
	v_add_u32_e32 v5, -1, v3
	v_add_u32_e32 v7, 1, v3
	v_fma_f32 v8, -v5, v3, v2
	v_fma_f32 v9, -v7, v3, v2
	v_cmp_ge_f32_e64 s[0:1], 0, v8
	v_cndmask_b32_e64 v3, v3, v5, s[0:1]
	v_cmp_lt_f32_e64 s[0:1], 0, v9
	v_cndmask_b32_e64 v3, v3, v7, s[0:1]
	v_mul_f32_e32 v5, 0x37800000, v3
	v_cndmask_b32_e32 v3, v3, v5, vcc
	v_cmp_class_f32_e32 vcc, v2, v4
	v_cndmask_b32_e32 v8, v3, v2, vcc
	s_andn2_b64 vcc, exec, s[8:9]
	v_mov_b32_e32 v4, v8
	s_cbranch_vccnz .LBB194_4
; %bb.3:
	global_load_ushort v1, v1, s[10:11] offset:128
	s_waitcnt vmcnt(0)
	v_lshlrev_b32_e32 v1, 16, v1
	v_add_f32_e32 v4, v8, v1
.LBB194_4:
	s_load_dword s2, s[4:5], 0x28
	s_load_dwordx4 s[8:11], s[4:5], 0x10
	v_mov_b32_e32 v7, 0
	s_waitcnt lgkmcnt(0)
	s_cmp_gt_i32 s2, 0
	s_cbranch_scc0 .LBB194_10
; %bb.5:
	v_mbcnt_lo_u32_b32 v7, -1, 0
	v_add_u32_e32 v2, 64, v0
	v_cmp_lt_f32_e32 vcc, v10, v4
	v_mbcnt_hi_u32_b32 v7, -1, v7
	v_bfrev_b32_e32 v11, 0.5
	v_cndmask_b32_e32 v1, v2, v0, vcc
	v_cndmask_b32_e32 v2, v0, v2, vcc
	;; [unrolled: 1-line block ×6, first 2 shown]
	v_mov_b32_e32 v9, 0
	v_mov_b32_e32 v8, 0
	;; [unrolled: 1-line block ×3, first 2 shown]
	v_lshl_or_b32 v11, v7, 2, v11
	v_mov_b32_e32 v12, v0
	s_mov_b32 s3, s2
	v_mov_b32_e32 v7, 0
.LBB194_6:                              ; =>This Inner Loop Header: Depth=1
	v_cmp_eq_u32_e32 vcc, 1, v9
	v_cndmask_b32_e32 v13, v4, v3, vcc
	v_cmp_gt_u32_e64 s[0:1], 2, v9
	v_cndmask_b32_e64 v13, v10, v13, s[0:1]
	;;#ASMSTART
	v_max_f32 v17, v13, v13 quad_perm:[1,0,3,2] row_mask:0xf bank_mask:0xf bound_ctrl:1
	;;#ASMEND
	;;#ASMSTART
	v_max_f32 v18, v17, v17 quad_perm:[2,3,0,1] row_mask:0xf bank_mask:0xf bound_ctrl:1
	;;#ASMEND
	;;#ASMSTART
	v_max_f32 v17, v18, v18 row_half_mirror row_mask:0xf bank_mask:0xf bound_ctrl:1
	;;#ASMEND
	;;#ASMSTART
	v_max_f32 v18, v17, v17 row_mirror row_mask:0xf bank_mask:0xf bound_ctrl:1
	;;#ASMEND
	;;#ASMSTART
	v_max_f32 v17, v18, v18 row_ror:4 row_mask:0xf bank_mask:0xf bound_ctrl:1
	;;#ASMEND
	;;#ASMSTART
	v_max_f32 v18, v17, v17 row_ror:8 row_mask:0xf bank_mask:0xf bound_ctrl:1
	;;#ASMEND
	;;#ASMSTART
	v_max_f32 v17, v18, v18 row_bcast:15 row_mask:0xf bank_mask:0xf bound_ctrl:1
	;;#ASMEND
	;;#ASMSTART
	v_max_f32 v18, v17, v17 row_bcast:31 row_mask:0xf bank_mask:0xf bound_ctrl:1
	;;#ASMEND
	ds_bpermute_b32 v17, v11, v18
	v_cndmask_b32_e32 v14, v2, v1, vcc
	v_cndmask_b32_e32 v15, v6, v5, vcc
	v_cndmask_b32_e64 v16, 0, v14, s[0:1]
	s_waitcnt lgkmcnt(0)
	v_cmp_eq_f32_e32 vcc, v13, v17
	s_ff1_i32_b64 s7, vcc
	s_cmp_lg_u64 vcc, 0
	s_cselect_b32 s7, s7, 0
	v_readlane_b32 s7, v16, s7
	v_cmp_eq_u32_e32 vcc, s7, v14
	s_and_b64 vcc, s[0:1], vcc
	s_and_b32 s12, s7, 63
	v_cndmask_b32_e32 v14, 0, v15, vcc
	v_addc_co_u32_e32 v9, vcc, 0, v9, vcc
	v_readlane_b32 s0, v14, s12
	s_add_i32 s3, s3, -1
	v_mov_b32_e32 v13, s7
	v_mov_b32_e32 v14, s0
	v_cmp_eq_u32_e32 vcc, 0, v12
	s_cmp_eq_u32 s3, 0
	v_add_u32_e32 v12, -1, v12
	v_cndmask_b32_e32 v8, v8, v14, vcc
	v_cndmask_b32_e32 v7, v7, v13, vcc
	s_cbranch_scc0 .LBB194_6
; %bb.7:
	v_cmp_gt_i32_e32 vcc, s2, v0
	s_and_saveexec_b64 s[0:1], vcc
	s_cbranch_execz .LBB194_9
.LBB194_8:
	s_load_dword s2, s[4:5], 0x30
	s_load_dwordx2 s[0:1], s[4:5], 0x20
	s_ashr_i32 s3, s6, 31
	v_lshlrev_b32_e32 v0, 2, v0
	s_waitcnt lgkmcnt(0)
	v_mul_f32_e32 v1, s2, v8
	s_mul_i32 s1, s6, s1
	s_mul_hi_u32 s2, s6, s0
	s_add_i32 s1, s2, s1
	s_mul_i32 s3, s3, s0
	s_add_i32 s1, s1, s3
	s_mul_i32 s0, s6, s0
	s_lshl_b64 s[0:1], s[0:1], 2
	s_add_u32 s2, s8, s0
	s_addc_u32 s3, s9, s1
	s_add_u32 s0, s10, s0
	s_addc_u32 s1, s11, s1
	global_store_dword v0, v1, s[2:3]
	global_store_dword v0, v7, s[0:1]
.LBB194_9:
	s_endpgm
.LBB194_10:
	v_mov_b32_e32 v8, 0
	v_cmp_gt_i32_e32 vcc, s2, v0
	s_and_saveexec_b64 s[0:1], vcc
	s_cbranch_execnz .LBB194_8
	s_branch .LBB194_9
	.section	.rodata,"a",@progbits
	.p2align	6, 0x0
	.amdhsa_kernel _ZN5aiter24topk_softplus_kernel_optI6__half12hip_bfloat16Li128ELb0ELi0EEEvPKT_PKT0_PfPimiif
		.amdhsa_group_segment_fixed_size 0
		.amdhsa_private_segment_fixed_size 0
		.amdhsa_kernarg_size 52
		.amdhsa_user_sgpr_count 6
		.amdhsa_user_sgpr_private_segment_buffer 1
		.amdhsa_user_sgpr_dispatch_ptr 0
		.amdhsa_user_sgpr_queue_ptr 0
		.amdhsa_user_sgpr_kernarg_segment_ptr 1
		.amdhsa_user_sgpr_dispatch_id 0
		.amdhsa_user_sgpr_flat_scratch_init 0
		.amdhsa_user_sgpr_kernarg_preload_length 0
		.amdhsa_user_sgpr_kernarg_preload_offset 0
		.amdhsa_user_sgpr_private_segment_size 0
		.amdhsa_uses_dynamic_stack 0
		.amdhsa_system_sgpr_private_segment_wavefront_offset 0
		.amdhsa_system_sgpr_workgroup_id_x 1
		.amdhsa_system_sgpr_workgroup_id_y 0
		.amdhsa_system_sgpr_workgroup_id_z 0
		.amdhsa_system_sgpr_workgroup_info 0
		.amdhsa_system_vgpr_workitem_id 0
		.amdhsa_next_free_vgpr 19
		.amdhsa_next_free_sgpr 16
		.amdhsa_accum_offset 20
		.amdhsa_reserve_vcc 1
		.amdhsa_reserve_flat_scratch 0
		.amdhsa_float_round_mode_32 0
		.amdhsa_float_round_mode_16_64 0
		.amdhsa_float_denorm_mode_32 3
		.amdhsa_float_denorm_mode_16_64 3
		.amdhsa_dx10_clamp 1
		.amdhsa_ieee_mode 1
		.amdhsa_fp16_overflow 0
		.amdhsa_tg_split 0
		.amdhsa_exception_fp_ieee_invalid_op 0
		.amdhsa_exception_fp_denorm_src 0
		.amdhsa_exception_fp_ieee_div_zero 0
		.amdhsa_exception_fp_ieee_overflow 0
		.amdhsa_exception_fp_ieee_underflow 0
		.amdhsa_exception_fp_ieee_inexact 0
		.amdhsa_exception_int_div_zero 0
	.end_amdhsa_kernel
	.section	.text._ZN5aiter24topk_softplus_kernel_optI6__half12hip_bfloat16Li128ELb0ELi0EEEvPKT_PKT0_PfPimiif,"axG",@progbits,_ZN5aiter24topk_softplus_kernel_optI6__half12hip_bfloat16Li128ELb0ELi0EEEvPKT_PKT0_PfPimiif,comdat
.Lfunc_end194:
	.size	_ZN5aiter24topk_softplus_kernel_optI6__half12hip_bfloat16Li128ELb0ELi0EEEvPKT_PKT0_PfPimiif, .Lfunc_end194-_ZN5aiter24topk_softplus_kernel_optI6__half12hip_bfloat16Li128ELb0ELi0EEEvPKT_PKT0_PfPimiif
                                        ; -- End function
	.section	.AMDGPU.csdata,"",@progbits
; Kernel info:
; codeLenInByte = 1044
; NumSgprs: 20
; NumVgprs: 19
; NumAgprs: 0
; TotalNumVgprs: 19
; ScratchSize: 0
; MemoryBound: 0
; FloatMode: 240
; IeeeMode: 1
; LDSByteSize: 0 bytes/workgroup (compile time only)
; SGPRBlocks: 2
; VGPRBlocks: 2
; NumSGPRsForWavesPerEU: 20
; NumVGPRsForWavesPerEU: 19
; AccumOffset: 20
; Occupancy: 8
; WaveLimiterHint : 0
; COMPUTE_PGM_RSRC2:SCRATCH_EN: 0
; COMPUTE_PGM_RSRC2:USER_SGPR: 6
; COMPUTE_PGM_RSRC2:TRAP_HANDLER: 0
; COMPUTE_PGM_RSRC2:TGID_X_EN: 1
; COMPUTE_PGM_RSRC2:TGID_Y_EN: 0
; COMPUTE_PGM_RSRC2:TGID_Z_EN: 0
; COMPUTE_PGM_RSRC2:TIDIG_COMP_CNT: 0
; COMPUTE_PGM_RSRC3_GFX90A:ACCUM_OFFSET: 4
; COMPUTE_PGM_RSRC3_GFX90A:TG_SPLIT: 0
	.section	.text._ZN5aiter24topk_softplus_kernel_optI6__half12hip_bfloat16Li256ELb1ELi0EEEvPKT_PKT0_PfPimiif,"axG",@progbits,_ZN5aiter24topk_softplus_kernel_optI6__half12hip_bfloat16Li256ELb1ELi0EEEvPKT_PKT0_PfPimiif,comdat
	.protected	_ZN5aiter24topk_softplus_kernel_optI6__half12hip_bfloat16Li256ELb1ELi0EEEvPKT_PKT0_PfPimiif ; -- Begin function _ZN5aiter24topk_softplus_kernel_optI6__half12hip_bfloat16Li256ELb1ELi0EEEvPKT_PKT0_PfPimiif
	.globl	_ZN5aiter24topk_softplus_kernel_optI6__half12hip_bfloat16Li256ELb1ELi0EEEvPKT_PKT0_PfPimiif
	.p2align	8
	.type	_ZN5aiter24topk_softplus_kernel_optI6__half12hip_bfloat16Li256ELb1ELi0EEEvPKT_PKT0_PfPimiif,@function
_ZN5aiter24topk_softplus_kernel_optI6__half12hip_bfloat16Li256ELb1ELi0EEEvPKT_PKT0_PfPimiif: ; @_ZN5aiter24topk_softplus_kernel_optI6__half12hip_bfloat16Li256ELb1ELi0EEEvPKT_PKT0_PfPimiif
; %bb.0:
	s_load_dwordx4 s[8:11], s[4:5], 0x0
	s_lshl_b32 s0, s6, 8
	s_ashr_i32 s1, s0, 31
	s_lshl_b64 s[0:1], s[0:1], 1
	v_lshlrev_b32_e32 v1, 1, v0
	s_waitcnt lgkmcnt(0)
	s_add_u32 s0, s8, s0
	s_addc_u32 s1, s9, s1
	global_load_ushort v2, v1, s[0:1]
	s_mov_b32 s13, 0xc2fc0000
	v_mov_b32_e32 v7, 0x42800000
	s_mov_b32 s12, 0x3fb8aa3b
	v_mov_b32_e32 v8, 0x1f800000
	;; [unrolled: 2-line block ×3, first 2 shown]
	v_mov_b32_e32 v10, 0x42000000
	s_movk_i32 s7, 0x4d00
	s_mov_b32 s15, 0xf800000
	s_cmp_lg_u64 s[10:11], 0
	s_cselect_b64 s[8:9], -1, 0
	s_waitcnt vmcnt(0)
	v_cvt_f32_f16_e32 v4, v2
	v_mul_f32_e32 v3, 0x3fb8aa3b, v4
	v_cmp_gt_f32_e32 vcc, s13, v3
	v_cndmask_b32_e32 v3, 0, v7, vcc
	v_fma_mix_f32 v3, v2, s12, v3 op_sel_hi:[1,0,0]
	v_exp_f32_e32 v5, v3
	v_cndmask_b32_e32 v6, 1.0, v8, vcc
	v_mov_b32_e32 v3, 0x260
	v_fma_f32 v5, v5, v6, 1.0
	v_cmp_gt_f32_e32 vcc, s14, v5
	v_cndmask_b32_e32 v6, 1.0, v9, vcc
	v_mul_f32_e32 v5, v5, v6
	v_log_f32_e32 v5, v5
	v_cndmask_b32_e32 v11, 0, v10, vcc
	v_cmp_lt_f16_e32 vcc, s7, v2
	v_mov_b32_e32 v6, s1
	v_sub_f32_e32 v5, v5, v11
	v_mul_f32_e32 v5, 0x3f317218, v5
	v_cndmask_b32_e32 v2, v5, v4, vcc
	v_mul_f32_e32 v4, 0x4f800000, v2
	v_cmp_gt_f32_e32 vcc, s15, v2
	v_cndmask_b32_e32 v2, v2, v4, vcc
	v_sqrt_f32_e32 v11, v2
	v_add_co_u32_e64 v4, s[0:1], s0, v1
	v_addc_co_u32_e64 v5, s[0:1], 0, v6, s[0:1]
	v_add_u32_e32 v6, -1, v11
	v_add_u32_e32 v12, 1, v11
	v_fma_f32 v13, -v6, v11, v2
	v_fma_f32 v14, -v12, v11, v2
	v_cmp_ge_f32_e64 s[2:3], 0, v13
	v_cndmask_b32_e64 v6, v11, v6, s[2:3]
	v_cmp_lt_f32_e64 s[2:3], 0, v14
	v_cndmask_b32_e64 v6, v6, v12, s[2:3]
	v_mul_f32_e32 v11, 0x37800000, v6
	v_cndmask_b32_e32 v6, v6, v11, vcc
	v_cmp_class_f32_e32 vcc, v2, v3
	s_and_b64 s[0:1], exec, s[8:9]
	v_cndmask_b32_e32 v2, v6, v2, vcc
	v_mov_b32_e32 v6, v2
	s_mov_b64 vcc, s[0:1]
	s_cbranch_vccz .LBB195_2
; %bb.1:
	global_load_ushort v6, v1, s[10:11]
	s_waitcnt vmcnt(0)
	v_lshlrev_b32_e32 v6, 16, v6
	v_add_f32_e32 v6, v2, v6
.LBB195_2:
	global_load_ushort v11, v[4:5], off offset:128
	s_waitcnt vmcnt(0)
	v_cvt_f32_f16_e32 v12, v11
	v_mul_f32_e32 v13, 0x3fb8aa3b, v12
	v_cmp_gt_f32_e32 vcc, s13, v13
	v_cndmask_b32_e32 v7, 0, v7, vcc
	v_fma_mix_f32 v7, v11, s12, v7 op_sel_hi:[1,0,0]
	v_exp_f32_e32 v7, v7
	v_cndmask_b32_e32 v8, 1.0, v8, vcc
	v_fma_f32 v7, v7, v8, 1.0
	v_cmp_gt_f32_e32 vcc, s14, v7
	v_cndmask_b32_e32 v8, 1.0, v9, vcc
	v_mul_f32_e32 v7, v7, v8
	v_log_f32_e32 v7, v7
	v_cndmask_b32_e32 v8, 0, v10, vcc
	v_cmp_lt_f16_e32 vcc, s7, v11
	v_cndmask_b32_e64 v9, 0, 1, s[8:9]
	v_sub_f32_e32 v7, v7, v8
	v_mul_f32_e32 v7, 0x3f317218, v7
	v_cndmask_b32_e32 v7, v7, v12, vcc
	v_mul_f32_e32 v8, 0x4f800000, v7
	v_cmp_gt_f32_e32 vcc, s15, v7
	v_cndmask_b32_e32 v7, v7, v8, vcc
	v_sqrt_f32_e32 v8, v7
	v_cmp_ne_u32_e64 s[0:1], 1, v9
	v_add_u32_e32 v9, -1, v8
	v_add_u32_e32 v10, 1, v8
	v_fma_f32 v11, -v9, v8, v7
	v_fma_f32 v12, -v10, v8, v7
	v_cmp_ge_f32_e64 s[2:3], 0, v11
	v_cndmask_b32_e64 v8, v8, v9, s[2:3]
	v_cmp_lt_f32_e64 s[2:3], 0, v12
	v_cndmask_b32_e64 v8, v8, v10, s[2:3]
	v_mul_f32_e32 v9, 0x37800000, v8
	v_cndmask_b32_e32 v8, v8, v9, vcc
	v_cmp_class_f32_e32 vcc, v7, v3
	v_cndmask_b32_e32 v9, v8, v7, vcc
	s_andn2_b64 vcc, exec, s[8:9]
	v_mov_b32_e32 v8, v9
	s_cbranch_vccnz .LBB195_4
; %bb.3:
	global_load_ushort v3, v1, s[10:11] offset:128
	s_waitcnt vmcnt(0)
	v_lshlrev_b32_e32 v3, 16, v3
	v_add_f32_e32 v8, v9, v3
.LBB195_4:
	global_load_ushort v10, v[4:5], off offset:256
	s_mov_b32 s12, 0xc2fc0000
	v_mov_b32_e32 v11, 0x42800000
	s_mov_b32 s8, 0x3fb8aa3b
	v_mov_b32_e32 v3, 0x1f800000
	;; [unrolled: 2-line block ×3, first 2 shown]
	s_mov_b32 s9, 0xf800000
	s_waitcnt vmcnt(0)
	v_cvt_f32_f16_e32 v12, v10
	v_mul_f32_e32 v7, 0x3fb8aa3b, v12
	v_cmp_gt_f32_e32 vcc, s12, v7
	v_cndmask_b32_e32 v13, 0, v11, vcc
	v_fma_mix_f32 v13, v10, s8, v13 op_sel_hi:[1,0,0]
	v_exp_f32_e32 v13, v13
	v_cndmask_b32_e32 v7, 1.0, v3, vcc
	v_fma_f32 v7, v13, v7, 1.0
	v_cmp_gt_f32_e32 vcc, s13, v7
	v_cndmask_b32_e32 v13, 1.0, v14, vcc
	v_mul_f32_e32 v7, v7, v13
	v_log_f32_e32 v13, v7
	v_mov_b32_e32 v7, 0x42000000
	v_cndmask_b32_e32 v15, 0, v7, vcc
	v_cmp_lt_f16_e32 vcc, s7, v10
	v_sub_f32_e32 v13, v13, v15
	v_mul_f32_e32 v13, 0x3f317218, v13
	v_cndmask_b32_e32 v10, v13, v12, vcc
	v_mul_f32_e32 v12, 0x4f800000, v10
	v_cmp_gt_f32_e32 vcc, s9, v10
	v_cndmask_b32_e32 v10, v10, v12, vcc
	v_sqrt_f32_e32 v12, v10
	v_mov_b32_e32 v13, 0x260
	v_add_u32_e32 v15, -1, v12
	v_add_u32_e32 v16, 1, v12
	v_fma_f32 v17, -v15, v12, v10
	v_fma_f32 v18, -v16, v12, v10
	v_cmp_ge_f32_e64 s[2:3], 0, v17
	v_cndmask_b32_e64 v12, v12, v15, s[2:3]
	v_cmp_lt_f32_e64 s[2:3], 0, v18
	v_cndmask_b32_e64 v12, v12, v16, s[2:3]
	v_mul_f32_e32 v15, 0x37800000, v12
	v_cndmask_b32_e32 v12, v12, v15, vcc
	v_cmp_class_f32_e32 vcc, v10, v13
	v_cndmask_b32_e32 v12, v12, v10, vcc
	s_and_b64 vcc, exec, s[0:1]
	v_mov_b32_e32 v10, v12
	s_cbranch_vccnz .LBB195_6
; %bb.5:
	global_load_ushort v10, v1, s[10:11] offset:256
	s_waitcnt vmcnt(0)
	v_lshlrev_b32_e32 v10, 16, v10
	v_add_f32_e32 v10, v12, v10
.LBB195_6:
	global_load_ushort v4, v[4:5], off offset:384
	s_waitcnt vmcnt(0)
	v_cvt_f32_f16_e32 v5, v4
	v_mul_f32_e32 v15, 0x3fb8aa3b, v5
	v_cmp_gt_f32_e32 vcc, s12, v15
	v_cndmask_b32_e32 v11, 0, v11, vcc
	v_fma_mix_f32 v11, v4, s8, v11 op_sel_hi:[1,0,0]
	v_exp_f32_e32 v11, v11
	v_cndmask_b32_e32 v3, 1.0, v3, vcc
	v_fma_f32 v3, v11, v3, 1.0
	v_cmp_gt_f32_e32 vcc, s13, v3
	v_cndmask_b32_e32 v11, 1.0, v14, vcc
	v_mul_f32_e32 v3, v3, v11
	v_log_f32_e32 v3, v3
	v_cndmask_b32_e32 v7, 0, v7, vcc
	v_cmp_lt_f16_e32 vcc, s7, v4
	v_sub_f32_e32 v3, v3, v7
	v_mul_f32_e32 v3, 0x3f317218, v3
	v_cndmask_b32_e32 v3, v3, v5, vcc
	v_mul_f32_e32 v4, 0x4f800000, v3
	v_cmp_gt_f32_e32 vcc, s9, v3
	v_cndmask_b32_e32 v3, v3, v4, vcc
	v_sqrt_f32_e32 v4, v3
	v_add_u32_e32 v5, -1, v4
	v_add_u32_e32 v7, 1, v4
	v_fma_f32 v11, -v5, v4, v3
	v_fma_f32 v14, -v7, v4, v3
	v_cmp_ge_f32_e64 s[2:3], 0, v11
	v_cndmask_b32_e64 v4, v4, v5, s[2:3]
	v_cmp_lt_f32_e64 s[2:3], 0, v14
	v_cndmask_b32_e64 v4, v4, v7, s[2:3]
	v_mul_f32_e32 v5, 0x37800000, v4
	v_cndmask_b32_e32 v4, v4, v5, vcc
	v_cmp_class_f32_e32 vcc, v3, v13
	v_cndmask_b32_e32 v3, v4, v3, vcc
	s_and_b64 vcc, exec, s[0:1]
	v_mov_b32_e32 v5, v3
	s_cbranch_vccnz .LBB195_8
; %bb.7:
	global_load_ushort v1, v1, s[10:11] offset:384
	s_waitcnt vmcnt(0)
	v_lshlrev_b32_e32 v1, 16, v1
	v_add_f32_e32 v5, v3, v1
.LBB195_8:
	v_add_u32_e32 v4, 64, v0
	v_cmp_lt_f32_e32 vcc, v6, v8
	v_add_u32_e32 v15, 0x80, v0
	v_add_u32_e32 v7, 0xc0, v0
	v_cndmask_b32_e32 v11, v9, v2, vcc
	v_cndmask_b32_e32 v2, v2, v9, vcc
	v_cndmask_b32_e32 v1, v4, v0, vcc
	v_cndmask_b32_e32 v4, v0, v4, vcc
	v_cndmask_b32_e32 v9, v8, v6, vcc
	v_cndmask_b32_e32 v6, v6, v8, vcc
	v_cmp_lt_f32_e32 vcc, v10, v5
	v_mov_b32_e32 v8, v10
	s_and_saveexec_b64 s[0:1], vcc
	s_xor_b64 s[0:1], exec, s[0:1]
; %bb.9:
	v_mov_b32_e32 v8, v12
	v_mov_b32_e32 v14, v10
	;; [unrolled: 1-line block ×4, first 2 shown]
	v_swap_b32 v12, v3
	v_swap_b32 v15, v7
	v_mov_b32_e32 v8, v5
	v_mov_b32_e32 v5, v14
; %bb.10:
	s_or_b64 exec, exec, s[0:1]
	v_cmp_lt_f32_e32 vcc, v6, v10
	v_cndmask_b32_e32 v13, v12, v2, vcc
	v_cndmask_b32_e32 v2, v2, v12, vcc
	;; [unrolled: 1-line block ×6, first 2 shown]
	v_cmp_lt_f32_e32 vcc, v9, v5
	v_mov_b32_e32 v16, v9
	s_and_saveexec_b64 s[0:1], vcc
; %bb.11:
	v_mov_b32_e32 v15, v9
	v_mov_b32_e32 v8, v11
	;; [unrolled: 1-line block ×4, first 2 shown]
	v_swap_b32 v11, v3
	v_swap_b32 v1, v7
	v_mov_b32_e32 v16, v5
	v_mov_b32_e32 v5, v15
; %bb.12:
	s_or_b64 exec, exec, s[0:1]
	s_load_dword s2, s[4:5], 0x28
	s_load_dwordx4 s[8:11], s[4:5], 0x10
	v_mov_b32_e32 v15, 0
	s_waitcnt lgkmcnt(0)
	s_cmp_lt_i32 s2, 1
	s_cbranch_scc1 .LBB195_18
; %bb.13:
	v_cmp_lt_f32_e32 vcc, v9, v12
	v_cndmask_b32_e32 v10, v12, v9, vcc
	v_cndmask_b32_e32 v9, v16, v12, vcc
	;; [unrolled: 1-line block ×4, first 2 shown]
	v_mbcnt_lo_u32_b32 v13, -1, 0
	v_cndmask_b32_e32 v8, v14, v1, vcc
	v_cndmask_b32_e32 v1, v1, v14, vcc
	v_mbcnt_hi_u32_b32 v13, -1, v13
	v_bfrev_b32_e32 v14, 0.5
	v_mov_b32_e32 v15, 0
	v_mov_b32_e32 v16, 0
	;; [unrolled: 1-line block ×3, first 2 shown]
	v_lshl_or_b32 v18, v13, 2, v14
	v_mov_b32_e32 v19, v0
	s_mov_b32 s3, s2
	v_mov_b32_e32 v13, 0
	v_mov_b32_e32 v14, 0
.LBB195_14:                             ; =>This Inner Loop Header: Depth=1
	v_cmp_eq_u32_e32 vcc, 1, v16
	v_cndmask_b32_e32 v20, v6, v9, vcc
	v_cmp_eq_u32_e64 s[0:1], 2, v16
	v_cndmask_b32_e64 v20, v20, v10, s[0:1]
	v_cndmask_b32_e32 v21, v4, v1, vcc
	v_cndmask_b32_e32 v22, v2, v11, vcc
	v_cmp_eq_u32_e32 vcc, 3, v16
	v_cndmask_b32_e32 v20, v20, v5, vcc
	v_cndmask_b32_e64 v21, v21, v8, s[0:1]
	v_cndmask_b32_e64 v22, v22, v12, s[0:1]
	v_cmp_gt_u32_e64 s[0:1], 4, v16
	v_cndmask_b32_e64 v20, v17, v20, s[0:1]
	;;#ASMSTART
	v_max_f32 v24, v20, v20 quad_perm:[1,0,3,2] row_mask:0xf bank_mask:0xf bound_ctrl:1
	;;#ASMEND
	;;#ASMSTART
	v_max_f32 v25, v24, v24 quad_perm:[2,3,0,1] row_mask:0xf bank_mask:0xf bound_ctrl:1
	;;#ASMEND
	;;#ASMSTART
	v_max_f32 v24, v25, v25 row_half_mirror row_mask:0xf bank_mask:0xf bound_ctrl:1
	;;#ASMEND
	;;#ASMSTART
	v_max_f32 v25, v24, v24 row_mirror row_mask:0xf bank_mask:0xf bound_ctrl:1
	;;#ASMEND
	;;#ASMSTART
	v_max_f32 v24, v25, v25 row_ror:4 row_mask:0xf bank_mask:0xf bound_ctrl:1
	;;#ASMEND
	;;#ASMSTART
	v_max_f32 v25, v24, v24 row_ror:8 row_mask:0xf bank_mask:0xf bound_ctrl:1
	;;#ASMEND
	;;#ASMSTART
	v_max_f32 v24, v25, v25 row_bcast:15 row_mask:0xf bank_mask:0xf bound_ctrl:1
	;;#ASMEND
	;;#ASMSTART
	v_max_f32 v25, v24, v24 row_bcast:31 row_mask:0xf bank_mask:0xf bound_ctrl:1
	;;#ASMEND
	ds_bpermute_b32 v24, v18, v25
	v_cndmask_b32_e32 v21, v21, v7, vcc
	v_cndmask_b32_e32 v22, v22, v3, vcc
	v_cndmask_b32_e64 v23, 0, v21, s[0:1]
	s_waitcnt lgkmcnt(0)
	v_cmp_eq_f32_e32 vcc, v20, v24
	s_ff1_i32_b64 s7, vcc
	s_cmp_lg_u64 vcc, 0
	s_cselect_b32 s7, s7, 0
	v_readlane_b32 s7, v23, s7
	v_cmp_eq_u32_e32 vcc, s7, v21
	s_and_b64 vcc, s[0:1], vcc
	s_and_b32 s12, s7, 63
	v_cndmask_b32_e32 v21, 0, v22, vcc
	v_addc_co_u32_e32 v16, vcc, 0, v16, vcc
	v_readlane_b32 s0, v21, s12
	s_add_i32 s3, s3, -1
	v_mov_b32_e32 v20, s7
	v_mov_b32_e32 v21, s0
	v_cmp_eq_u32_e32 vcc, 0, v19
	s_cmp_eq_u32 s3, 0
	v_add_f32_e32 v15, s0, v15
	v_add_u32_e32 v19, -1, v19
	v_cndmask_b32_e32 v14, v14, v21, vcc
	v_cndmask_b32_e32 v13, v13, v20, vcc
	s_cbranch_scc0 .LBB195_14
; %bb.15:
	v_cmp_gt_i32_e32 vcc, s2, v0
	s_and_saveexec_b64 s[0:1], vcc
	s_cbranch_execz .LBB195_17
.LBB195_16:
	s_load_dword s2, s[4:5], 0x30
	v_max_f32_e32 v1, v15, v15
	v_max_f32_e32 v1, 0x1e3ce508, v1
	v_lshlrev_b32_e32 v0, 2, v0
	s_waitcnt lgkmcnt(0)
	v_div_scale_f32 v2, s[0:1], v1, v1, s2
	v_rcp_f32_e32 v3, v2
	v_div_scale_f32 v4, vcc, s2, v1, s2
	s_load_dwordx2 s[0:1], s[4:5], 0x20
	v_fma_f32 v5, -v2, v3, 1.0
	v_fmac_f32_e32 v3, v5, v3
	v_mul_f32_e32 v5, v4, v3
	v_fma_f32 v6, -v2, v5, v4
	v_fmac_f32_e32 v5, v6, v3
	v_fma_f32 v2, -v2, v5, v4
	v_div_fmas_f32 v2, v2, v3, v5
	v_div_fixup_f32 v1, v2, v1, s2
	s_ashr_i32 s2, s6, 31
	s_waitcnt lgkmcnt(0)
	s_mul_i32 s1, s6, s1
	s_mul_hi_u32 s3, s6, s0
	s_add_i32 s1, s3, s1
	s_mul_i32 s2, s2, s0
	s_add_i32 s1, s1, s2
	s_mul_i32 s0, s6, s0
	s_lshl_b64 s[0:1], s[0:1], 2
	s_add_u32 s2, s8, s0
	s_addc_u32 s3, s9, s1
	s_add_u32 s0, s10, s0
	v_mul_f32_e32 v1, v14, v1
	s_addc_u32 s1, s11, s1
	global_store_dword v0, v1, s[2:3]
	global_store_dword v0, v13, s[0:1]
.LBB195_17:
	s_endpgm
.LBB195_18:
	v_mov_b32_e32 v13, 0
	v_mov_b32_e32 v14, 0
	v_cmp_gt_i32_e32 vcc, s2, v0
	s_and_saveexec_b64 s[0:1], vcc
	s_cbranch_execnz .LBB195_16
	s_branch .LBB195_17
	.section	.rodata,"a",@progbits
	.p2align	6, 0x0
	.amdhsa_kernel _ZN5aiter24topk_softplus_kernel_optI6__half12hip_bfloat16Li256ELb1ELi0EEEvPKT_PKT0_PfPimiif
		.amdhsa_group_segment_fixed_size 0
		.amdhsa_private_segment_fixed_size 0
		.amdhsa_kernarg_size 52
		.amdhsa_user_sgpr_count 6
		.amdhsa_user_sgpr_private_segment_buffer 1
		.amdhsa_user_sgpr_dispatch_ptr 0
		.amdhsa_user_sgpr_queue_ptr 0
		.amdhsa_user_sgpr_kernarg_segment_ptr 1
		.amdhsa_user_sgpr_dispatch_id 0
		.amdhsa_user_sgpr_flat_scratch_init 0
		.amdhsa_user_sgpr_kernarg_preload_length 0
		.amdhsa_user_sgpr_kernarg_preload_offset 0
		.amdhsa_user_sgpr_private_segment_size 0
		.amdhsa_uses_dynamic_stack 0
		.amdhsa_system_sgpr_private_segment_wavefront_offset 0
		.amdhsa_system_sgpr_workgroup_id_x 1
		.amdhsa_system_sgpr_workgroup_id_y 0
		.amdhsa_system_sgpr_workgroup_id_z 0
		.amdhsa_system_sgpr_workgroup_info 0
		.amdhsa_system_vgpr_workitem_id 0
		.amdhsa_next_free_vgpr 26
		.amdhsa_next_free_sgpr 16
		.amdhsa_accum_offset 28
		.amdhsa_reserve_vcc 1
		.amdhsa_reserve_flat_scratch 0
		.amdhsa_float_round_mode_32 0
		.amdhsa_float_round_mode_16_64 0
		.amdhsa_float_denorm_mode_32 3
		.amdhsa_float_denorm_mode_16_64 3
		.amdhsa_dx10_clamp 1
		.amdhsa_ieee_mode 1
		.amdhsa_fp16_overflow 0
		.amdhsa_tg_split 0
		.amdhsa_exception_fp_ieee_invalid_op 0
		.amdhsa_exception_fp_denorm_src 0
		.amdhsa_exception_fp_ieee_div_zero 0
		.amdhsa_exception_fp_ieee_overflow 0
		.amdhsa_exception_fp_ieee_underflow 0
		.amdhsa_exception_fp_ieee_inexact 0
		.amdhsa_exception_int_div_zero 0
	.end_amdhsa_kernel
	.section	.text._ZN5aiter24topk_softplus_kernel_optI6__half12hip_bfloat16Li256ELb1ELi0EEEvPKT_PKT0_PfPimiif,"axG",@progbits,_ZN5aiter24topk_softplus_kernel_optI6__half12hip_bfloat16Li256ELb1ELi0EEEvPKT_PKT0_PfPimiif,comdat
.Lfunc_end195:
	.size	_ZN5aiter24topk_softplus_kernel_optI6__half12hip_bfloat16Li256ELb1ELi0EEEvPKT_PKT0_PfPimiif, .Lfunc_end195-_ZN5aiter24topk_softplus_kernel_optI6__half12hip_bfloat16Li256ELb1ELi0EEEvPKT_PKT0_PfPimiif
                                        ; -- End function
	.section	.AMDGPU.csdata,"",@progbits
; Kernel info:
; codeLenInByte = 1900
; NumSgprs: 20
; NumVgprs: 26
; NumAgprs: 0
; TotalNumVgprs: 26
; ScratchSize: 0
; MemoryBound: 0
; FloatMode: 240
; IeeeMode: 1
; LDSByteSize: 0 bytes/workgroup (compile time only)
; SGPRBlocks: 2
; VGPRBlocks: 3
; NumSGPRsForWavesPerEU: 20
; NumVGPRsForWavesPerEU: 26
; AccumOffset: 28
; Occupancy: 8
; WaveLimiterHint : 0
; COMPUTE_PGM_RSRC2:SCRATCH_EN: 0
; COMPUTE_PGM_RSRC2:USER_SGPR: 6
; COMPUTE_PGM_RSRC2:TRAP_HANDLER: 0
; COMPUTE_PGM_RSRC2:TGID_X_EN: 1
; COMPUTE_PGM_RSRC2:TGID_Y_EN: 0
; COMPUTE_PGM_RSRC2:TGID_Z_EN: 0
; COMPUTE_PGM_RSRC2:TIDIG_COMP_CNT: 0
; COMPUTE_PGM_RSRC3_GFX90A:ACCUM_OFFSET: 6
; COMPUTE_PGM_RSRC3_GFX90A:TG_SPLIT: 0
	.section	.text._ZN5aiter24topk_softplus_kernel_optI6__half12hip_bfloat16Li256ELb0ELi0EEEvPKT_PKT0_PfPimiif,"axG",@progbits,_ZN5aiter24topk_softplus_kernel_optI6__half12hip_bfloat16Li256ELb0ELi0EEEvPKT_PKT0_PfPimiif,comdat
	.protected	_ZN5aiter24topk_softplus_kernel_optI6__half12hip_bfloat16Li256ELb0ELi0EEEvPKT_PKT0_PfPimiif ; -- Begin function _ZN5aiter24topk_softplus_kernel_optI6__half12hip_bfloat16Li256ELb0ELi0EEEvPKT_PKT0_PfPimiif
	.globl	_ZN5aiter24topk_softplus_kernel_optI6__half12hip_bfloat16Li256ELb0ELi0EEEvPKT_PKT0_PfPimiif
	.p2align	8
	.type	_ZN5aiter24topk_softplus_kernel_optI6__half12hip_bfloat16Li256ELb0ELi0EEEvPKT_PKT0_PfPimiif,@function
_ZN5aiter24topk_softplus_kernel_optI6__half12hip_bfloat16Li256ELb0ELi0EEEvPKT_PKT0_PfPimiif: ; @_ZN5aiter24topk_softplus_kernel_optI6__half12hip_bfloat16Li256ELb0ELi0EEEvPKT_PKT0_PfPimiif
; %bb.0:
	s_load_dwordx4 s[8:11], s[4:5], 0x0
	s_lshl_b32 s0, s6, 8
	s_ashr_i32 s1, s0, 31
	s_lshl_b64 s[0:1], s[0:1], 1
	v_lshlrev_b32_e32 v1, 1, v0
	s_waitcnt lgkmcnt(0)
	s_add_u32 s0, s8, s0
	s_addc_u32 s1, s9, s1
	global_load_ushort v2, v1, s[0:1]
	s_mov_b32 s13, 0xc2fc0000
	v_mov_b32_e32 v7, 0x42800000
	s_mov_b32 s12, 0x3fb8aa3b
	v_mov_b32_e32 v8, 0x1f800000
	;; [unrolled: 2-line block ×3, first 2 shown]
	v_mov_b32_e32 v10, 0x42000000
	s_movk_i32 s7, 0x4d00
	s_mov_b32 s15, 0xf800000
	s_cmp_lg_u64 s[10:11], 0
	s_cselect_b64 s[8:9], -1, 0
	s_waitcnt vmcnt(0)
	v_cvt_f32_f16_e32 v4, v2
	v_mul_f32_e32 v3, 0x3fb8aa3b, v4
	v_cmp_gt_f32_e32 vcc, s13, v3
	v_cndmask_b32_e32 v3, 0, v7, vcc
	v_fma_mix_f32 v3, v2, s12, v3 op_sel_hi:[1,0,0]
	v_exp_f32_e32 v5, v3
	v_cndmask_b32_e32 v6, 1.0, v8, vcc
	v_mov_b32_e32 v3, 0x260
	v_fma_f32 v5, v5, v6, 1.0
	v_cmp_gt_f32_e32 vcc, s14, v5
	v_cndmask_b32_e32 v6, 1.0, v9, vcc
	v_mul_f32_e32 v5, v5, v6
	v_log_f32_e32 v5, v5
	v_cndmask_b32_e32 v11, 0, v10, vcc
	v_cmp_lt_f16_e32 vcc, s7, v2
	v_mov_b32_e32 v6, s1
	v_sub_f32_e32 v5, v5, v11
	v_mul_f32_e32 v5, 0x3f317218, v5
	v_cndmask_b32_e32 v2, v5, v4, vcc
	v_mul_f32_e32 v4, 0x4f800000, v2
	v_cmp_gt_f32_e32 vcc, s15, v2
	v_cndmask_b32_e32 v2, v2, v4, vcc
	v_sqrt_f32_e32 v11, v2
	v_add_co_u32_e64 v4, s[0:1], s0, v1
	v_addc_co_u32_e64 v5, s[0:1], 0, v6, s[0:1]
	v_add_u32_e32 v6, -1, v11
	v_add_u32_e32 v12, 1, v11
	v_fma_f32 v13, -v6, v11, v2
	v_fma_f32 v14, -v12, v11, v2
	v_cmp_ge_f32_e64 s[2:3], 0, v13
	v_cndmask_b32_e64 v6, v11, v6, s[2:3]
	v_cmp_lt_f32_e64 s[2:3], 0, v14
	v_cndmask_b32_e64 v6, v6, v12, s[2:3]
	v_mul_f32_e32 v11, 0x37800000, v6
	v_cndmask_b32_e32 v6, v6, v11, vcc
	v_cmp_class_f32_e32 vcc, v2, v3
	s_and_b64 s[0:1], exec, s[8:9]
	v_cndmask_b32_e32 v2, v6, v2, vcc
	v_mov_b32_e32 v6, v2
	s_mov_b64 vcc, s[0:1]
	s_cbranch_vccz .LBB196_2
; %bb.1:
	global_load_ushort v6, v1, s[10:11]
	s_waitcnt vmcnt(0)
	v_lshlrev_b32_e32 v6, 16, v6
	v_add_f32_e32 v6, v2, v6
.LBB196_2:
	global_load_ushort v11, v[4:5], off offset:128
	s_waitcnt vmcnt(0)
	v_cvt_f32_f16_e32 v12, v11
	v_mul_f32_e32 v13, 0x3fb8aa3b, v12
	v_cmp_gt_f32_e32 vcc, s13, v13
	v_cndmask_b32_e32 v7, 0, v7, vcc
	v_fma_mix_f32 v7, v11, s12, v7 op_sel_hi:[1,0,0]
	v_exp_f32_e32 v7, v7
	v_cndmask_b32_e32 v8, 1.0, v8, vcc
	v_fma_f32 v7, v7, v8, 1.0
	v_cmp_gt_f32_e32 vcc, s14, v7
	v_cndmask_b32_e32 v8, 1.0, v9, vcc
	v_mul_f32_e32 v7, v7, v8
	v_log_f32_e32 v7, v7
	v_cndmask_b32_e32 v8, 0, v10, vcc
	v_cmp_lt_f16_e32 vcc, s7, v11
	v_cndmask_b32_e64 v9, 0, 1, s[8:9]
	v_sub_f32_e32 v7, v7, v8
	v_mul_f32_e32 v7, 0x3f317218, v7
	v_cndmask_b32_e32 v7, v7, v12, vcc
	v_mul_f32_e32 v8, 0x4f800000, v7
	v_cmp_gt_f32_e32 vcc, s15, v7
	v_cndmask_b32_e32 v7, v7, v8, vcc
	v_sqrt_f32_e32 v8, v7
	v_cmp_ne_u32_e64 s[0:1], 1, v9
	v_add_u32_e32 v9, -1, v8
	v_add_u32_e32 v10, 1, v8
	v_fma_f32 v11, -v9, v8, v7
	v_fma_f32 v12, -v10, v8, v7
	v_cmp_ge_f32_e64 s[2:3], 0, v11
	v_cndmask_b32_e64 v8, v8, v9, s[2:3]
	v_cmp_lt_f32_e64 s[2:3], 0, v12
	v_cndmask_b32_e64 v8, v8, v10, s[2:3]
	v_mul_f32_e32 v9, 0x37800000, v8
	v_cndmask_b32_e32 v8, v8, v9, vcc
	v_cmp_class_f32_e32 vcc, v7, v3
	v_cndmask_b32_e32 v9, v8, v7, vcc
	s_andn2_b64 vcc, exec, s[8:9]
	v_mov_b32_e32 v8, v9
	s_cbranch_vccnz .LBB196_4
; %bb.3:
	global_load_ushort v3, v1, s[10:11] offset:128
	s_waitcnt vmcnt(0)
	v_lshlrev_b32_e32 v3, 16, v3
	v_add_f32_e32 v8, v9, v3
.LBB196_4:
	global_load_ushort v10, v[4:5], off offset:256
	s_mov_b32 s12, 0xc2fc0000
	v_mov_b32_e32 v11, 0x42800000
	s_mov_b32 s8, 0x3fb8aa3b
	v_mov_b32_e32 v3, 0x1f800000
	;; [unrolled: 2-line block ×3, first 2 shown]
	s_mov_b32 s9, 0xf800000
	s_waitcnt vmcnt(0)
	v_cvt_f32_f16_e32 v12, v10
	v_mul_f32_e32 v7, 0x3fb8aa3b, v12
	v_cmp_gt_f32_e32 vcc, s12, v7
	v_cndmask_b32_e32 v13, 0, v11, vcc
	v_fma_mix_f32 v13, v10, s8, v13 op_sel_hi:[1,0,0]
	v_exp_f32_e32 v13, v13
	v_cndmask_b32_e32 v7, 1.0, v3, vcc
	v_fma_f32 v7, v13, v7, 1.0
	v_cmp_gt_f32_e32 vcc, s13, v7
	v_cndmask_b32_e32 v13, 1.0, v14, vcc
	v_mul_f32_e32 v7, v7, v13
	v_log_f32_e32 v13, v7
	v_mov_b32_e32 v7, 0x42000000
	v_cndmask_b32_e32 v15, 0, v7, vcc
	v_cmp_lt_f16_e32 vcc, s7, v10
	v_sub_f32_e32 v13, v13, v15
	v_mul_f32_e32 v13, 0x3f317218, v13
	v_cndmask_b32_e32 v10, v13, v12, vcc
	v_mul_f32_e32 v12, 0x4f800000, v10
	v_cmp_gt_f32_e32 vcc, s9, v10
	v_cndmask_b32_e32 v10, v10, v12, vcc
	v_sqrt_f32_e32 v12, v10
	v_mov_b32_e32 v13, 0x260
	v_add_u32_e32 v15, -1, v12
	v_add_u32_e32 v16, 1, v12
	v_fma_f32 v17, -v15, v12, v10
	v_fma_f32 v18, -v16, v12, v10
	v_cmp_ge_f32_e64 s[2:3], 0, v17
	v_cndmask_b32_e64 v12, v12, v15, s[2:3]
	v_cmp_lt_f32_e64 s[2:3], 0, v18
	v_cndmask_b32_e64 v12, v12, v16, s[2:3]
	v_mul_f32_e32 v15, 0x37800000, v12
	v_cndmask_b32_e32 v12, v12, v15, vcc
	v_cmp_class_f32_e32 vcc, v10, v13
	v_cndmask_b32_e32 v12, v12, v10, vcc
	s_and_b64 vcc, exec, s[0:1]
	v_mov_b32_e32 v10, v12
	s_cbranch_vccnz .LBB196_6
; %bb.5:
	global_load_ushort v10, v1, s[10:11] offset:256
	s_waitcnt vmcnt(0)
	v_lshlrev_b32_e32 v10, 16, v10
	v_add_f32_e32 v10, v12, v10
.LBB196_6:
	global_load_ushort v4, v[4:5], off offset:384
	s_waitcnt vmcnt(0)
	v_cvt_f32_f16_e32 v5, v4
	v_mul_f32_e32 v15, 0x3fb8aa3b, v5
	v_cmp_gt_f32_e32 vcc, s12, v15
	v_cndmask_b32_e32 v11, 0, v11, vcc
	v_fma_mix_f32 v11, v4, s8, v11 op_sel_hi:[1,0,0]
	v_exp_f32_e32 v11, v11
	v_cndmask_b32_e32 v3, 1.0, v3, vcc
	v_fma_f32 v3, v11, v3, 1.0
	v_cmp_gt_f32_e32 vcc, s13, v3
	v_cndmask_b32_e32 v11, 1.0, v14, vcc
	v_mul_f32_e32 v3, v3, v11
	v_log_f32_e32 v3, v3
	v_cndmask_b32_e32 v7, 0, v7, vcc
	v_cmp_lt_f16_e32 vcc, s7, v4
	v_sub_f32_e32 v3, v3, v7
	v_mul_f32_e32 v3, 0x3f317218, v3
	v_cndmask_b32_e32 v3, v3, v5, vcc
	v_mul_f32_e32 v4, 0x4f800000, v3
	v_cmp_gt_f32_e32 vcc, s9, v3
	v_cndmask_b32_e32 v3, v3, v4, vcc
	v_sqrt_f32_e32 v4, v3
	v_add_u32_e32 v5, -1, v4
	v_add_u32_e32 v7, 1, v4
	v_fma_f32 v11, -v5, v4, v3
	v_fma_f32 v14, -v7, v4, v3
	v_cmp_ge_f32_e64 s[2:3], 0, v11
	v_cndmask_b32_e64 v4, v4, v5, s[2:3]
	v_cmp_lt_f32_e64 s[2:3], 0, v14
	v_cndmask_b32_e64 v4, v4, v7, s[2:3]
	v_mul_f32_e32 v5, 0x37800000, v4
	v_cndmask_b32_e32 v4, v4, v5, vcc
	v_cmp_class_f32_e32 vcc, v3, v13
	v_cndmask_b32_e32 v3, v4, v3, vcc
	s_and_b64 vcc, exec, s[0:1]
	v_mov_b32_e32 v5, v3
	s_cbranch_vccnz .LBB196_8
; %bb.7:
	global_load_ushort v1, v1, s[10:11] offset:384
	s_waitcnt vmcnt(0)
	v_lshlrev_b32_e32 v1, 16, v1
	v_add_f32_e32 v5, v3, v1
.LBB196_8:
	v_add_u32_e32 v4, 64, v0
	v_cmp_lt_f32_e32 vcc, v6, v8
	v_add_u32_e32 v15, 0x80, v0
	v_add_u32_e32 v7, 0xc0, v0
	v_cndmask_b32_e32 v11, v9, v2, vcc
	v_cndmask_b32_e32 v2, v2, v9, vcc
	;; [unrolled: 1-line block ×6, first 2 shown]
	v_cmp_lt_f32_e32 vcc, v10, v5
	v_mov_b32_e32 v8, v10
	s_and_saveexec_b64 s[0:1], vcc
	s_xor_b64 s[0:1], exec, s[0:1]
; %bb.9:
	v_mov_b32_e32 v8, v12
	v_mov_b32_e32 v14, v10
	;; [unrolled: 1-line block ×4, first 2 shown]
	v_swap_b32 v12, v3
	v_swap_b32 v15, v7
	v_mov_b32_e32 v8, v5
	v_mov_b32_e32 v5, v14
; %bb.10:
	s_or_b64 exec, exec, s[0:1]
	v_cmp_lt_f32_e32 vcc, v6, v10
	v_cndmask_b32_e32 v13, v12, v2, vcc
	v_cndmask_b32_e32 v2, v2, v12, vcc
	;; [unrolled: 1-line block ×6, first 2 shown]
	v_cmp_lt_f32_e32 vcc, v9, v5
	v_mov_b32_e32 v15, v9
	s_and_saveexec_b64 s[0:1], vcc
; %bb.11:
	v_mov_b32_e32 v16, v9
	v_mov_b32_e32 v8, v11
	;; [unrolled: 1-line block ×4, first 2 shown]
	v_swap_b32 v11, v3
	v_swap_b32 v1, v7
	v_mov_b32_e32 v15, v5
	v_mov_b32_e32 v5, v16
; %bb.12:
	s_or_b64 exec, exec, s[0:1]
	s_load_dword s2, s[4:5], 0x28
	s_load_dwordx4 s[8:11], s[4:5], 0x10
	s_waitcnt lgkmcnt(0)
	s_cmp_lt_i32 s2, 1
	s_cbranch_scc1 .LBB196_18
; %bb.13:
	v_cmp_lt_f32_e32 vcc, v9, v12
	v_cndmask_b32_e32 v10, v12, v9, vcc
	v_cndmask_b32_e32 v9, v15, v12, vcc
	;; [unrolled: 1-line block ×4, first 2 shown]
	v_mbcnt_lo_u32_b32 v13, -1, 0
	v_mbcnt_hi_u32_b32 v13, -1, v13
	v_bfrev_b32_e32 v17, 0.5
	v_cndmask_b32_e32 v8, v14, v1, vcc
	v_cndmask_b32_e32 v1, v1, v14, vcc
	v_mov_b32_e32 v15, 0
	v_mov_b32_e32 v14, 0
	;; [unrolled: 1-line block ×3, first 2 shown]
	v_lshl_or_b32 v17, v13, 2, v17
	v_mov_b32_e32 v18, v0
	s_mov_b32 s3, s2
	v_mov_b32_e32 v13, 0
.LBB196_14:                             ; =>This Inner Loop Header: Depth=1
	v_cmp_eq_u32_e32 vcc, 1, v15
	v_cndmask_b32_e32 v19, v6, v9, vcc
	v_cmp_eq_u32_e64 s[0:1], 2, v15
	v_cndmask_b32_e64 v19, v19, v10, s[0:1]
	v_cndmask_b32_e32 v20, v4, v1, vcc
	v_cndmask_b32_e32 v21, v2, v11, vcc
	v_cmp_eq_u32_e32 vcc, 3, v15
	v_cndmask_b32_e32 v19, v19, v5, vcc
	v_cndmask_b32_e64 v20, v20, v8, s[0:1]
	v_cndmask_b32_e64 v21, v21, v12, s[0:1]
	v_cmp_gt_u32_e64 s[0:1], 4, v15
	v_cndmask_b32_e64 v19, v16, v19, s[0:1]
	;;#ASMSTART
	v_max_f32 v23, v19, v19 quad_perm:[1,0,3,2] row_mask:0xf bank_mask:0xf bound_ctrl:1
	;;#ASMEND
	;;#ASMSTART
	v_max_f32 v24, v23, v23 quad_perm:[2,3,0,1] row_mask:0xf bank_mask:0xf bound_ctrl:1
	;;#ASMEND
	;;#ASMSTART
	v_max_f32 v23, v24, v24 row_half_mirror row_mask:0xf bank_mask:0xf bound_ctrl:1
	;;#ASMEND
	;;#ASMSTART
	v_max_f32 v24, v23, v23 row_mirror row_mask:0xf bank_mask:0xf bound_ctrl:1
	;;#ASMEND
	;;#ASMSTART
	v_max_f32 v23, v24, v24 row_ror:4 row_mask:0xf bank_mask:0xf bound_ctrl:1
	;;#ASMEND
	;;#ASMSTART
	v_max_f32 v24, v23, v23 row_ror:8 row_mask:0xf bank_mask:0xf bound_ctrl:1
	;;#ASMEND
	;;#ASMSTART
	v_max_f32 v23, v24, v24 row_bcast:15 row_mask:0xf bank_mask:0xf bound_ctrl:1
	;;#ASMEND
	;;#ASMSTART
	v_max_f32 v24, v23, v23 row_bcast:31 row_mask:0xf bank_mask:0xf bound_ctrl:1
	;;#ASMEND
	ds_bpermute_b32 v23, v17, v24
	v_cndmask_b32_e32 v20, v20, v7, vcc
	v_cndmask_b32_e32 v21, v21, v3, vcc
	v_cndmask_b32_e64 v22, 0, v20, s[0:1]
	s_waitcnt lgkmcnt(0)
	v_cmp_eq_f32_e32 vcc, v19, v23
	s_ff1_i32_b64 s7, vcc
	s_cmp_lg_u64 vcc, 0
	s_cselect_b32 s7, s7, 0
	v_readlane_b32 s7, v22, s7
	v_cmp_eq_u32_e32 vcc, s7, v20
	s_and_b64 vcc, s[0:1], vcc
	s_and_b32 s12, s7, 63
	v_cndmask_b32_e32 v20, 0, v21, vcc
	v_addc_co_u32_e32 v15, vcc, 0, v15, vcc
	v_readlane_b32 s0, v20, s12
	s_add_i32 s3, s3, -1
	v_mov_b32_e32 v19, s7
	v_mov_b32_e32 v20, s0
	v_cmp_eq_u32_e32 vcc, 0, v18
	s_cmp_eq_u32 s3, 0
	v_add_u32_e32 v18, -1, v18
	v_cndmask_b32_e32 v14, v14, v20, vcc
	v_cndmask_b32_e32 v13, v13, v19, vcc
	s_cbranch_scc0 .LBB196_14
; %bb.15:
	v_cmp_gt_i32_e32 vcc, s2, v0
	s_and_saveexec_b64 s[0:1], vcc
	s_cbranch_execz .LBB196_17
.LBB196_16:
	s_load_dword s2, s[4:5], 0x30
	s_load_dwordx2 s[0:1], s[4:5], 0x20
	s_ashr_i32 s3, s6, 31
	v_lshlrev_b32_e32 v0, 2, v0
	s_waitcnt lgkmcnt(0)
	v_mul_f32_e32 v1, s2, v14
	s_mul_i32 s1, s6, s1
	s_mul_hi_u32 s2, s6, s0
	s_add_i32 s1, s2, s1
	s_mul_i32 s3, s3, s0
	s_add_i32 s1, s1, s3
	s_mul_i32 s0, s6, s0
	s_lshl_b64 s[0:1], s[0:1], 2
	s_add_u32 s2, s8, s0
	s_addc_u32 s3, s9, s1
	s_add_u32 s0, s10, s0
	s_addc_u32 s1, s11, s1
	global_store_dword v0, v1, s[2:3]
	global_store_dword v0, v13, s[0:1]
.LBB196_17:
	s_endpgm
.LBB196_18:
	v_mov_b32_e32 v13, 0
	v_mov_b32_e32 v14, 0
	v_cmp_gt_i32_e32 vcc, s2, v0
	s_and_saveexec_b64 s[0:1], vcc
	s_cbranch_execnz .LBB196_16
	s_branch .LBB196_17
	.section	.rodata,"a",@progbits
	.p2align	6, 0x0
	.amdhsa_kernel _ZN5aiter24topk_softplus_kernel_optI6__half12hip_bfloat16Li256ELb0ELi0EEEvPKT_PKT0_PfPimiif
		.amdhsa_group_segment_fixed_size 0
		.amdhsa_private_segment_fixed_size 0
		.amdhsa_kernarg_size 52
		.amdhsa_user_sgpr_count 6
		.amdhsa_user_sgpr_private_segment_buffer 1
		.amdhsa_user_sgpr_dispatch_ptr 0
		.amdhsa_user_sgpr_queue_ptr 0
		.amdhsa_user_sgpr_kernarg_segment_ptr 1
		.amdhsa_user_sgpr_dispatch_id 0
		.amdhsa_user_sgpr_flat_scratch_init 0
		.amdhsa_user_sgpr_kernarg_preload_length 0
		.amdhsa_user_sgpr_kernarg_preload_offset 0
		.amdhsa_user_sgpr_private_segment_size 0
		.amdhsa_uses_dynamic_stack 0
		.amdhsa_system_sgpr_private_segment_wavefront_offset 0
		.amdhsa_system_sgpr_workgroup_id_x 1
		.amdhsa_system_sgpr_workgroup_id_y 0
		.amdhsa_system_sgpr_workgroup_id_z 0
		.amdhsa_system_sgpr_workgroup_info 0
		.amdhsa_system_vgpr_workitem_id 0
		.amdhsa_next_free_vgpr 25
		.amdhsa_next_free_sgpr 16
		.amdhsa_accum_offset 28
		.amdhsa_reserve_vcc 1
		.amdhsa_reserve_flat_scratch 0
		.amdhsa_float_round_mode_32 0
		.amdhsa_float_round_mode_16_64 0
		.amdhsa_float_denorm_mode_32 3
		.amdhsa_float_denorm_mode_16_64 3
		.amdhsa_dx10_clamp 1
		.amdhsa_ieee_mode 1
		.amdhsa_fp16_overflow 0
		.amdhsa_tg_split 0
		.amdhsa_exception_fp_ieee_invalid_op 0
		.amdhsa_exception_fp_denorm_src 0
		.amdhsa_exception_fp_ieee_div_zero 0
		.amdhsa_exception_fp_ieee_overflow 0
		.amdhsa_exception_fp_ieee_underflow 0
		.amdhsa_exception_fp_ieee_inexact 0
		.amdhsa_exception_int_div_zero 0
	.end_amdhsa_kernel
	.section	.text._ZN5aiter24topk_softplus_kernel_optI6__half12hip_bfloat16Li256ELb0ELi0EEEvPKT_PKT0_PfPimiif,"axG",@progbits,_ZN5aiter24topk_softplus_kernel_optI6__half12hip_bfloat16Li256ELb0ELi0EEEvPKT_PKT0_PfPimiif,comdat
.Lfunc_end196:
	.size	_ZN5aiter24topk_softplus_kernel_optI6__half12hip_bfloat16Li256ELb0ELi0EEEvPKT_PKT0_PfPimiif, .Lfunc_end196-_ZN5aiter24topk_softplus_kernel_optI6__half12hip_bfloat16Li256ELb0ELi0EEEvPKT_PKT0_PfPimiif
                                        ; -- End function
	.section	.AMDGPU.csdata,"",@progbits
; Kernel info:
; codeLenInByte = 1800
; NumSgprs: 20
; NumVgprs: 25
; NumAgprs: 0
; TotalNumVgprs: 25
; ScratchSize: 0
; MemoryBound: 0
; FloatMode: 240
; IeeeMode: 1
; LDSByteSize: 0 bytes/workgroup (compile time only)
; SGPRBlocks: 2
; VGPRBlocks: 3
; NumSGPRsForWavesPerEU: 20
; NumVGPRsForWavesPerEU: 25
; AccumOffset: 28
; Occupancy: 8
; WaveLimiterHint : 0
; COMPUTE_PGM_RSRC2:SCRATCH_EN: 0
; COMPUTE_PGM_RSRC2:USER_SGPR: 6
; COMPUTE_PGM_RSRC2:TRAP_HANDLER: 0
; COMPUTE_PGM_RSRC2:TGID_X_EN: 1
; COMPUTE_PGM_RSRC2:TGID_Y_EN: 0
; COMPUTE_PGM_RSRC2:TGID_Z_EN: 0
; COMPUTE_PGM_RSRC2:TIDIG_COMP_CNT: 0
; COMPUTE_PGM_RSRC3_GFX90A:ACCUM_OFFSET: 6
; COMPUTE_PGM_RSRC3_GFX90A:TG_SPLIT: 0
	.section	.text._ZN5aiter24topk_softplus_kernel_optI6__half12hip_bfloat16Li384ELb1ELi0EEEvPKT_PKT0_PfPimiif,"axG",@progbits,_ZN5aiter24topk_softplus_kernel_optI6__half12hip_bfloat16Li384ELb1ELi0EEEvPKT_PKT0_PfPimiif,comdat
	.protected	_ZN5aiter24topk_softplus_kernel_optI6__half12hip_bfloat16Li384ELb1ELi0EEEvPKT_PKT0_PfPimiif ; -- Begin function _ZN5aiter24topk_softplus_kernel_optI6__half12hip_bfloat16Li384ELb1ELi0EEEvPKT_PKT0_PfPimiif
	.globl	_ZN5aiter24topk_softplus_kernel_optI6__half12hip_bfloat16Li384ELb1ELi0EEEvPKT_PKT0_PfPimiif
	.p2align	8
	.type	_ZN5aiter24topk_softplus_kernel_optI6__half12hip_bfloat16Li384ELb1ELi0EEEvPKT_PKT0_PfPimiif,@function
_ZN5aiter24topk_softplus_kernel_optI6__half12hip_bfloat16Li384ELb1ELi0EEEvPKT_PKT0_PfPimiif: ; @_ZN5aiter24topk_softplus_kernel_optI6__half12hip_bfloat16Li384ELb1ELi0EEEvPKT_PKT0_PfPimiif
; %bb.0:
	s_load_dwordx4 s[8:11], s[4:5], 0x0
	s_mul_i32 s0, s6, 0x180
	s_ashr_i32 s1, s0, 31
	s_lshl_b64 s[0:1], s[0:1], 1
	v_lshlrev_b32_e32 v1, 1, v0
	s_waitcnt lgkmcnt(0)
	s_add_u32 s0, s8, s0
	s_addc_u32 s1, s9, s1
	global_load_ushort v2, v1, s[0:1]
	s_mov_b32 s13, 0xc2fc0000
	v_mov_b32_e32 v7, 0x42800000
	s_mov_b32 s12, 0x3fb8aa3b
	v_mov_b32_e32 v8, 0x1f800000
	;; [unrolled: 2-line block ×3, first 2 shown]
	v_mov_b32_e32 v10, 0x42000000
	s_movk_i32 s7, 0x4d00
	s_mov_b32 s15, 0xf800000
	v_mov_b32_e32 v6, 0x260
	s_cmp_lg_u64 s[10:11], 0
	s_cselect_b64 s[8:9], -1, 0
	s_waitcnt vmcnt(0)
	v_cvt_f32_f16_e32 v3, v2
	v_mul_f32_e32 v4, 0x3fb8aa3b, v3
	v_cmp_gt_f32_e32 vcc, s13, v4
	v_cndmask_b32_e32 v4, 0, v7, vcc
	v_fma_mix_f32 v4, v2, s12, v4 op_sel_hi:[1,0,0]
	v_exp_f32_e32 v4, v4
	v_cndmask_b32_e32 v5, 1.0, v8, vcc
	v_fma_f32 v4, v4, v5, 1.0
	v_cmp_gt_f32_e32 vcc, s14, v4
	v_cndmask_b32_e32 v5, 1.0, v9, vcc
	v_mul_f32_e32 v4, v4, v5
	v_log_f32_e32 v4, v4
	v_cndmask_b32_e32 v11, 0, v10, vcc
	v_cmp_lt_f16_e32 vcc, s7, v2
	v_mov_b32_e32 v5, s1
	v_sub_f32_e32 v4, v4, v11
	v_mul_f32_e32 v4, 0x3f317218, v4
	v_cndmask_b32_e32 v2, v4, v3, vcc
	v_mul_f32_e32 v3, 0x4f800000, v2
	v_cmp_gt_f32_e32 vcc, s15, v2
	v_cndmask_b32_e32 v4, v2, v3, vcc
	v_sqrt_f32_e32 v11, v4
	v_add_co_u32_e64 v2, s[0:1], s0, v1
	v_addc_co_u32_e64 v3, s[0:1], 0, v5, s[0:1]
	v_add_u32_e32 v5, -1, v11
	v_add_u32_e32 v12, 1, v11
	v_fma_f32 v13, -v5, v11, v4
	v_fma_f32 v14, -v12, v11, v4
	v_cmp_ge_f32_e64 s[2:3], 0, v13
	v_cndmask_b32_e64 v5, v11, v5, s[2:3]
	v_cmp_lt_f32_e64 s[2:3], 0, v14
	v_cndmask_b32_e64 v5, v5, v12, s[2:3]
	v_mul_f32_e32 v11, 0x37800000, v5
	v_cndmask_b32_e32 v5, v5, v11, vcc
	v_cmp_class_f32_e32 vcc, v4, v6
	s_and_b64 s[0:1], exec, s[8:9]
	v_cndmask_b32_e32 v4, v5, v4, vcc
	v_mov_b32_e32 v5, v4
	s_mov_b64 vcc, s[0:1]
	s_cbranch_vccz .LBB197_2
; %bb.1:
	global_load_ushort v5, v1, s[10:11]
	s_waitcnt vmcnt(0)
	v_lshlrev_b32_e32 v5, 16, v5
	v_add_f32_e32 v5, v4, v5
.LBB197_2:
	global_load_ushort v11, v[2:3], off offset:128
	s_waitcnt vmcnt(0)
	v_cvt_f32_f16_e32 v12, v11
	v_mul_f32_e32 v13, 0x3fb8aa3b, v12
	v_cmp_gt_f32_e32 vcc, s13, v13
	v_cndmask_b32_e32 v7, 0, v7, vcc
	v_fma_mix_f32 v7, v11, s12, v7 op_sel_hi:[1,0,0]
	v_exp_f32_e32 v7, v7
	v_cndmask_b32_e32 v8, 1.0, v8, vcc
	v_fma_f32 v7, v7, v8, 1.0
	v_cmp_gt_f32_e32 vcc, s14, v7
	v_cndmask_b32_e32 v8, 1.0, v9, vcc
	v_mul_f32_e32 v7, v7, v8
	v_log_f32_e32 v7, v7
	v_cndmask_b32_e32 v8, 0, v10, vcc
	v_cmp_lt_f16_e32 vcc, s7, v11
	v_cndmask_b32_e64 v9, 0, 1, s[8:9]
	v_sub_f32_e32 v7, v7, v8
	v_mul_f32_e32 v7, 0x3f317218, v7
	v_cndmask_b32_e32 v7, v7, v12, vcc
	v_mul_f32_e32 v8, 0x4f800000, v7
	v_cmp_gt_f32_e32 vcc, s15, v7
	v_cndmask_b32_e32 v7, v7, v8, vcc
	v_sqrt_f32_e32 v8, v7
	v_cmp_ne_u32_e64 s[0:1], 1, v9
	v_add_u32_e32 v9, -1, v8
	v_add_u32_e32 v10, 1, v8
	v_fma_f32 v11, -v9, v8, v7
	v_fma_f32 v12, -v10, v8, v7
	v_cmp_ge_f32_e64 s[2:3], 0, v11
	v_cndmask_b32_e64 v8, v8, v9, s[2:3]
	v_cmp_lt_f32_e64 s[2:3], 0, v12
	v_cndmask_b32_e64 v8, v8, v10, s[2:3]
	v_mul_f32_e32 v9, 0x37800000, v8
	v_cndmask_b32_e32 v8, v8, v9, vcc
	v_cmp_class_f32_e32 vcc, v7, v6
	v_cndmask_b32_e32 v6, v8, v7, vcc
	s_andn2_b64 vcc, exec, s[8:9]
	v_mov_b32_e32 v7, v6
	s_cbranch_vccnz .LBB197_4
; %bb.3:
	global_load_ushort v7, v1, s[10:11] offset:128
	s_waitcnt vmcnt(0)
	v_lshlrev_b32_e32 v7, 16, v7
	v_add_f32_e32 v7, v6, v7
.LBB197_4:
	global_load_ushort v8, v[2:3], off offset:256
	s_mov_b32 s12, 0xc2fc0000
	v_mov_b32_e32 v12, 0x42800000
	s_mov_b32 s8, 0x3fb8aa3b
	v_mov_b32_e32 v10, 0x1f800000
	;; [unrolled: 2-line block ×3, first 2 shown]
	s_mov_b32 s9, 0xf800000
	s_waitcnt vmcnt(0)
	v_cvt_f32_f16_e32 v9, v8
	v_mul_f32_e32 v11, 0x3fb8aa3b, v9
	v_cmp_gt_f32_e32 vcc, s12, v11
	v_cndmask_b32_e32 v13, 0, v12, vcc
	v_fma_mix_f32 v13, v8, s8, v13 op_sel_hi:[1,0,0]
	v_exp_f32_e32 v13, v13
	v_cndmask_b32_e32 v11, 1.0, v10, vcc
	v_fma_f32 v11, v13, v11, 1.0
	v_cmp_gt_f32_e32 vcc, s13, v11
	v_cndmask_b32_e32 v13, 1.0, v14, vcc
	v_mul_f32_e32 v11, v11, v13
	v_log_f32_e32 v13, v11
	v_mov_b32_e32 v11, 0x42000000
	v_cndmask_b32_e32 v15, 0, v11, vcc
	v_cmp_lt_f16_e32 vcc, s7, v8
	v_sub_f32_e32 v13, v13, v15
	v_mul_f32_e32 v13, 0x3f317218, v13
	v_cndmask_b32_e32 v8, v13, v9, vcc
	v_mul_f32_e32 v9, 0x4f800000, v8
	v_cmp_gt_f32_e32 vcc, s9, v8
	v_cndmask_b32_e32 v8, v8, v9, vcc
	v_sqrt_f32_e32 v9, v8
	v_mov_b32_e32 v13, 0x260
	v_add_u32_e32 v15, -1, v9
	v_add_u32_e32 v16, 1, v9
	v_fma_f32 v17, -v15, v9, v8
	v_fma_f32 v18, -v16, v9, v8
	v_cmp_ge_f32_e64 s[2:3], 0, v17
	v_cndmask_b32_e64 v9, v9, v15, s[2:3]
	v_cmp_lt_f32_e64 s[2:3], 0, v18
	v_cndmask_b32_e64 v9, v9, v16, s[2:3]
	v_mul_f32_e32 v15, 0x37800000, v9
	v_cndmask_b32_e32 v9, v9, v15, vcc
	v_cmp_class_f32_e32 vcc, v8, v13
	v_cndmask_b32_e32 v8, v9, v8, vcc
	s_and_b64 vcc, exec, s[0:1]
	v_mov_b32_e32 v9, v8
	s_cbranch_vccnz .LBB197_6
; %bb.5:
	global_load_ushort v9, v1, s[10:11] offset:256
	s_waitcnt vmcnt(0)
	v_lshlrev_b32_e32 v9, 16, v9
	v_add_f32_e32 v9, v8, v9
.LBB197_6:
	global_load_ushort v15, v[2:3], off offset:384
	s_waitcnt vmcnt(0)
	v_cvt_f32_f16_e32 v16, v15
	v_mul_f32_e32 v17, 0x3fb8aa3b, v16
	v_cmp_gt_f32_e32 vcc, s12, v17
	v_cndmask_b32_e32 v12, 0, v12, vcc
	v_fma_mix_f32 v12, v15, s8, v12 op_sel_hi:[1,0,0]
	v_exp_f32_e32 v12, v12
	v_cndmask_b32_e32 v10, 1.0, v10, vcc
	v_fma_f32 v10, v12, v10, 1.0
	v_cmp_gt_f32_e32 vcc, s13, v10
	v_cndmask_b32_e32 v12, 1.0, v14, vcc
	v_mul_f32_e32 v10, v10, v12
	v_log_f32_e32 v10, v10
	v_cndmask_b32_e32 v11, 0, v11, vcc
	v_cmp_lt_f16_e32 vcc, s7, v15
	v_sub_f32_e32 v10, v10, v11
	v_mul_f32_e32 v10, 0x3f317218, v10
	v_cndmask_b32_e32 v10, v10, v16, vcc
	v_mul_f32_e32 v11, 0x4f800000, v10
	v_cmp_gt_f32_e32 vcc, s9, v10
	v_cndmask_b32_e32 v10, v10, v11, vcc
	v_sqrt_f32_e32 v11, v10
	v_add_u32_e32 v12, -1, v11
	v_add_u32_e32 v14, 1, v11
	v_fma_f32 v15, -v12, v11, v10
	v_fma_f32 v16, -v14, v11, v10
	v_cmp_ge_f32_e64 s[2:3], 0, v15
	v_cndmask_b32_e64 v11, v11, v12, s[2:3]
	v_cmp_lt_f32_e64 s[2:3], 0, v16
	v_cndmask_b32_e64 v11, v11, v14, s[2:3]
	v_mul_f32_e32 v12, 0x37800000, v11
	v_cndmask_b32_e32 v11, v11, v12, vcc
	v_cmp_class_f32_e32 vcc, v10, v13
	v_cndmask_b32_e32 v10, v11, v10, vcc
	s_and_b64 vcc, exec, s[0:1]
	v_mov_b32_e32 v11, v10
	s_cbranch_vccnz .LBB197_8
; %bb.7:
	global_load_ushort v11, v1, s[10:11] offset:384
	s_waitcnt vmcnt(0)
	v_lshlrev_b32_e32 v11, 16, v11
	v_add_f32_e32 v11, v10, v11
.LBB197_8:
	global_load_ushort v12, v[2:3], off offset:512
	v_mov_b32_e32 v16, 0x42800000
	v_mov_b32_e32 v14, 0x1f800000
	;; [unrolled: 1-line block ×3, first 2 shown]
	s_waitcnt vmcnt(0)
	v_cvt_f32_f16_e32 v13, v12
	v_mul_f32_e32 v15, 0x3fb8aa3b, v13
	v_cmp_gt_f32_e32 vcc, s12, v15
	v_cndmask_b32_e32 v17, 0, v16, vcc
	v_fma_mix_f32 v17, v12, s8, v17 op_sel_hi:[1,0,0]
	v_exp_f32_e32 v17, v17
	v_cndmask_b32_e32 v15, 1.0, v14, vcc
	v_fma_f32 v15, v17, v15, 1.0
	v_cmp_gt_f32_e32 vcc, s13, v15
	v_cndmask_b32_e32 v17, 1.0, v18, vcc
	v_mul_f32_e32 v15, v15, v17
	v_log_f32_e32 v17, v15
	v_mov_b32_e32 v15, 0x42000000
	v_cndmask_b32_e32 v19, 0, v15, vcc
	v_cmp_lt_f16_e32 vcc, s7, v12
	v_sub_f32_e32 v17, v17, v19
	v_mul_f32_e32 v17, 0x3f317218, v17
	v_cndmask_b32_e32 v12, v17, v13, vcc
	v_mul_f32_e32 v13, 0x4f800000, v12
	v_cmp_gt_f32_e32 vcc, s9, v12
	v_cndmask_b32_e32 v12, v12, v13, vcc
	v_sqrt_f32_e32 v13, v12
	v_mov_b32_e32 v17, 0x260
	v_add_u32_e32 v19, -1, v13
	v_add_u32_e32 v20, 1, v13
	v_fma_f32 v21, -v19, v13, v12
	v_fma_f32 v22, -v20, v13, v12
	v_cmp_ge_f32_e64 s[2:3], 0, v21
	v_cndmask_b32_e64 v13, v13, v19, s[2:3]
	v_cmp_lt_f32_e64 s[2:3], 0, v22
	v_cndmask_b32_e64 v13, v13, v20, s[2:3]
	v_mul_f32_e32 v19, 0x37800000, v13
	v_cndmask_b32_e32 v13, v13, v19, vcc
	v_cmp_class_f32_e32 vcc, v12, v17
	v_cndmask_b32_e32 v12, v13, v12, vcc
	s_and_b64 vcc, exec, s[0:1]
	v_mov_b32_e32 v13, v12
	s_cbranch_vccnz .LBB197_10
; %bb.9:
	global_load_ushort v13, v1, s[10:11] offset:512
	s_waitcnt vmcnt(0)
	v_lshlrev_b32_e32 v13, 16, v13
	v_add_f32_e32 v13, v12, v13
.LBB197_10:
	global_load_ushort v2, v[2:3], off offset:640
	s_waitcnt vmcnt(0)
	v_cvt_f32_f16_e32 v3, v2
	v_mul_f32_e32 v19, 0x3fb8aa3b, v3
	v_cmp_gt_f32_e32 vcc, s12, v19
	v_cndmask_b32_e32 v16, 0, v16, vcc
	v_fma_mix_f32 v16, v2, s8, v16 op_sel_hi:[1,0,0]
	v_exp_f32_e32 v16, v16
	v_cndmask_b32_e32 v14, 1.0, v14, vcc
	v_fma_f32 v14, v16, v14, 1.0
	v_cmp_gt_f32_e32 vcc, s13, v14
	v_cndmask_b32_e32 v16, 1.0, v18, vcc
	v_mul_f32_e32 v14, v14, v16
	v_log_f32_e32 v14, v14
	v_cndmask_b32_e32 v15, 0, v15, vcc
	v_cmp_lt_f16_e32 vcc, s7, v2
	v_sub_f32_e32 v14, v14, v15
	v_mul_f32_e32 v14, 0x3f317218, v14
	v_cndmask_b32_e32 v2, v14, v3, vcc
	v_mul_f32_e32 v3, 0x4f800000, v2
	v_cmp_gt_f32_e32 vcc, s9, v2
	v_cndmask_b32_e32 v2, v2, v3, vcc
	v_sqrt_f32_e32 v3, v2
	v_add_u32_e32 v14, -1, v3
	v_add_u32_e32 v15, 1, v3
	v_fma_f32 v16, -v14, v3, v2
	v_fma_f32 v18, -v15, v3, v2
	v_cmp_ge_f32_e64 s[2:3], 0, v16
	v_cndmask_b32_e64 v3, v3, v14, s[2:3]
	v_cmp_lt_f32_e64 s[2:3], 0, v18
	v_cndmask_b32_e64 v3, v3, v15, s[2:3]
	v_mul_f32_e32 v14, 0x37800000, v3
	v_cndmask_b32_e32 v3, v3, v14, vcc
	v_cmp_class_f32_e32 vcc, v2, v17
	v_cndmask_b32_e32 v2, v3, v2, vcc
	s_and_b64 vcc, exec, s[0:1]
	v_mov_b32_e32 v3, v2
	s_cbranch_vccnz .LBB197_12
; %bb.11:
	global_load_ushort v1, v1, s[10:11] offset:640
	s_waitcnt vmcnt(0)
	v_lshlrev_b32_e32 v1, 16, v1
	v_add_f32_e32 v3, v2, v1
.LBB197_12:
	v_add_u32_e32 v1, 64, v0
	v_cmp_lt_f32_e32 vcc, v5, v7
	v_add_u32_e32 v14, 0x80, v0
	v_add_u32_e32 v15, 0xc0, v0
	v_cndmask_b32_e32 v18, v6, v4, vcc
	v_cndmask_b32_e32 v4, v4, v6, vcc
	;; [unrolled: 1-line block ×6, first 2 shown]
	v_cmp_lt_f32_e32 vcc, v9, v11
	v_add_u32_e32 v16, 0x100, v0
	v_add_u32_e32 v17, 0x140, v0
	v_cndmask_b32_e32 v7, v10, v8, vcc
	v_cndmask_b32_e32 v8, v8, v10, vcc
	v_cndmask_b32_e32 v10, v15, v14, vcc
	v_cndmask_b32_e32 v14, v14, v15, vcc
	v_cndmask_b32_e32 v15, v11, v9, vcc
	v_cndmask_b32_e32 v9, v9, v11, vcc
	v_cmp_lt_f32_e32 vcc, v13, v3
	v_cndmask_b32_e32 v11, v2, v12, vcc
	v_cndmask_b32_e32 v2, v12, v2, vcc
	v_cndmask_b32_e32 v12, v17, v16, vcc
	v_cndmask_b32_e32 v16, v16, v17, vcc
	v_cndmask_b32_e32 v17, v3, v13, vcc
	v_cndmask_b32_e32 v3, v13, v3, vcc
	v_cmp_lt_f32_e32 vcc, v5, v9
	;; [unrolled: 7-line block ×7, first 2 shown]
	v_cndmask_b32_e32 v12, v21, v23, vcc
	v_cmp_lt_f32_e64 s[0:1], v26, v13
	v_cndmask_b32_e32 v5, v22, v9, vcc
	v_cndmask_b32_e32 v8, v9, v22, vcc
	;; [unrolled: 1-line block ×3, first 2 shown]
	v_cndmask_b32_e64 v18, v1, v24, s[0:1]
	v_cndmask_b32_e64 v14, v3, v25, s[0:1]
	;; [unrolled: 1-line block ×3, first 2 shown]
	v_cmp_lt_f32_e64 s[2:3], v16, v12
	v_cndmask_b32_e32 v10, v20, v11, vcc
	v_cndmask_b32_e32 v9, v23, v21, vcc
	v_cndmask_b32_e64 v1, v24, v1, s[0:1]
	v_cndmask_b32_e64 v3, v25, v3, s[0:1]
	v_cndmask_b32_e64 v11, v26, v13, s[0:1]
	s_and_saveexec_b64 s[0:1], s[2:3]
	s_xor_b64 s[0:1], exec, s[0:1]
; %bb.13:
	v_mov_b32_e32 v13, v19
	v_mov_b32_e32 v20, v15
	;; [unrolled: 1-line block ×3, first 2 shown]
	v_swap_b32 v16, v12
	v_swap_b32 v19, v8
	v_swap_b32 v15, v10
; %bb.14:
	s_or_b64 exec, exec, s[0:1]
	s_load_dword s7, s[4:5], 0x28
	s_load_dwordx4 s[16:19], s[4:5], 0x10
	v_mov_b32_e32 v21, 0
	s_waitcnt lgkmcnt(0)
	s_cmp_lt_i32 s7, 1
	s_cbranch_scc1 .LBB197_20
; %bb.15:
	v_cmp_lt_f32_e32 vcc, v17, v16
	v_cndmask_b32_e32 v13, v15, v14, vcc
	v_cndmask_b32_e32 v14, v14, v15, vcc
	;; [unrolled: 1-line block ×6, first 2 shown]
	v_mbcnt_lo_u32_b32 v19, -1, 0
	v_mbcnt_hi_u32_b32 v19, -1, v19
	v_bfrev_b32_e32 v20, 0.5
	v_mov_b32_e32 v21, 0
	v_mov_b32_e32 v22, 0
	;; [unrolled: 1-line block ×3, first 2 shown]
	v_lshl_or_b32 v24, v19, 2, v20
	v_mov_b32_e32 v25, v0
	s_mov_b32 s20, s7
	v_mov_b32_e32 v19, 0
	v_mov_b32_e32 v20, 0
.LBB197_16:                             ; =>This Inner Loop Header: Depth=1
	v_cmp_eq_u32_e32 vcc, 1, v22
	v_cndmask_b32_e32 v26, v6, v11, vcc
	v_cmp_eq_u32_e64 s[0:1], 2, v22
	v_cndmask_b32_e64 v26, v26, v16, s[0:1]
	v_cmp_eq_u32_e64 s[2:3], 3, v22
	v_cndmask_b32_e64 v26, v26, v15, s[2:3]
	;; [unrolled: 2-line block ×4, first 2 shown]
	v_cmp_gt_u32_e64 s[12:13], 6, v22
	v_cndmask_b32_e64 v26, v23, v26, s[12:13]
	;;#ASMSTART
	v_max_f32 v27, v26, v26 quad_perm:[1,0,3,2] row_mask:0xf bank_mask:0xf bound_ctrl:1
	;;#ASMEND
	;;#ASMSTART
	v_max_f32 v28, v27, v27 quad_perm:[2,3,0,1] row_mask:0xf bank_mask:0xf bound_ctrl:1
	;;#ASMEND
	;;#ASMSTART
	v_max_f32 v27, v28, v28 row_half_mirror row_mask:0xf bank_mask:0xf bound_ctrl:1
	;;#ASMEND
	;;#ASMSTART
	v_max_f32 v28, v27, v27 row_mirror row_mask:0xf bank_mask:0xf bound_ctrl:1
	;;#ASMEND
	;;#ASMSTART
	v_max_f32 v27, v28, v28 row_ror:4 row_mask:0xf bank_mask:0xf bound_ctrl:1
	;;#ASMEND
	;;#ASMSTART
	v_max_f32 v28, v27, v27 row_ror:8 row_mask:0xf bank_mask:0xf bound_ctrl:1
	;;#ASMEND
	;;#ASMSTART
	v_max_f32 v27, v28, v28 row_bcast:15 row_mask:0xf bank_mask:0xf bound_ctrl:1
	;;#ASMEND
	;;#ASMSTART
	v_max_f32 v28, v27, v27 row_bcast:31 row_mask:0xf bank_mask:0xf bound_ctrl:1
	;;#ASMEND
	ds_bpermute_b32 v27, v24, v28
	s_waitcnt lgkmcnt(0)
	v_cmp_eq_f32_e64 s[14:15], v26, v27
	v_cndmask_b32_e32 v26, v4, v3, vcc
	v_cndmask_b32_e64 v26, v26, v14, s[0:1]
	v_cndmask_b32_e64 v26, v26, v13, s[2:3]
	;; [unrolled: 1-line block ×4, first 2 shown]
	s_ff1_i32_b64 s21, s[14:15]
	s_cmp_lg_u64 s[14:15], 0
	s_cselect_b32 s14, s21, 0
	v_cndmask_b32_e64 v27, 0, v26, s[12:13]
	v_readlane_b32 s21, v27, s14
	v_cmp_eq_u32_e64 s[14:15], s21, v26
	v_cndmask_b32_e32 v26, v2, v1, vcc
	v_cndmask_b32_e64 v26, v26, v18, s[0:1]
	v_cndmask_b32_e64 v26, v26, v17, s[2:3]
	;; [unrolled: 1-line block ×4, first 2 shown]
	s_and_b64 vcc, s[12:13], s[14:15]
	s_and_b32 s0, s21, 63
	v_cndmask_b32_e32 v26, 0, v26, vcc
	v_readlane_b32 s2, v26, s0
	v_mov_b32_e32 v26, s2
	v_cmp_eq_u32_e64 s[0:1], 0, v25
	v_cndmask_b32_e64 v20, v20, v26, s[0:1]
	v_mov_b32_e32 v26, s21
	s_add_i32 s20, s20, -1
	v_cndmask_b32_e64 v19, v19, v26, s[0:1]
	v_addc_co_u32_e32 v22, vcc, 0, v22, vcc
	s_cmp_eq_u32 s20, 0
	v_add_f32_e32 v21, s2, v21
	v_add_u32_e32 v25, -1, v25
	s_cbranch_scc0 .LBB197_16
; %bb.17:
	v_cmp_gt_i32_e32 vcc, s7, v0
	s_and_saveexec_b64 s[0:1], vcc
	s_cbranch_execz .LBB197_19
.LBB197_18:
	s_load_dword s2, s[4:5], 0x30
	v_max_f32_e32 v1, v21, v21
	v_max_f32_e32 v1, 0x1e3ce508, v1
	v_lshlrev_b32_e32 v0, 2, v0
	s_waitcnt lgkmcnt(0)
	v_div_scale_f32 v2, s[0:1], v1, v1, s2
	v_rcp_f32_e32 v3, v2
	v_div_scale_f32 v4, vcc, s2, v1, s2
	s_load_dwordx2 s[0:1], s[4:5], 0x20
	v_fma_f32 v5, -v2, v3, 1.0
	v_fmac_f32_e32 v3, v5, v3
	v_mul_f32_e32 v5, v4, v3
	v_fma_f32 v6, -v2, v5, v4
	v_fmac_f32_e32 v5, v6, v3
	v_fma_f32 v2, -v2, v5, v4
	v_div_fmas_f32 v2, v2, v3, v5
	v_div_fixup_f32 v1, v2, v1, s2
	s_ashr_i32 s2, s6, 31
	s_waitcnt lgkmcnt(0)
	s_mul_i32 s1, s6, s1
	s_mul_hi_u32 s3, s6, s0
	s_add_i32 s1, s3, s1
	s_mul_i32 s2, s2, s0
	s_add_i32 s1, s1, s2
	s_mul_i32 s0, s6, s0
	s_lshl_b64 s[0:1], s[0:1], 2
	s_add_u32 s2, s16, s0
	s_addc_u32 s3, s17, s1
	s_add_u32 s0, s18, s0
	v_mul_f32_e32 v1, v20, v1
	s_addc_u32 s1, s19, s1
	global_store_dword v0, v1, s[2:3]
	global_store_dword v0, v19, s[0:1]
.LBB197_19:
	s_endpgm
.LBB197_20:
	v_mov_b32_e32 v19, 0
	v_mov_b32_e32 v20, 0
	v_cmp_gt_i32_e32 vcc, s7, v0
	s_and_saveexec_b64 s[0:1], vcc
	s_cbranch_execnz .LBB197_18
	s_branch .LBB197_19
	.section	.rodata,"a",@progbits
	.p2align	6, 0x0
	.amdhsa_kernel _ZN5aiter24topk_softplus_kernel_optI6__half12hip_bfloat16Li384ELb1ELi0EEEvPKT_PKT0_PfPimiif
		.amdhsa_group_segment_fixed_size 0
		.amdhsa_private_segment_fixed_size 0
		.amdhsa_kernarg_size 52
		.amdhsa_user_sgpr_count 6
		.amdhsa_user_sgpr_private_segment_buffer 1
		.amdhsa_user_sgpr_dispatch_ptr 0
		.amdhsa_user_sgpr_queue_ptr 0
		.amdhsa_user_sgpr_kernarg_segment_ptr 1
		.amdhsa_user_sgpr_dispatch_id 0
		.amdhsa_user_sgpr_flat_scratch_init 0
		.amdhsa_user_sgpr_kernarg_preload_length 0
		.amdhsa_user_sgpr_kernarg_preload_offset 0
		.amdhsa_user_sgpr_private_segment_size 0
		.amdhsa_uses_dynamic_stack 0
		.amdhsa_system_sgpr_private_segment_wavefront_offset 0
		.amdhsa_system_sgpr_workgroup_id_x 1
		.amdhsa_system_sgpr_workgroup_id_y 0
		.amdhsa_system_sgpr_workgroup_id_z 0
		.amdhsa_system_sgpr_workgroup_info 0
		.amdhsa_system_vgpr_workitem_id 0
		.amdhsa_next_free_vgpr 29
		.amdhsa_next_free_sgpr 22
		.amdhsa_accum_offset 32
		.amdhsa_reserve_vcc 1
		.amdhsa_reserve_flat_scratch 0
		.amdhsa_float_round_mode_32 0
		.amdhsa_float_round_mode_16_64 0
		.amdhsa_float_denorm_mode_32 3
		.amdhsa_float_denorm_mode_16_64 3
		.amdhsa_dx10_clamp 1
		.amdhsa_ieee_mode 1
		.amdhsa_fp16_overflow 0
		.amdhsa_tg_split 0
		.amdhsa_exception_fp_ieee_invalid_op 0
		.amdhsa_exception_fp_denorm_src 0
		.amdhsa_exception_fp_ieee_div_zero 0
		.amdhsa_exception_fp_ieee_overflow 0
		.amdhsa_exception_fp_ieee_underflow 0
		.amdhsa_exception_fp_ieee_inexact 0
		.amdhsa_exception_int_div_zero 0
	.end_amdhsa_kernel
	.section	.text._ZN5aiter24topk_softplus_kernel_optI6__half12hip_bfloat16Li384ELb1ELi0EEEvPKT_PKT0_PfPimiif,"axG",@progbits,_ZN5aiter24topk_softplus_kernel_optI6__half12hip_bfloat16Li384ELb1ELi0EEEvPKT_PKT0_PfPimiif,comdat
.Lfunc_end197:
	.size	_ZN5aiter24topk_softplus_kernel_optI6__half12hip_bfloat16Li384ELb1ELi0EEEvPKT_PKT0_PfPimiif, .Lfunc_end197-_ZN5aiter24topk_softplus_kernel_optI6__half12hip_bfloat16Li384ELb1ELi0EEEvPKT_PKT0_PfPimiif
                                        ; -- End function
	.section	.AMDGPU.csdata,"",@progbits
; Kernel info:
; codeLenInByte = 2704
; NumSgprs: 26
; NumVgprs: 29
; NumAgprs: 0
; TotalNumVgprs: 29
; ScratchSize: 0
; MemoryBound: 0
; FloatMode: 240
; IeeeMode: 1
; LDSByteSize: 0 bytes/workgroup (compile time only)
; SGPRBlocks: 3
; VGPRBlocks: 3
; NumSGPRsForWavesPerEU: 26
; NumVGPRsForWavesPerEU: 29
; AccumOffset: 32
; Occupancy: 8
; WaveLimiterHint : 0
; COMPUTE_PGM_RSRC2:SCRATCH_EN: 0
; COMPUTE_PGM_RSRC2:USER_SGPR: 6
; COMPUTE_PGM_RSRC2:TRAP_HANDLER: 0
; COMPUTE_PGM_RSRC2:TGID_X_EN: 1
; COMPUTE_PGM_RSRC2:TGID_Y_EN: 0
; COMPUTE_PGM_RSRC2:TGID_Z_EN: 0
; COMPUTE_PGM_RSRC2:TIDIG_COMP_CNT: 0
; COMPUTE_PGM_RSRC3_GFX90A:ACCUM_OFFSET: 7
; COMPUTE_PGM_RSRC3_GFX90A:TG_SPLIT: 0
	.section	.text._ZN5aiter24topk_softplus_kernel_optI6__half12hip_bfloat16Li384ELb0ELi0EEEvPKT_PKT0_PfPimiif,"axG",@progbits,_ZN5aiter24topk_softplus_kernel_optI6__half12hip_bfloat16Li384ELb0ELi0EEEvPKT_PKT0_PfPimiif,comdat
	.protected	_ZN5aiter24topk_softplus_kernel_optI6__half12hip_bfloat16Li384ELb0ELi0EEEvPKT_PKT0_PfPimiif ; -- Begin function _ZN5aiter24topk_softplus_kernel_optI6__half12hip_bfloat16Li384ELb0ELi0EEEvPKT_PKT0_PfPimiif
	.globl	_ZN5aiter24topk_softplus_kernel_optI6__half12hip_bfloat16Li384ELb0ELi0EEEvPKT_PKT0_PfPimiif
	.p2align	8
	.type	_ZN5aiter24topk_softplus_kernel_optI6__half12hip_bfloat16Li384ELb0ELi0EEEvPKT_PKT0_PfPimiif,@function
_ZN5aiter24topk_softplus_kernel_optI6__half12hip_bfloat16Li384ELb0ELi0EEEvPKT_PKT0_PfPimiif: ; @_ZN5aiter24topk_softplus_kernel_optI6__half12hip_bfloat16Li384ELb0ELi0EEEvPKT_PKT0_PfPimiif
; %bb.0:
	s_load_dwordx4 s[8:11], s[4:5], 0x0
	s_mul_i32 s0, s6, 0x180
	s_ashr_i32 s1, s0, 31
	s_lshl_b64 s[0:1], s[0:1], 1
	v_lshlrev_b32_e32 v1, 1, v0
	s_waitcnt lgkmcnt(0)
	s_add_u32 s0, s8, s0
	s_addc_u32 s1, s9, s1
	global_load_ushort v2, v1, s[0:1]
	s_mov_b32 s13, 0xc2fc0000
	v_mov_b32_e32 v7, 0x42800000
	s_mov_b32 s12, 0x3fb8aa3b
	v_mov_b32_e32 v8, 0x1f800000
	;; [unrolled: 2-line block ×3, first 2 shown]
	v_mov_b32_e32 v10, 0x42000000
	s_movk_i32 s7, 0x4d00
	s_mov_b32 s15, 0xf800000
	v_mov_b32_e32 v6, 0x260
	s_cmp_lg_u64 s[10:11], 0
	s_cselect_b64 s[8:9], -1, 0
	s_waitcnt vmcnt(0)
	v_cvt_f32_f16_e32 v3, v2
	v_mul_f32_e32 v4, 0x3fb8aa3b, v3
	v_cmp_gt_f32_e32 vcc, s13, v4
	v_cndmask_b32_e32 v4, 0, v7, vcc
	v_fma_mix_f32 v4, v2, s12, v4 op_sel_hi:[1,0,0]
	v_exp_f32_e32 v4, v4
	v_cndmask_b32_e32 v5, 1.0, v8, vcc
	v_fma_f32 v4, v4, v5, 1.0
	v_cmp_gt_f32_e32 vcc, s14, v4
	v_cndmask_b32_e32 v5, 1.0, v9, vcc
	v_mul_f32_e32 v4, v4, v5
	v_log_f32_e32 v4, v4
	v_cndmask_b32_e32 v11, 0, v10, vcc
	v_cmp_lt_f16_e32 vcc, s7, v2
	v_mov_b32_e32 v5, s1
	v_sub_f32_e32 v4, v4, v11
	v_mul_f32_e32 v4, 0x3f317218, v4
	v_cndmask_b32_e32 v2, v4, v3, vcc
	v_mul_f32_e32 v3, 0x4f800000, v2
	v_cmp_gt_f32_e32 vcc, s15, v2
	v_cndmask_b32_e32 v4, v2, v3, vcc
	v_sqrt_f32_e32 v11, v4
	v_add_co_u32_e64 v2, s[0:1], s0, v1
	v_addc_co_u32_e64 v3, s[0:1], 0, v5, s[0:1]
	v_add_u32_e32 v5, -1, v11
	v_add_u32_e32 v12, 1, v11
	v_fma_f32 v13, -v5, v11, v4
	v_fma_f32 v14, -v12, v11, v4
	v_cmp_ge_f32_e64 s[2:3], 0, v13
	v_cndmask_b32_e64 v5, v11, v5, s[2:3]
	v_cmp_lt_f32_e64 s[2:3], 0, v14
	v_cndmask_b32_e64 v5, v5, v12, s[2:3]
	v_mul_f32_e32 v11, 0x37800000, v5
	v_cndmask_b32_e32 v5, v5, v11, vcc
	v_cmp_class_f32_e32 vcc, v4, v6
	s_and_b64 s[0:1], exec, s[8:9]
	v_cndmask_b32_e32 v4, v5, v4, vcc
	v_mov_b32_e32 v5, v4
	s_mov_b64 vcc, s[0:1]
	s_cbranch_vccz .LBB198_2
; %bb.1:
	global_load_ushort v5, v1, s[10:11]
	s_waitcnt vmcnt(0)
	v_lshlrev_b32_e32 v5, 16, v5
	v_add_f32_e32 v5, v4, v5
.LBB198_2:
	global_load_ushort v11, v[2:3], off offset:128
	s_waitcnt vmcnt(0)
	v_cvt_f32_f16_e32 v12, v11
	v_mul_f32_e32 v13, 0x3fb8aa3b, v12
	v_cmp_gt_f32_e32 vcc, s13, v13
	v_cndmask_b32_e32 v7, 0, v7, vcc
	v_fma_mix_f32 v7, v11, s12, v7 op_sel_hi:[1,0,0]
	v_exp_f32_e32 v7, v7
	v_cndmask_b32_e32 v8, 1.0, v8, vcc
	v_fma_f32 v7, v7, v8, 1.0
	v_cmp_gt_f32_e32 vcc, s14, v7
	v_cndmask_b32_e32 v8, 1.0, v9, vcc
	v_mul_f32_e32 v7, v7, v8
	v_log_f32_e32 v7, v7
	v_cndmask_b32_e32 v8, 0, v10, vcc
	v_cmp_lt_f16_e32 vcc, s7, v11
	v_cndmask_b32_e64 v9, 0, 1, s[8:9]
	v_sub_f32_e32 v7, v7, v8
	v_mul_f32_e32 v7, 0x3f317218, v7
	v_cndmask_b32_e32 v7, v7, v12, vcc
	v_mul_f32_e32 v8, 0x4f800000, v7
	v_cmp_gt_f32_e32 vcc, s15, v7
	v_cndmask_b32_e32 v7, v7, v8, vcc
	v_sqrt_f32_e32 v8, v7
	v_cmp_ne_u32_e64 s[0:1], 1, v9
	v_add_u32_e32 v9, -1, v8
	v_add_u32_e32 v10, 1, v8
	v_fma_f32 v11, -v9, v8, v7
	v_fma_f32 v12, -v10, v8, v7
	v_cmp_ge_f32_e64 s[2:3], 0, v11
	v_cndmask_b32_e64 v8, v8, v9, s[2:3]
	v_cmp_lt_f32_e64 s[2:3], 0, v12
	v_cndmask_b32_e64 v8, v8, v10, s[2:3]
	v_mul_f32_e32 v9, 0x37800000, v8
	v_cndmask_b32_e32 v8, v8, v9, vcc
	v_cmp_class_f32_e32 vcc, v7, v6
	v_cndmask_b32_e32 v6, v8, v7, vcc
	s_andn2_b64 vcc, exec, s[8:9]
	v_mov_b32_e32 v7, v6
	s_cbranch_vccnz .LBB198_4
; %bb.3:
	global_load_ushort v7, v1, s[10:11] offset:128
	s_waitcnt vmcnt(0)
	v_lshlrev_b32_e32 v7, 16, v7
	v_add_f32_e32 v7, v6, v7
.LBB198_4:
	global_load_ushort v8, v[2:3], off offset:256
	s_mov_b32 s12, 0xc2fc0000
	v_mov_b32_e32 v12, 0x42800000
	s_mov_b32 s8, 0x3fb8aa3b
	v_mov_b32_e32 v10, 0x1f800000
	;; [unrolled: 2-line block ×3, first 2 shown]
	s_mov_b32 s9, 0xf800000
	s_waitcnt vmcnt(0)
	v_cvt_f32_f16_e32 v9, v8
	v_mul_f32_e32 v11, 0x3fb8aa3b, v9
	v_cmp_gt_f32_e32 vcc, s12, v11
	v_cndmask_b32_e32 v13, 0, v12, vcc
	v_fma_mix_f32 v13, v8, s8, v13 op_sel_hi:[1,0,0]
	v_exp_f32_e32 v13, v13
	v_cndmask_b32_e32 v11, 1.0, v10, vcc
	v_fma_f32 v11, v13, v11, 1.0
	v_cmp_gt_f32_e32 vcc, s13, v11
	v_cndmask_b32_e32 v13, 1.0, v14, vcc
	v_mul_f32_e32 v11, v11, v13
	v_log_f32_e32 v13, v11
	v_mov_b32_e32 v11, 0x42000000
	v_cndmask_b32_e32 v15, 0, v11, vcc
	v_cmp_lt_f16_e32 vcc, s7, v8
	v_sub_f32_e32 v13, v13, v15
	v_mul_f32_e32 v13, 0x3f317218, v13
	v_cndmask_b32_e32 v8, v13, v9, vcc
	v_mul_f32_e32 v9, 0x4f800000, v8
	v_cmp_gt_f32_e32 vcc, s9, v8
	v_cndmask_b32_e32 v8, v8, v9, vcc
	v_sqrt_f32_e32 v9, v8
	v_mov_b32_e32 v13, 0x260
	v_add_u32_e32 v15, -1, v9
	v_add_u32_e32 v16, 1, v9
	v_fma_f32 v17, -v15, v9, v8
	v_fma_f32 v18, -v16, v9, v8
	v_cmp_ge_f32_e64 s[2:3], 0, v17
	v_cndmask_b32_e64 v9, v9, v15, s[2:3]
	v_cmp_lt_f32_e64 s[2:3], 0, v18
	v_cndmask_b32_e64 v9, v9, v16, s[2:3]
	v_mul_f32_e32 v15, 0x37800000, v9
	v_cndmask_b32_e32 v9, v9, v15, vcc
	v_cmp_class_f32_e32 vcc, v8, v13
	v_cndmask_b32_e32 v8, v9, v8, vcc
	s_and_b64 vcc, exec, s[0:1]
	v_mov_b32_e32 v9, v8
	s_cbranch_vccnz .LBB198_6
; %bb.5:
	global_load_ushort v9, v1, s[10:11] offset:256
	s_waitcnt vmcnt(0)
	v_lshlrev_b32_e32 v9, 16, v9
	v_add_f32_e32 v9, v8, v9
.LBB198_6:
	global_load_ushort v15, v[2:3], off offset:384
	s_waitcnt vmcnt(0)
	v_cvt_f32_f16_e32 v16, v15
	v_mul_f32_e32 v17, 0x3fb8aa3b, v16
	v_cmp_gt_f32_e32 vcc, s12, v17
	v_cndmask_b32_e32 v12, 0, v12, vcc
	v_fma_mix_f32 v12, v15, s8, v12 op_sel_hi:[1,0,0]
	v_exp_f32_e32 v12, v12
	v_cndmask_b32_e32 v10, 1.0, v10, vcc
	v_fma_f32 v10, v12, v10, 1.0
	v_cmp_gt_f32_e32 vcc, s13, v10
	v_cndmask_b32_e32 v12, 1.0, v14, vcc
	v_mul_f32_e32 v10, v10, v12
	v_log_f32_e32 v10, v10
	v_cndmask_b32_e32 v11, 0, v11, vcc
	v_cmp_lt_f16_e32 vcc, s7, v15
	v_sub_f32_e32 v10, v10, v11
	v_mul_f32_e32 v10, 0x3f317218, v10
	v_cndmask_b32_e32 v10, v10, v16, vcc
	v_mul_f32_e32 v11, 0x4f800000, v10
	v_cmp_gt_f32_e32 vcc, s9, v10
	v_cndmask_b32_e32 v10, v10, v11, vcc
	v_sqrt_f32_e32 v11, v10
	v_add_u32_e32 v12, -1, v11
	v_add_u32_e32 v14, 1, v11
	v_fma_f32 v15, -v12, v11, v10
	v_fma_f32 v16, -v14, v11, v10
	v_cmp_ge_f32_e64 s[2:3], 0, v15
	v_cndmask_b32_e64 v11, v11, v12, s[2:3]
	v_cmp_lt_f32_e64 s[2:3], 0, v16
	v_cndmask_b32_e64 v11, v11, v14, s[2:3]
	v_mul_f32_e32 v12, 0x37800000, v11
	v_cndmask_b32_e32 v11, v11, v12, vcc
	v_cmp_class_f32_e32 vcc, v10, v13
	v_cndmask_b32_e32 v10, v11, v10, vcc
	s_and_b64 vcc, exec, s[0:1]
	v_mov_b32_e32 v11, v10
	s_cbranch_vccnz .LBB198_8
; %bb.7:
	global_load_ushort v11, v1, s[10:11] offset:384
	s_waitcnt vmcnt(0)
	v_lshlrev_b32_e32 v11, 16, v11
	v_add_f32_e32 v11, v10, v11
.LBB198_8:
	global_load_ushort v12, v[2:3], off offset:512
	v_mov_b32_e32 v16, 0x42800000
	v_mov_b32_e32 v14, 0x1f800000
	;; [unrolled: 1-line block ×3, first 2 shown]
	s_waitcnt vmcnt(0)
	v_cvt_f32_f16_e32 v13, v12
	v_mul_f32_e32 v15, 0x3fb8aa3b, v13
	v_cmp_gt_f32_e32 vcc, s12, v15
	v_cndmask_b32_e32 v17, 0, v16, vcc
	v_fma_mix_f32 v17, v12, s8, v17 op_sel_hi:[1,0,0]
	v_exp_f32_e32 v17, v17
	v_cndmask_b32_e32 v15, 1.0, v14, vcc
	v_fma_f32 v15, v17, v15, 1.0
	v_cmp_gt_f32_e32 vcc, s13, v15
	v_cndmask_b32_e32 v17, 1.0, v18, vcc
	v_mul_f32_e32 v15, v15, v17
	v_log_f32_e32 v17, v15
	v_mov_b32_e32 v15, 0x42000000
	v_cndmask_b32_e32 v19, 0, v15, vcc
	v_cmp_lt_f16_e32 vcc, s7, v12
	v_sub_f32_e32 v17, v17, v19
	v_mul_f32_e32 v17, 0x3f317218, v17
	v_cndmask_b32_e32 v12, v17, v13, vcc
	v_mul_f32_e32 v13, 0x4f800000, v12
	v_cmp_gt_f32_e32 vcc, s9, v12
	v_cndmask_b32_e32 v12, v12, v13, vcc
	v_sqrt_f32_e32 v13, v12
	v_mov_b32_e32 v17, 0x260
	v_add_u32_e32 v19, -1, v13
	v_add_u32_e32 v20, 1, v13
	v_fma_f32 v21, -v19, v13, v12
	v_fma_f32 v22, -v20, v13, v12
	v_cmp_ge_f32_e64 s[2:3], 0, v21
	v_cndmask_b32_e64 v13, v13, v19, s[2:3]
	v_cmp_lt_f32_e64 s[2:3], 0, v22
	v_cndmask_b32_e64 v13, v13, v20, s[2:3]
	v_mul_f32_e32 v19, 0x37800000, v13
	v_cndmask_b32_e32 v13, v13, v19, vcc
	v_cmp_class_f32_e32 vcc, v12, v17
	v_cndmask_b32_e32 v12, v13, v12, vcc
	s_and_b64 vcc, exec, s[0:1]
	v_mov_b32_e32 v13, v12
	s_cbranch_vccnz .LBB198_10
; %bb.9:
	global_load_ushort v13, v1, s[10:11] offset:512
	s_waitcnt vmcnt(0)
	v_lshlrev_b32_e32 v13, 16, v13
	v_add_f32_e32 v13, v12, v13
.LBB198_10:
	global_load_ushort v2, v[2:3], off offset:640
	s_waitcnt vmcnt(0)
	v_cvt_f32_f16_e32 v3, v2
	v_mul_f32_e32 v19, 0x3fb8aa3b, v3
	v_cmp_gt_f32_e32 vcc, s12, v19
	v_cndmask_b32_e32 v16, 0, v16, vcc
	v_fma_mix_f32 v16, v2, s8, v16 op_sel_hi:[1,0,0]
	v_exp_f32_e32 v16, v16
	v_cndmask_b32_e32 v14, 1.0, v14, vcc
	v_fma_f32 v14, v16, v14, 1.0
	v_cmp_gt_f32_e32 vcc, s13, v14
	v_cndmask_b32_e32 v16, 1.0, v18, vcc
	v_mul_f32_e32 v14, v14, v16
	v_log_f32_e32 v14, v14
	v_cndmask_b32_e32 v15, 0, v15, vcc
	v_cmp_lt_f16_e32 vcc, s7, v2
	v_sub_f32_e32 v14, v14, v15
	v_mul_f32_e32 v14, 0x3f317218, v14
	v_cndmask_b32_e32 v2, v14, v3, vcc
	v_mul_f32_e32 v3, 0x4f800000, v2
	v_cmp_gt_f32_e32 vcc, s9, v2
	v_cndmask_b32_e32 v2, v2, v3, vcc
	v_sqrt_f32_e32 v3, v2
	v_add_u32_e32 v14, -1, v3
	v_add_u32_e32 v15, 1, v3
	v_fma_f32 v16, -v14, v3, v2
	v_fma_f32 v18, -v15, v3, v2
	v_cmp_ge_f32_e64 s[2:3], 0, v16
	v_cndmask_b32_e64 v3, v3, v14, s[2:3]
	v_cmp_lt_f32_e64 s[2:3], 0, v18
	v_cndmask_b32_e64 v3, v3, v15, s[2:3]
	v_mul_f32_e32 v14, 0x37800000, v3
	v_cndmask_b32_e32 v3, v3, v14, vcc
	v_cmp_class_f32_e32 vcc, v2, v17
	v_cndmask_b32_e32 v2, v3, v2, vcc
	s_and_b64 vcc, exec, s[0:1]
	v_mov_b32_e32 v3, v2
	s_cbranch_vccnz .LBB198_12
; %bb.11:
	global_load_ushort v1, v1, s[10:11] offset:640
	s_waitcnt vmcnt(0)
	v_lshlrev_b32_e32 v1, 16, v1
	v_add_f32_e32 v3, v2, v1
.LBB198_12:
	v_add_u32_e32 v1, 64, v0
	v_cmp_lt_f32_e32 vcc, v5, v7
	v_add_u32_e32 v14, 0x80, v0
	v_add_u32_e32 v15, 0xc0, v0
	v_cndmask_b32_e32 v18, v6, v4, vcc
	v_cndmask_b32_e32 v4, v4, v6, vcc
	;; [unrolled: 1-line block ×6, first 2 shown]
	v_cmp_lt_f32_e32 vcc, v9, v11
	v_add_u32_e32 v16, 0x100, v0
	v_add_u32_e32 v17, 0x140, v0
	v_cndmask_b32_e32 v7, v10, v8, vcc
	v_cndmask_b32_e32 v8, v8, v10, vcc
	v_cndmask_b32_e32 v10, v15, v14, vcc
	v_cndmask_b32_e32 v14, v14, v15, vcc
	v_cndmask_b32_e32 v15, v11, v9, vcc
	v_cndmask_b32_e32 v9, v9, v11, vcc
	v_cmp_lt_f32_e32 vcc, v13, v3
	v_cndmask_b32_e32 v11, v2, v12, vcc
	v_cndmask_b32_e32 v2, v12, v2, vcc
	v_cndmask_b32_e32 v12, v17, v16, vcc
	v_cndmask_b32_e32 v16, v16, v17, vcc
	v_cndmask_b32_e32 v17, v3, v13, vcc
	v_cndmask_b32_e32 v3, v13, v3, vcc
	v_cmp_lt_f32_e32 vcc, v5, v9
	;; [unrolled: 7-line block ×7, first 2 shown]
	v_cndmask_b32_e32 v12, v21, v23, vcc
	v_cmp_lt_f32_e64 s[0:1], v26, v13
	v_cndmask_b32_e32 v5, v22, v9, vcc
	v_cndmask_b32_e32 v8, v9, v22, vcc
	;; [unrolled: 1-line block ×3, first 2 shown]
	v_cndmask_b32_e64 v18, v1, v24, s[0:1]
	v_cndmask_b32_e64 v14, v3, v25, s[0:1]
	;; [unrolled: 1-line block ×3, first 2 shown]
	v_cmp_lt_f32_e64 s[2:3], v16, v12
	v_cndmask_b32_e32 v10, v20, v11, vcc
	v_cndmask_b32_e32 v9, v23, v21, vcc
	v_cndmask_b32_e64 v1, v24, v1, s[0:1]
	v_cndmask_b32_e64 v3, v25, v3, s[0:1]
	;; [unrolled: 1-line block ×3, first 2 shown]
	s_and_saveexec_b64 s[0:1], s[2:3]
	s_xor_b64 s[0:1], exec, s[0:1]
; %bb.13:
	v_mov_b32_e32 v13, v19
	v_mov_b32_e32 v20, v15
	;; [unrolled: 1-line block ×3, first 2 shown]
	v_swap_b32 v16, v12
	v_swap_b32 v19, v8
	;; [unrolled: 1-line block ×3, first 2 shown]
; %bb.14:
	s_or_b64 exec, exec, s[0:1]
	s_load_dword s7, s[4:5], 0x28
	s_load_dwordx4 s[16:19], s[4:5], 0x10
	s_waitcnt lgkmcnt(0)
	s_cmp_lt_i32 s7, 1
	s_cbranch_scc1 .LBB198_20
; %bb.15:
	v_cmp_lt_f32_e32 vcc, v17, v16
	v_cndmask_b32_e32 v13, v15, v14, vcc
	v_cndmask_b32_e32 v14, v14, v15, vcc
	;; [unrolled: 1-line block ×6, first 2 shown]
	v_mbcnt_lo_u32_b32 v19, -1, 0
	v_mbcnt_hi_u32_b32 v19, -1, v19
	v_bfrev_b32_e32 v23, 0.5
	v_mov_b32_e32 v21, 0
	v_mov_b32_e32 v20, 0
	;; [unrolled: 1-line block ×3, first 2 shown]
	v_lshl_or_b32 v23, v19, 2, v23
	v_mov_b32_e32 v24, v0
	s_mov_b32 s20, s7
	v_mov_b32_e32 v19, 0
.LBB198_16:                             ; =>This Inner Loop Header: Depth=1
	v_cmp_eq_u32_e32 vcc, 1, v21
	v_cndmask_b32_e32 v25, v6, v11, vcc
	v_cmp_eq_u32_e64 s[0:1], 2, v21
	v_cndmask_b32_e64 v25, v25, v16, s[0:1]
	v_cmp_eq_u32_e64 s[2:3], 3, v21
	v_cndmask_b32_e64 v25, v25, v15, s[2:3]
	;; [unrolled: 2-line block ×4, first 2 shown]
	v_cmp_gt_u32_e64 s[12:13], 6, v21
	v_cndmask_b32_e64 v25, v22, v25, s[12:13]
	;;#ASMSTART
	v_max_f32 v26, v25, v25 quad_perm:[1,0,3,2] row_mask:0xf bank_mask:0xf bound_ctrl:1
	;;#ASMEND
	;;#ASMSTART
	v_max_f32 v27, v26, v26 quad_perm:[2,3,0,1] row_mask:0xf bank_mask:0xf bound_ctrl:1
	;;#ASMEND
	;;#ASMSTART
	v_max_f32 v26, v27, v27 row_half_mirror row_mask:0xf bank_mask:0xf bound_ctrl:1
	;;#ASMEND
	;;#ASMSTART
	v_max_f32 v27, v26, v26 row_mirror row_mask:0xf bank_mask:0xf bound_ctrl:1
	;;#ASMEND
	;;#ASMSTART
	v_max_f32 v26, v27, v27 row_ror:4 row_mask:0xf bank_mask:0xf bound_ctrl:1
	;;#ASMEND
	;;#ASMSTART
	v_max_f32 v27, v26, v26 row_ror:8 row_mask:0xf bank_mask:0xf bound_ctrl:1
	;;#ASMEND
	;;#ASMSTART
	v_max_f32 v26, v27, v27 row_bcast:15 row_mask:0xf bank_mask:0xf bound_ctrl:1
	;;#ASMEND
	;;#ASMSTART
	v_max_f32 v27, v26, v26 row_bcast:31 row_mask:0xf bank_mask:0xf bound_ctrl:1
	;;#ASMEND
	ds_bpermute_b32 v26, v23, v27
	s_waitcnt lgkmcnt(0)
	v_cmp_eq_f32_e64 s[14:15], v25, v26
	v_cndmask_b32_e32 v25, v4, v3, vcc
	v_cndmask_b32_e64 v25, v25, v14, s[0:1]
	v_cndmask_b32_e64 v25, v25, v13, s[2:3]
	;; [unrolled: 1-line block ×4, first 2 shown]
	s_ff1_i32_b64 s21, s[14:15]
	s_cmp_lg_u64 s[14:15], 0
	s_cselect_b32 s14, s21, 0
	v_cndmask_b32_e64 v26, 0, v25, s[12:13]
	v_readlane_b32 s21, v26, s14
	v_cmp_eq_u32_e64 s[14:15], s21, v25
	v_cndmask_b32_e32 v25, v2, v1, vcc
	v_cndmask_b32_e64 v25, v25, v18, s[0:1]
	v_cndmask_b32_e64 v25, v25, v17, s[2:3]
	;; [unrolled: 1-line block ×4, first 2 shown]
	s_and_b64 vcc, s[12:13], s[14:15]
	s_and_b32 s0, s21, 63
	v_cndmask_b32_e32 v25, 0, v25, vcc
	v_readlane_b32 s0, v25, s0
	v_mov_b32_e32 v25, s0
	v_cmp_eq_u32_e64 s[0:1], 0, v24
	v_cndmask_b32_e64 v20, v20, v25, s[0:1]
	v_mov_b32_e32 v25, s21
	s_add_i32 s20, s20, -1
	v_cndmask_b32_e64 v19, v19, v25, s[0:1]
	v_addc_co_u32_e32 v21, vcc, 0, v21, vcc
	s_cmp_eq_u32 s20, 0
	v_add_u32_e32 v24, -1, v24
	s_cbranch_scc0 .LBB198_16
; %bb.17:
	v_cmp_gt_i32_e32 vcc, s7, v0
	s_and_saveexec_b64 s[0:1], vcc
	s_cbranch_execz .LBB198_19
.LBB198_18:
	s_load_dword s2, s[4:5], 0x30
	s_load_dwordx2 s[0:1], s[4:5], 0x20
	s_ashr_i32 s3, s6, 31
	v_lshlrev_b32_e32 v0, 2, v0
	s_waitcnt lgkmcnt(0)
	v_mul_f32_e32 v1, s2, v20
	s_mul_i32 s1, s6, s1
	s_mul_hi_u32 s2, s6, s0
	s_add_i32 s1, s2, s1
	s_mul_i32 s3, s3, s0
	s_add_i32 s1, s1, s3
	s_mul_i32 s0, s6, s0
	s_lshl_b64 s[0:1], s[0:1], 2
	s_add_u32 s2, s16, s0
	s_addc_u32 s3, s17, s1
	s_add_u32 s0, s18, s0
	s_addc_u32 s1, s19, s1
	global_store_dword v0, v1, s[2:3]
	global_store_dword v0, v19, s[0:1]
.LBB198_19:
	s_endpgm
.LBB198_20:
	v_mov_b32_e32 v19, 0
	v_mov_b32_e32 v20, 0
	v_cmp_gt_i32_e32 vcc, s7, v0
	s_and_saveexec_b64 s[0:1], vcc
	s_cbranch_execnz .LBB198_18
	s_branch .LBB198_19
	.section	.rodata,"a",@progbits
	.p2align	6, 0x0
	.amdhsa_kernel _ZN5aiter24topk_softplus_kernel_optI6__half12hip_bfloat16Li384ELb0ELi0EEEvPKT_PKT0_PfPimiif
		.amdhsa_group_segment_fixed_size 0
		.amdhsa_private_segment_fixed_size 0
		.amdhsa_kernarg_size 52
		.amdhsa_user_sgpr_count 6
		.amdhsa_user_sgpr_private_segment_buffer 1
		.amdhsa_user_sgpr_dispatch_ptr 0
		.amdhsa_user_sgpr_queue_ptr 0
		.amdhsa_user_sgpr_kernarg_segment_ptr 1
		.amdhsa_user_sgpr_dispatch_id 0
		.amdhsa_user_sgpr_flat_scratch_init 0
		.amdhsa_user_sgpr_kernarg_preload_length 0
		.amdhsa_user_sgpr_kernarg_preload_offset 0
		.amdhsa_user_sgpr_private_segment_size 0
		.amdhsa_uses_dynamic_stack 0
		.amdhsa_system_sgpr_private_segment_wavefront_offset 0
		.amdhsa_system_sgpr_workgroup_id_x 1
		.amdhsa_system_sgpr_workgroup_id_y 0
		.amdhsa_system_sgpr_workgroup_id_z 0
		.amdhsa_system_sgpr_workgroup_info 0
		.amdhsa_system_vgpr_workitem_id 0
		.amdhsa_next_free_vgpr 28
		.amdhsa_next_free_sgpr 22
		.amdhsa_accum_offset 28
		.amdhsa_reserve_vcc 1
		.amdhsa_reserve_flat_scratch 0
		.amdhsa_float_round_mode_32 0
		.amdhsa_float_round_mode_16_64 0
		.amdhsa_float_denorm_mode_32 3
		.amdhsa_float_denorm_mode_16_64 3
		.amdhsa_dx10_clamp 1
		.amdhsa_ieee_mode 1
		.amdhsa_fp16_overflow 0
		.amdhsa_tg_split 0
		.amdhsa_exception_fp_ieee_invalid_op 0
		.amdhsa_exception_fp_denorm_src 0
		.amdhsa_exception_fp_ieee_div_zero 0
		.amdhsa_exception_fp_ieee_overflow 0
		.amdhsa_exception_fp_ieee_underflow 0
		.amdhsa_exception_fp_ieee_inexact 0
		.amdhsa_exception_int_div_zero 0
	.end_amdhsa_kernel
	.section	.text._ZN5aiter24topk_softplus_kernel_optI6__half12hip_bfloat16Li384ELb0ELi0EEEvPKT_PKT0_PfPimiif,"axG",@progbits,_ZN5aiter24topk_softplus_kernel_optI6__half12hip_bfloat16Li384ELb0ELi0EEEvPKT_PKT0_PfPimiif,comdat
.Lfunc_end198:
	.size	_ZN5aiter24topk_softplus_kernel_optI6__half12hip_bfloat16Li384ELb0ELi0EEEvPKT_PKT0_PfPimiif, .Lfunc_end198-_ZN5aiter24topk_softplus_kernel_optI6__half12hip_bfloat16Li384ELb0ELi0EEEvPKT_PKT0_PfPimiif
                                        ; -- End function
	.section	.AMDGPU.csdata,"",@progbits
; Kernel info:
; codeLenInByte = 2604
; NumSgprs: 26
; NumVgprs: 28
; NumAgprs: 0
; TotalNumVgprs: 28
; ScratchSize: 0
; MemoryBound: 0
; FloatMode: 240
; IeeeMode: 1
; LDSByteSize: 0 bytes/workgroup (compile time only)
; SGPRBlocks: 3
; VGPRBlocks: 3
; NumSGPRsForWavesPerEU: 26
; NumVGPRsForWavesPerEU: 28
; AccumOffset: 28
; Occupancy: 8
; WaveLimiterHint : 0
; COMPUTE_PGM_RSRC2:SCRATCH_EN: 0
; COMPUTE_PGM_RSRC2:USER_SGPR: 6
; COMPUTE_PGM_RSRC2:TRAP_HANDLER: 0
; COMPUTE_PGM_RSRC2:TGID_X_EN: 1
; COMPUTE_PGM_RSRC2:TGID_Y_EN: 0
; COMPUTE_PGM_RSRC2:TGID_Z_EN: 0
; COMPUTE_PGM_RSRC2:TIDIG_COMP_CNT: 0
; COMPUTE_PGM_RSRC3_GFX90A:ACCUM_OFFSET: 6
; COMPUTE_PGM_RSRC3_GFX90A:TG_SPLIT: 0
	.section	.text._ZN5aiter20topk_softplus_kernelI6__half12hip_bfloat16Dv4_fLb1ELi0EEEvPKT_PKT0_PfPimiiif,"axG",@progbits,_ZN5aiter20topk_softplus_kernelI6__half12hip_bfloat16Dv4_fLb1ELi0EEEvPKT_PKT0_PfPimiiif,comdat
	.protected	_ZN5aiter20topk_softplus_kernelI6__half12hip_bfloat16Dv4_fLb1ELi0EEEvPKT_PKT0_PfPimiiif ; -- Begin function _ZN5aiter20topk_softplus_kernelI6__half12hip_bfloat16Dv4_fLb1ELi0EEEvPKT_PKT0_PfPimiiif
	.globl	_ZN5aiter20topk_softplus_kernelI6__half12hip_bfloat16Dv4_fLb1ELi0EEEvPKT_PKT0_PfPimiiif
	.p2align	8
	.type	_ZN5aiter20topk_softplus_kernelI6__half12hip_bfloat16Dv4_fLb1ELi0EEEvPKT_PKT0_PfPimiiif,@function
_ZN5aiter20topk_softplus_kernelI6__half12hip_bfloat16Dv4_fLb1ELi0EEEvPKT_PKT0_PfPimiiif: ; @_ZN5aiter20topk_softplus_kernelI6__half12hip_bfloat16Dv4_fLb1ELi0EEEvPKT_PKT0_PfPimiiif
; %bb.0:
	s_load_dwordx2 s[20:21], s[4:5], 0x28
	s_load_dwordx8 s[12:19], s[4:5], 0x0
	v_lshlrev_b32_e32 v1, 2, v0
	v_lshl_add_u32 v12, v0, 4, 0
	s_waitcnt lgkmcnt(0)
	s_ashr_i32 s0, s20, 31
	s_lshr_b32 s0, s0, 30
	s_add_i32 s0, s20, s0
	s_mul_i32 s22, s6, s20
	s_ashr_i32 s7, s0, 2
	s_ashr_i32 s23, s22, 31
	v_cmp_gt_i32_e64 s[0:1], s7, v0
	s_and_saveexec_b64 s[24:25], s[0:1]
	s_cbranch_execz .LBB199_11
; %bb.1:
	s_load_dword s8, s[4:5], 0x44
	s_cmp_lg_u64 s[14:15], 0
	s_cselect_b64 s[2:3], -1, 0
	v_lshlrev_b32_e32 v2, 3, v0
	s_mov_b64 s[26:27], 0
	s_waitcnt lgkmcnt(0)
	s_and_b32 s28, s8, 0xffff
	s_add_u32 s29, s14, 2
	s_addc_u32 s30, s15, 0
	s_add_u32 s31, s14, 4
	s_addc_u32 s33, s15, 0
	s_add_u32 s34, s14, 6
	s_addc_u32 s35, s15, 0
	s_lshl_b64 s[8:9], s[22:23], 1
	s_add_u32 s8, s12, s8
	s_addc_u32 s9, s13, s9
	v_mov_b32_e32 v3, s9
	v_add_co_u32_e32 v6, vcc, s8, v2
	v_cndmask_b32_e64 v2, 0, 1, s[2:3]
	s_mov_b32 s36, 0
	v_addc_co_u32_e32 v7, vcc, 0, v3, vcc
	s_lshl_b32 s37, s28, 3
	v_lshlrev_b32_e32 v8, 2, v0
	s_lshl_b32 s38, s28, 2
	v_lshl_add_u32 v13, v0, 4, 0
	s_lshl_b32 s39, s28, 4
	v_mov_b32_e32 v9, 0
	s_movk_i32 s40, 0x4d00
	s_mov_b32 s41, 0x3fb8aa3b
	s_mov_b32 s42, 0xc2fc0000
	v_mov_b32_e32 v14, 0x1f800000
	v_mov_b32_e32 v15, 0x42800000
	s_mov_b32 s43, 0x800000
	v_mov_b32_e32 v16, 0x4f800000
	v_mov_b32_e32 v17, 0x42000000
	s_mov_b32 s44, 0xf800000
	v_mov_b32_e32 v18, 0x260
	v_cmp_ne_u32_e64 s[2:3], 1, v2
	v_mov_b32_e32 v19, v0
	s_branch .LBB199_3
.LBB199_2:                              ;   in Loop: Header=BB199_3 Depth=1
	ds_write_b128 v13, v[2:5]
	v_mov_b32_e32 v2, s36
	v_add_co_u32_e32 v6, vcc, s37, v6
	v_add_u32_e32 v19, s28, v19
	v_addc_co_u32_e32 v7, vcc, v7, v2, vcc
	v_cmp_le_i32_e32 vcc, s7, v19
	v_add_u32_e32 v8, s38, v8
	s_or_b64 s[26:27], vcc, s[26:27]
	v_add_u32_e32 v13, s39, v13
	s_andn2_b64 exec, exec, s[26:27]
	s_cbranch_execz .LBB199_11
.LBB199_3:                              ; =>This Inner Loop Header: Depth=1
	global_load_dwordx2 v[4:5], v[6:7], off
	s_waitcnt vmcnt(0)
	v_cvt_f32_f16_e32 v2, v4
	v_mul_f32_e32 v3, 0x3fb8aa3b, v2
	v_cmp_gt_f32_e32 vcc, s42, v3
	v_cndmask_b32_e32 v10, 0, v15, vcc
	v_fma_mix_f32 v10, v4, s41, v10 op_sel_hi:[1,0,0]
	v_exp_f32_e32 v10, v10
	v_cndmask_b32_e32 v3, 1.0, v14, vcc
	v_fma_f32 v3, v10, v3, 1.0
	v_cmp_gt_f32_e32 vcc, s43, v3
	v_cndmask_b32_e32 v10, 1.0, v16, vcc
	v_mul_f32_e32 v3, v3, v10
	v_log_f32_e32 v3, v3
	v_cndmask_b32_e32 v10, 0, v17, vcc
	v_cmp_lt_f16_e32 vcc, s40, v4
	v_sub_f32_e32 v3, v3, v10
	v_mul_f32_e32 v3, 0x3f317218, v3
	v_cndmask_b32_e32 v2, v3, v2, vcc
	v_mul_f32_e32 v3, 0x4f800000, v2
	v_cmp_gt_f32_e64 s[8:9], s44, v2
	v_cndmask_b32_e64 v2, v2, v3, s[8:9]
	v_sqrt_f32_e32 v3, v2
	s_and_b64 vcc, exec, s[2:3]
	v_add_u32_e32 v10, -1, v3
	v_add_u32_e32 v11, 1, v3
	v_fma_f32 v20, -v10, v3, v2
	v_fma_f32 v21, -v11, v3, v2
	v_cmp_ge_f32_e64 s[10:11], 0, v20
	v_cndmask_b32_e64 v3, v3, v10, s[10:11]
	v_cmp_lt_f32_e64 s[10:11], 0, v21
	v_cndmask_b32_e64 v3, v3, v11, s[10:11]
	v_mul_f32_e32 v10, 0x37800000, v3
	v_cndmask_b32_e64 v3, v3, v10, s[8:9]
	v_cmp_class_f32_e64 s[8:9], v2, v18
	v_cndmask_b32_e64 v2, v3, v2, s[8:9]
	v_lshlrev_b64 v[10:11], 1, v[8:9]
	s_cbranch_vccnz .LBB199_5
; %bb.4:                                ;   in Loop: Header=BB199_3 Depth=1
	v_mov_b32_e32 v3, s15
	v_add_co_u32_e32 v20, vcc, s14, v10
	v_addc_co_u32_e32 v21, vcc, v3, v11, vcc
	global_load_ushort v3, v[20:21], off
	s_waitcnt vmcnt(0)
	v_lshlrev_b32_e32 v3, 16, v3
	v_add_f32_e32 v2, v2, v3
.LBB199_5:                              ;   in Loop: Header=BB199_3 Depth=1
	v_cvt_f32_f16_sdwa v3, v4 dst_sel:DWORD dst_unused:UNUSED_PAD src0_sel:WORD_1
	v_mul_f32_e32 v20, 0x3fb8aa3b, v3
	v_cmp_gt_f32_e32 vcc, s42, v20
	v_cndmask_b32_e32 v21, 0, v15, vcc
	v_fma_mix_f32 v21, v4, s41, v21 op_sel:[1,0,0] op_sel_hi:[1,0,0]
	v_exp_f32_e32 v21, v21
	v_cndmask_b32_e32 v20, 1.0, v14, vcc
	v_fma_f32 v20, v21, v20, 1.0
	v_cmp_gt_f32_e32 vcc, s43, v20
	v_cndmask_b32_e32 v21, 1.0, v16, vcc
	v_mul_f32_e32 v20, v20, v21
	v_log_f32_e32 v20, v20
	v_cndmask_b32_e32 v21, 0, v17, vcc
	v_cmp_gt_f16_sdwa vcc, v4, s40 src0_sel:WORD_1 src1_sel:DWORD
	v_sub_f32_e32 v20, v20, v21
	v_mul_f32_e32 v20, 0x3f317218, v20
	v_cndmask_b32_e32 v3, v20, v3, vcc
	v_mul_f32_e32 v4, 0x4f800000, v3
	v_cmp_gt_f32_e64 s[8:9], s44, v3
	v_cndmask_b32_e64 v3, v3, v4, s[8:9]
	v_sqrt_f32_e32 v4, v3
	s_and_b64 vcc, exec, s[2:3]
	v_add_u32_e32 v20, -1, v4
	v_add_u32_e32 v21, 1, v4
	v_fma_f32 v22, -v20, v4, v3
	v_fma_f32 v23, -v21, v4, v3
	v_cmp_ge_f32_e64 s[10:11], 0, v22
	v_cndmask_b32_e64 v4, v4, v20, s[10:11]
	v_cmp_lt_f32_e64 s[10:11], 0, v23
	v_cndmask_b32_e64 v4, v4, v21, s[10:11]
	v_mul_f32_e32 v20, 0x37800000, v4
	v_cndmask_b32_e64 v4, v4, v20, s[8:9]
	v_cmp_class_f32_e64 s[8:9], v3, v18
	v_cndmask_b32_e64 v3, v4, v3, s[8:9]
	s_cbranch_vccnz .LBB199_7
; %bb.6:                                ;   in Loop: Header=BB199_3 Depth=1
	v_mov_b32_e32 v4, s30
	v_add_co_u32_e32 v20, vcc, s29, v10
	v_addc_co_u32_e32 v21, vcc, v4, v11, vcc
	global_load_ushort v4, v[20:21], off
	s_waitcnt vmcnt(0)
	v_lshlrev_b32_e32 v4, 16, v4
	v_add_f32_e32 v3, v3, v4
.LBB199_7:                              ;   in Loop: Header=BB199_3 Depth=1
	v_cvt_f32_f16_e32 v4, v5
	v_mul_f32_e32 v20, 0x3fb8aa3b, v4
	v_cmp_gt_f32_e32 vcc, s42, v20
	v_cndmask_b32_e32 v21, 0, v15, vcc
	v_fma_mix_f32 v21, v5, s41, v21 op_sel_hi:[1,0,0]
	v_exp_f32_e32 v21, v21
	v_cndmask_b32_e32 v20, 1.0, v14, vcc
	v_fma_f32 v20, v21, v20, 1.0
	v_cmp_gt_f32_e32 vcc, s43, v20
	v_cndmask_b32_e32 v21, 1.0, v16, vcc
	v_mul_f32_e32 v20, v20, v21
	v_log_f32_e32 v20, v20
	v_cndmask_b32_e32 v21, 0, v17, vcc
	v_cmp_lt_f16_e32 vcc, s40, v5
	v_sub_f32_e32 v20, v20, v21
	v_mul_f32_e32 v20, 0x3f317218, v20
	v_cndmask_b32_e32 v4, v20, v4, vcc
	v_mul_f32_e32 v20, 0x4f800000, v4
	v_cmp_gt_f32_e64 s[8:9], s44, v4
	v_cndmask_b32_e64 v4, v4, v20, s[8:9]
	v_sqrt_f32_e32 v20, v4
	s_and_b64 vcc, exec, s[2:3]
	v_add_u32_e32 v21, -1, v20
	v_add_u32_e32 v22, 1, v20
	v_fma_f32 v23, -v21, v20, v4
	v_fma_f32 v24, -v22, v20, v4
	v_cmp_ge_f32_e64 s[10:11], 0, v23
	v_cndmask_b32_e64 v20, v20, v21, s[10:11]
	v_cmp_lt_f32_e64 s[10:11], 0, v24
	v_cndmask_b32_e64 v20, v20, v22, s[10:11]
	v_mul_f32_e32 v21, 0x37800000, v20
	v_cndmask_b32_e64 v20, v20, v21, s[8:9]
	v_cmp_class_f32_e64 s[8:9], v4, v18
	v_cndmask_b32_e64 v4, v20, v4, s[8:9]
	s_cbranch_vccnz .LBB199_9
; %bb.8:                                ;   in Loop: Header=BB199_3 Depth=1
	v_mov_b32_e32 v21, s33
	v_add_co_u32_e32 v20, vcc, s31, v10
	v_addc_co_u32_e32 v21, vcc, v21, v11, vcc
	global_load_ushort v20, v[20:21], off
	s_waitcnt vmcnt(0)
	v_lshlrev_b32_e32 v20, 16, v20
	v_add_f32_e32 v4, v4, v20
.LBB199_9:                              ;   in Loop: Header=BB199_3 Depth=1
	v_cvt_f32_f16_sdwa v20, v5 dst_sel:DWORD dst_unused:UNUSED_PAD src0_sel:WORD_1
	v_mul_f32_e32 v21, 0x3fb8aa3b, v20
	v_cmp_gt_f32_e32 vcc, s42, v21
	v_cndmask_b32_e32 v22, 0, v15, vcc
	v_fma_mix_f32 v22, v5, s41, v22 op_sel:[1,0,0] op_sel_hi:[1,0,0]
	v_exp_f32_e32 v22, v22
	v_cndmask_b32_e32 v21, 1.0, v14, vcc
	v_fma_f32 v21, v22, v21, 1.0
	v_cmp_gt_f32_e32 vcc, s43, v21
	v_cndmask_b32_e32 v22, 1.0, v16, vcc
	v_mul_f32_e32 v21, v21, v22
	v_log_f32_e32 v21, v21
	v_cndmask_b32_e32 v22, 0, v17, vcc
	v_cmp_gt_f16_sdwa vcc, v5, s40 src0_sel:WORD_1 src1_sel:DWORD
	v_sub_f32_e32 v21, v21, v22
	v_mul_f32_e32 v21, 0x3f317218, v21
	v_cndmask_b32_e32 v5, v21, v20, vcc
	v_mul_f32_e32 v20, 0x4f800000, v5
	v_cmp_gt_f32_e64 s[8:9], s44, v5
	v_cndmask_b32_e64 v5, v5, v20, s[8:9]
	v_sqrt_f32_e32 v20, v5
	s_and_b64 vcc, exec, s[2:3]
	v_add_u32_e32 v21, -1, v20
	v_add_u32_e32 v22, 1, v20
	v_fma_f32 v23, -v21, v20, v5
	v_fma_f32 v24, -v22, v20, v5
	v_cmp_ge_f32_e64 s[10:11], 0, v23
	v_cndmask_b32_e64 v20, v20, v21, s[10:11]
	v_cmp_lt_f32_e64 s[10:11], 0, v24
	v_cndmask_b32_e64 v20, v20, v22, s[10:11]
	v_mul_f32_e32 v21, 0x37800000, v20
	v_cndmask_b32_e64 v20, v20, v21, s[8:9]
	v_cmp_class_f32_e64 s[8:9], v5, v18
	v_cndmask_b32_e64 v5, v20, v5, s[8:9]
	s_cbranch_vccnz .LBB199_2
; %bb.10:                               ;   in Loop: Header=BB199_3 Depth=1
	v_mov_b32_e32 v20, s35
	v_add_co_u32_e32 v10, vcc, s34, v10
	v_addc_co_u32_e32 v11, vcc, v20, v11, vcc
	global_load_ushort v10, v[10:11], off
	s_waitcnt vmcnt(0)
	v_lshlrev_b32_e32 v10, 16, v10
	v_add_f32_e32 v5, v5, v10
	s_branch .LBB199_2
.LBB199_11:
	s_or_b64 exec, exec, s[24:25]
	v_lshl_add_u32 v2, s7, 2, v0
	v_cmp_gt_i32_e32 vcc, s20, v2
	s_and_saveexec_b64 s[10:11], vcc
	s_cbranch_execz .LBB199_16
; %bb.12:
	s_load_dword s8, s[4:5], 0x44
	s_lshl_b64 s[2:3], s[22:23], 1
	s_add_u32 s22, s12, s2
	s_addc_u32 s9, s13, s3
	s_cmp_lg_u64 s[14:15], 0
	s_cselect_b64 s[2:3], -1, 0
	s_waitcnt lgkmcnt(0)
	s_and_b32 s23, s8, 0xffff
	s_lshl_b32 s8, s7, 4
	s_add_i32 s8, s8, 0
	v_cndmask_b32_e64 v3, 0, 1, s[2:3]
	s_mov_b64 s[12:13], 0
	v_lshl_add_u32 v6, v0, 2, s8
	s_lshl_b32 s24, s23, 2
	v_mov_b32_e32 v7, s9
	s_movk_i32 s25, 0x4d00
	s_mov_b32 s26, 0x3fb8aa3b
	s_mov_b32 s27, 0xc2fc0000
	v_mov_b32_e32 v8, 0x42800000
	v_mov_b32_e32 v9, 0x1f800000
	s_mov_b32 s28, 0x800000
	v_mov_b32_e32 v10, 0x4f800000
	v_mov_b32_e32 v11, 0x42000000
	s_mov_b32 s29, 0xf800000
	v_mov_b32_e32 v13, 0x260
	v_cmp_ne_u32_e64 s[2:3], 1, v3
	s_branch .LBB199_14
.LBB199_13:                             ;   in Loop: Header=BB199_14 Depth=1
	v_add_u32_e32 v2, s23, v2
	v_cmp_le_i32_e32 vcc, s20, v2
	s_or_b64 s[12:13], vcc, s[12:13]
	v_add_u32_e32 v6, s24, v6
	s_andn2_b64 exec, exec, s[12:13]
	s_cbranch_execz .LBB199_16
.LBB199_14:                             ; =>This Inner Loop Header: Depth=1
	v_ashrrev_i32_e32 v3, 31, v2
	v_lshlrev_b64 v[4:5], 1, v[2:3]
	v_add_co_u32_e32 v14, vcc, s22, v4
	v_addc_co_u32_e32 v15, vcc, v7, v5, vcc
	global_load_ushort v3, v[14:15], off
	s_waitcnt vmcnt(0)
	v_cvt_f32_f16_e32 v14, v3
	v_mul_f32_e32 v15, 0x3fb8aa3b, v14
	v_cmp_gt_f32_e32 vcc, s27, v15
	v_cndmask_b32_e32 v15, 0, v8, vcc
	v_fma_mix_f32 v15, v3, s26, v15 op_sel_hi:[1,0,0]
	v_exp_f32_e32 v15, v15
	v_cndmask_b32_e32 v16, 1.0, v9, vcc
	v_fma_f32 v15, v15, v16, 1.0
	v_cmp_gt_f32_e32 vcc, s28, v15
	v_cndmask_b32_e32 v16, 1.0, v10, vcc
	v_mul_f32_e32 v15, v15, v16
	v_log_f32_e32 v15, v15
	v_cndmask_b32_e32 v16, 0, v11, vcc
	v_cmp_lt_f16_e32 vcc, s25, v3
	v_sub_f32_e32 v15, v15, v16
	v_mul_f32_e32 v15, 0x3f317218, v15
	v_cndmask_b32_e32 v3, v15, v14, vcc
	v_mul_f32_e32 v14, 0x4f800000, v3
	v_cmp_gt_f32_e32 vcc, s29, v3
	v_cndmask_b32_e32 v3, v3, v14, vcc
	v_sqrt_f32_e32 v14, v3
	v_add_u32_e32 v15, -1, v14
	v_add_u32_e32 v16, 1, v14
	v_fma_f32 v17, -v15, v14, v3
	v_fma_f32 v18, -v16, v14, v3
	v_cmp_ge_f32_e64 s[8:9], 0, v17
	v_cndmask_b32_e64 v14, v14, v15, s[8:9]
	v_cmp_lt_f32_e64 s[8:9], 0, v18
	v_cndmask_b32_e64 v14, v14, v16, s[8:9]
	v_mul_f32_e32 v15, 0x37800000, v14
	v_cndmask_b32_e32 v14, v14, v15, vcc
	v_cmp_class_f32_e32 vcc, v3, v13
	v_cndmask_b32_e32 v3, v14, v3, vcc
	s_and_b64 vcc, exec, s[2:3]
	ds_write_b32 v6, v3
	s_cbranch_vccnz .LBB199_13
; %bb.15:                               ;   in Loop: Header=BB199_14 Depth=1
	v_mov_b32_e32 v14, s15
	v_add_co_u32_e32 v4, vcc, s14, v4
	v_addc_co_u32_e32 v5, vcc, v14, v5, vcc
	global_load_ushort v4, v[4:5], off
	s_waitcnt vmcnt(0)
	v_lshlrev_b32_e32 v4, 16, v4
	v_add_f32_e32 v3, v3, v4
	ds_write_b32 v6, v3
	s_branch .LBB199_13
.LBB199_16:
	s_or_b64 exec, exec, s[10:11]
	s_cmp_lt_i32 s21, 1
	v_mov_b32_e32 v3, 0
	s_waitcnt lgkmcnt(0)
	s_barrier
	s_cbranch_scc1 .LBB199_25
; %bb.17:
	s_add_u32 s2, s4, 56
	s_addc_u32 s3, s5, 0
	v_mbcnt_lo_u32_b32 v2, -1, 0
	s_cmp_lg_u64 s[14:15], 0
	v_mbcnt_hi_u32_b32 v2, -1, v2
	v_bfrev_b32_e32 v4, 0.5
	s_cselect_b64 s[8:9], -1, 0
	s_mov_b32 s20, 0
	v_mov_b32_e32 v3, 0
	v_lshl_or_b32 v5, v2, 2, v4
	v_mov_b32_e32 v6, 0
	v_mov_b32_e32 v7, 0xff800000
	;; [unrolled: 1-line block ×4, first 2 shown]
	s_branch .LBB199_19
.LBB199_18:                             ;   in Loop: Header=BB199_19 Depth=1
	s_lshl_b32 s11, s10, 2
	s_add_i32 s11, s11, 0
	v_mov_b32_e32 v8, s11
	ds_write_b32 v8, v7
	v_mov_b32_e32 v8, s10
	v_cmp_eq_u32_e32 vcc, s20, v0
	s_add_i32 s20, s20, 1
	v_cndmask_b32_e32 v2, v2, v8, vcc
	v_cndmask_b32_e32 v3, v3, v10, vcc
	s_cmp_eq_u32 s20, s21
	v_add_f32_e32 v4, v4, v10
	s_cbranch_scc1 .LBB199_26
.LBB199_19:                             ; =>This Loop Header: Depth=1
                                        ;     Child Loop BB199_21 Depth 2
	v_mov_b32_e32 v8, s20
	v_mov_b32_e32 v9, 0xff800000
	s_and_saveexec_b64 s[10:11], s[0:1]
	s_cbranch_execz .LBB199_23
; %bb.20:                               ;   in Loop: Header=BB199_19 Depth=1
	s_load_dword s22, s[2:3], 0xc
	s_mov_b64 s[12:13], 0
	v_mov_b32_e32 v8, s20
	v_mov_b32_e32 v9, 0xff800000
	;; [unrolled: 1-line block ×3, first 2 shown]
	s_waitcnt lgkmcnt(0)
	s_and_b32 s22, s22, 0xffff
	s_lshl_b32 s23, s22, 2
	s_lshl_b32 s24, s22, 4
	v_mov_b32_e32 v11, v1
	v_mov_b32_e32 v13, v0
.LBB199_21:                             ;   Parent Loop BB199_19 Depth=1
                                        ; =>  This Inner Loop Header: Depth=2
	ds_read_b128 v[14:17], v10
	v_add_u32_e32 v13, s22, v13
	v_cmp_le_i32_e32 vcc, s7, v13
	s_or_b64 s[12:13], vcc, s[12:13]
	v_add_u32_e32 v18, 1, v11
	s_waitcnt lgkmcnt(0)
	v_cmp_gt_f32_e32 vcc, v14, v9
	v_cndmask_b32_e32 v9, v9, v14, vcc
	v_cndmask_b32_e32 v8, v8, v11, vcc
	v_cmp_gt_f32_e32 vcc, v15, v9
	v_cndmask_b32_e32 v9, v9, v15, vcc
	v_cndmask_b32_e32 v8, v8, v18, vcc
	v_cmp_gt_f32_e32 vcc, v16, v9
	v_add_u32_e32 v19, 2, v11
	v_cndmask_b32_e32 v9, v9, v16, vcc
	v_add_u32_e32 v20, 3, v11
	v_cndmask_b32_e32 v8, v8, v19, vcc
	v_cmp_gt_f32_e32 vcc, v17, v9
	v_add_u32_e32 v10, s24, v10
	v_add_u32_e32 v11, s23, v11
	v_cndmask_b32_e32 v9, v9, v17, vcc
	v_cndmask_b32_e32 v8, v8, v20, vcc
	s_andn2_b64 exec, exec, s[12:13]
	s_cbranch_execnz .LBB199_21
; %bb.22:                               ;   in Loop: Header=BB199_19 Depth=1
	s_or_b64 exec, exec, s[12:13]
.LBB199_23:                             ;   in Loop: Header=BB199_19 Depth=1
	s_or_b64 exec, exec, s[10:11]
	;;#ASMSTART
	v_max_f32 v10, v9, v9 quad_perm:[1,0,3,2] row_mask:0xf bank_mask:0xf bound_ctrl:1
	;;#ASMEND
	;;#ASMSTART
	v_max_f32 v11, v10, v10 quad_perm:[2,3,0,1] row_mask:0xf bank_mask:0xf bound_ctrl:1
	;;#ASMEND
	;;#ASMSTART
	v_max_f32 v10, v11, v11 row_half_mirror row_mask:0xf bank_mask:0xf bound_ctrl:1
	;;#ASMEND
	;;#ASMSTART
	v_max_f32 v11, v10, v10 row_mirror row_mask:0xf bank_mask:0xf bound_ctrl:1
	;;#ASMEND
	;;#ASMSTART
	v_max_f32 v10, v11, v11 row_ror:4 row_mask:0xf bank_mask:0xf bound_ctrl:1
	;;#ASMEND
	;;#ASMSTART
	v_max_f32 v11, v10, v10 row_ror:8 row_mask:0xf bank_mask:0xf bound_ctrl:1
	;;#ASMEND
	;;#ASMSTART
	v_max_f32 v10, v11, v11 row_bcast:15 row_mask:0xf bank_mask:0xf bound_ctrl:1
	;;#ASMEND
	;;#ASMSTART
	v_max_f32 v11, v10, v10 row_bcast:31 row_mask:0xf bank_mask:0xf bound_ctrl:1
	;;#ASMEND
	ds_bpermute_b32 v10, v5, v11
	s_waitcnt lgkmcnt(0)
	v_cmp_eq_f32_e32 vcc, v9, v10
	s_ff1_i32_b64 s10, vcc
	s_cmp_lg_u64 vcc, 0
	s_cselect_b32 s10, s10, 0
	s_and_b64 vcc, exec, s[8:9]
	v_readlane_b32 s10, v8, s10
	s_cbranch_vccz .LBB199_18
; %bb.24:                               ;   in Loop: Header=BB199_19 Depth=1
	s_ashr_i32 s11, s10, 31
	s_lshl_b64 s[12:13], s[10:11], 1
	s_add_u32 s12, s14, s12
	s_addc_u32 s13, s15, s13
	global_load_ushort v8, v6, s[12:13]
	s_waitcnt vmcnt(0)
	v_lshlrev_b32_e32 v8, 16, v8
	v_sub_f32_e32 v10, v10, v8
	s_branch .LBB199_18
.LBB199_25:
	v_mov_b32_e32 v2, 0
	v_mov_b32_e32 v4, 0
.LBB199_26:
	v_cmp_gt_i32_e32 vcc, s21, v0
	s_and_saveexec_b64 s[0:1], vcc
	s_cbranch_execz .LBB199_29
; %bb.27:
	s_load_dword s2, s[4:5], 0x34
	v_max_f32_e32 v1, v4, v4
	v_max_f32_e32 v1, 0x1e3ce508, v1
	s_load_dword s3, s[4:5], 0x44
	s_waitcnt lgkmcnt(0)
	v_div_scale_f32 v4, s[0:1], v1, v1, s2
	s_load_dwordx2 s[0:1], s[4:5], 0x20
	v_rcp_f32_e32 v5, v4
	v_div_scale_f32 v6, vcc, s2, v1, s2
	s_and_b32 s3, s3, 0xffff
	v_fma_f32 v7, -v4, v5, 1.0
	v_fmac_f32_e32 v5, v7, v5
	v_mul_f32_e32 v7, v6, v5
	v_fma_f32 v8, -v4, v7, v6
	v_fmac_f32_e32 v7, v8, v5
	v_fma_f32 v4, -v4, v7, v6
	v_div_fmas_f32 v4, v4, v5, v7
	v_div_fixup_f32 v1, v4, v1, s2
	s_ashr_i32 s2, s6, 31
	s_waitcnt lgkmcnt(0)
	s_mul_i32 s1, s6, s1
	s_mul_hi_u32 s4, s6, s0
	s_add_i32 s1, s4, s1
	s_mul_i32 s2, s2, s0
	s_add_i32 s4, s1, s2
	v_mul_f32_e32 v1, v3, v1
	s_mul_i32 s2, s6, s0
	s_mov_b64 s[0:1], 0
	v_mov_b32_e32 v3, s4
	v_mov_b32_e32 v4, s17
	;; [unrolled: 1-line block ×3, first 2 shown]
.LBB199_28:                             ; =>This Inner Loop Header: Depth=1
	v_ashrrev_i32_e32 v7, 31, v0
	v_add_co_u32_e32 v6, vcc, s2, v0
	v_addc_co_u32_e32 v7, vcc, v3, v7, vcc
	v_add_u32_e32 v0, s3, v0
	v_cmp_le_i32_e32 vcc, s21, v0
	v_lshlrev_b64 v[6:7], 2, v[6:7]
	s_or_b64 s[0:1], vcc, s[0:1]
	v_add_co_u32_e32 v8, vcc, s16, v6
	v_addc_co_u32_e32 v9, vcc, v4, v7, vcc
	v_add_co_u32_e32 v6, vcc, s18, v6
	v_addc_co_u32_e32 v7, vcc, v5, v7, vcc
	global_store_dword v[8:9], v1, off
	global_store_dword v[6:7], v2, off
	s_andn2_b64 exec, exec, s[0:1]
	s_cbranch_execnz .LBB199_28
.LBB199_29:
	s_endpgm
	.section	.rodata,"a",@progbits
	.p2align	6, 0x0
	.amdhsa_kernel _ZN5aiter20topk_softplus_kernelI6__half12hip_bfloat16Dv4_fLb1ELi0EEEvPKT_PKT0_PfPimiiif
		.amdhsa_group_segment_fixed_size 0
		.amdhsa_private_segment_fixed_size 0
		.amdhsa_kernarg_size 312
		.amdhsa_user_sgpr_count 6
		.amdhsa_user_sgpr_private_segment_buffer 1
		.amdhsa_user_sgpr_dispatch_ptr 0
		.amdhsa_user_sgpr_queue_ptr 0
		.amdhsa_user_sgpr_kernarg_segment_ptr 1
		.amdhsa_user_sgpr_dispatch_id 0
		.amdhsa_user_sgpr_flat_scratch_init 0
		.amdhsa_user_sgpr_kernarg_preload_length 0
		.amdhsa_user_sgpr_kernarg_preload_offset 0
		.amdhsa_user_sgpr_private_segment_size 0
		.amdhsa_uses_dynamic_stack 0
		.amdhsa_system_sgpr_private_segment_wavefront_offset 0
		.amdhsa_system_sgpr_workgroup_id_x 1
		.amdhsa_system_sgpr_workgroup_id_y 0
		.amdhsa_system_sgpr_workgroup_id_z 0
		.amdhsa_system_sgpr_workgroup_info 0
		.amdhsa_system_vgpr_workitem_id 0
		.amdhsa_next_free_vgpr 25
		.amdhsa_next_free_sgpr 45
		.amdhsa_accum_offset 28
		.amdhsa_reserve_vcc 1
		.amdhsa_reserve_flat_scratch 0
		.amdhsa_float_round_mode_32 0
		.amdhsa_float_round_mode_16_64 0
		.amdhsa_float_denorm_mode_32 3
		.amdhsa_float_denorm_mode_16_64 3
		.amdhsa_dx10_clamp 1
		.amdhsa_ieee_mode 1
		.amdhsa_fp16_overflow 0
		.amdhsa_tg_split 0
		.amdhsa_exception_fp_ieee_invalid_op 0
		.amdhsa_exception_fp_denorm_src 0
		.amdhsa_exception_fp_ieee_div_zero 0
		.amdhsa_exception_fp_ieee_overflow 0
		.amdhsa_exception_fp_ieee_underflow 0
		.amdhsa_exception_fp_ieee_inexact 0
		.amdhsa_exception_int_div_zero 0
	.end_amdhsa_kernel
	.section	.text._ZN5aiter20topk_softplus_kernelI6__half12hip_bfloat16Dv4_fLb1ELi0EEEvPKT_PKT0_PfPimiiif,"axG",@progbits,_ZN5aiter20topk_softplus_kernelI6__half12hip_bfloat16Dv4_fLb1ELi0EEEvPKT_PKT0_PfPimiiif,comdat
.Lfunc_end199:
	.size	_ZN5aiter20topk_softplus_kernelI6__half12hip_bfloat16Dv4_fLb1ELi0EEEvPKT_PKT0_PfPimiiif, .Lfunc_end199-_ZN5aiter20topk_softplus_kernelI6__half12hip_bfloat16Dv4_fLb1ELi0EEEvPKT_PKT0_PfPimiiif
                                        ; -- End function
	.section	.AMDGPU.csdata,"",@progbits
; Kernel info:
; codeLenInByte = 2572
; NumSgprs: 49
; NumVgprs: 25
; NumAgprs: 0
; TotalNumVgprs: 25
; ScratchSize: 0
; MemoryBound: 0
; FloatMode: 240
; IeeeMode: 1
; LDSByteSize: 0 bytes/workgroup (compile time only)
; SGPRBlocks: 6
; VGPRBlocks: 3
; NumSGPRsForWavesPerEU: 49
; NumVGPRsForWavesPerEU: 25
; AccumOffset: 28
; Occupancy: 8
; WaveLimiterHint : 0
; COMPUTE_PGM_RSRC2:SCRATCH_EN: 0
; COMPUTE_PGM_RSRC2:USER_SGPR: 6
; COMPUTE_PGM_RSRC2:TRAP_HANDLER: 0
; COMPUTE_PGM_RSRC2:TGID_X_EN: 1
; COMPUTE_PGM_RSRC2:TGID_Y_EN: 0
; COMPUTE_PGM_RSRC2:TGID_Z_EN: 0
; COMPUTE_PGM_RSRC2:TIDIG_COMP_CNT: 0
; COMPUTE_PGM_RSRC3_GFX90A:ACCUM_OFFSET: 6
; COMPUTE_PGM_RSRC3_GFX90A:TG_SPLIT: 0
	.section	.text._ZN5aiter20topk_softplus_kernelI6__half12hip_bfloat16Dv4_fLb0ELi0EEEvPKT_PKT0_PfPimiiif,"axG",@progbits,_ZN5aiter20topk_softplus_kernelI6__half12hip_bfloat16Dv4_fLb0ELi0EEEvPKT_PKT0_PfPimiiif,comdat
	.protected	_ZN5aiter20topk_softplus_kernelI6__half12hip_bfloat16Dv4_fLb0ELi0EEEvPKT_PKT0_PfPimiiif ; -- Begin function _ZN5aiter20topk_softplus_kernelI6__half12hip_bfloat16Dv4_fLb0ELi0EEEvPKT_PKT0_PfPimiiif
	.globl	_ZN5aiter20topk_softplus_kernelI6__half12hip_bfloat16Dv4_fLb0ELi0EEEvPKT_PKT0_PfPimiiif
	.p2align	8
	.type	_ZN5aiter20topk_softplus_kernelI6__half12hip_bfloat16Dv4_fLb0ELi0EEEvPKT_PKT0_PfPimiiif,@function
_ZN5aiter20topk_softplus_kernelI6__half12hip_bfloat16Dv4_fLb0ELi0EEEvPKT_PKT0_PfPimiiif: ; @_ZN5aiter20topk_softplus_kernelI6__half12hip_bfloat16Dv4_fLb0ELi0EEEvPKT_PKT0_PfPimiiif
; %bb.0:
	s_load_dwordx2 s[20:21], s[4:5], 0x28
	s_load_dwordx8 s[12:19], s[4:5], 0x0
	v_lshlrev_b32_e32 v1, 2, v0
	v_lshl_add_u32 v12, v0, 4, 0
	s_waitcnt lgkmcnt(0)
	s_ashr_i32 s0, s20, 31
	s_lshr_b32 s0, s0, 30
	s_add_i32 s0, s20, s0
	s_mul_i32 s22, s6, s20
	s_ashr_i32 s7, s0, 2
	s_ashr_i32 s23, s22, 31
	v_cmp_gt_i32_e64 s[0:1], s7, v0
	s_and_saveexec_b64 s[24:25], s[0:1]
	s_cbranch_execz .LBB200_11
; %bb.1:
	s_load_dword s8, s[4:5], 0x44
	s_cmp_lg_u64 s[14:15], 0
	s_cselect_b64 s[2:3], -1, 0
	v_lshlrev_b32_e32 v2, 3, v0
	s_mov_b64 s[26:27], 0
	s_waitcnt lgkmcnt(0)
	s_and_b32 s28, s8, 0xffff
	s_add_u32 s29, s14, 2
	s_addc_u32 s30, s15, 0
	s_add_u32 s31, s14, 4
	s_addc_u32 s33, s15, 0
	s_add_u32 s34, s14, 6
	s_addc_u32 s35, s15, 0
	s_lshl_b64 s[8:9], s[22:23], 1
	s_add_u32 s8, s12, s8
	s_addc_u32 s9, s13, s9
	v_mov_b32_e32 v3, s9
	v_add_co_u32_e32 v6, vcc, s8, v2
	v_cndmask_b32_e64 v2, 0, 1, s[2:3]
	s_mov_b32 s36, 0
	v_addc_co_u32_e32 v7, vcc, 0, v3, vcc
	s_lshl_b32 s37, s28, 3
	v_lshlrev_b32_e32 v8, 2, v0
	s_lshl_b32 s38, s28, 2
	v_lshl_add_u32 v13, v0, 4, 0
	s_lshl_b32 s39, s28, 4
	v_mov_b32_e32 v9, 0
	s_movk_i32 s40, 0x4d00
	s_mov_b32 s41, 0x3fb8aa3b
	s_mov_b32 s42, 0xc2fc0000
	v_mov_b32_e32 v14, 0x1f800000
	v_mov_b32_e32 v15, 0x42800000
	s_mov_b32 s43, 0x800000
	v_mov_b32_e32 v16, 0x4f800000
	v_mov_b32_e32 v17, 0x42000000
	s_mov_b32 s44, 0xf800000
	v_mov_b32_e32 v18, 0x260
	v_cmp_ne_u32_e64 s[2:3], 1, v2
	v_mov_b32_e32 v19, v0
	s_branch .LBB200_3
.LBB200_2:                              ;   in Loop: Header=BB200_3 Depth=1
	ds_write_b128 v13, v[2:5]
	v_mov_b32_e32 v2, s36
	v_add_co_u32_e32 v6, vcc, s37, v6
	v_add_u32_e32 v19, s28, v19
	v_addc_co_u32_e32 v7, vcc, v7, v2, vcc
	v_cmp_le_i32_e32 vcc, s7, v19
	v_add_u32_e32 v8, s38, v8
	s_or_b64 s[26:27], vcc, s[26:27]
	v_add_u32_e32 v13, s39, v13
	s_andn2_b64 exec, exec, s[26:27]
	s_cbranch_execz .LBB200_11
.LBB200_3:                              ; =>This Inner Loop Header: Depth=1
	global_load_dwordx2 v[4:5], v[6:7], off
	s_waitcnt vmcnt(0)
	v_cvt_f32_f16_e32 v2, v4
	v_mul_f32_e32 v3, 0x3fb8aa3b, v2
	v_cmp_gt_f32_e32 vcc, s42, v3
	v_cndmask_b32_e32 v10, 0, v15, vcc
	v_fma_mix_f32 v10, v4, s41, v10 op_sel_hi:[1,0,0]
	v_exp_f32_e32 v10, v10
	v_cndmask_b32_e32 v3, 1.0, v14, vcc
	v_fma_f32 v3, v10, v3, 1.0
	v_cmp_gt_f32_e32 vcc, s43, v3
	v_cndmask_b32_e32 v10, 1.0, v16, vcc
	v_mul_f32_e32 v3, v3, v10
	v_log_f32_e32 v3, v3
	v_cndmask_b32_e32 v10, 0, v17, vcc
	v_cmp_lt_f16_e32 vcc, s40, v4
	v_sub_f32_e32 v3, v3, v10
	v_mul_f32_e32 v3, 0x3f317218, v3
	v_cndmask_b32_e32 v2, v3, v2, vcc
	v_mul_f32_e32 v3, 0x4f800000, v2
	v_cmp_gt_f32_e64 s[8:9], s44, v2
	v_cndmask_b32_e64 v2, v2, v3, s[8:9]
	v_sqrt_f32_e32 v3, v2
	s_and_b64 vcc, exec, s[2:3]
	v_add_u32_e32 v10, -1, v3
	v_add_u32_e32 v11, 1, v3
	v_fma_f32 v20, -v10, v3, v2
	v_fma_f32 v21, -v11, v3, v2
	v_cmp_ge_f32_e64 s[10:11], 0, v20
	v_cndmask_b32_e64 v3, v3, v10, s[10:11]
	v_cmp_lt_f32_e64 s[10:11], 0, v21
	v_cndmask_b32_e64 v3, v3, v11, s[10:11]
	v_mul_f32_e32 v10, 0x37800000, v3
	v_cndmask_b32_e64 v3, v3, v10, s[8:9]
	v_cmp_class_f32_e64 s[8:9], v2, v18
	v_cndmask_b32_e64 v2, v3, v2, s[8:9]
	v_lshlrev_b64 v[10:11], 1, v[8:9]
	s_cbranch_vccnz .LBB200_5
; %bb.4:                                ;   in Loop: Header=BB200_3 Depth=1
	v_mov_b32_e32 v3, s15
	v_add_co_u32_e32 v20, vcc, s14, v10
	v_addc_co_u32_e32 v21, vcc, v3, v11, vcc
	global_load_ushort v3, v[20:21], off
	s_waitcnt vmcnt(0)
	v_lshlrev_b32_e32 v3, 16, v3
	v_add_f32_e32 v2, v2, v3
.LBB200_5:                              ;   in Loop: Header=BB200_3 Depth=1
	v_cvt_f32_f16_sdwa v3, v4 dst_sel:DWORD dst_unused:UNUSED_PAD src0_sel:WORD_1
	v_mul_f32_e32 v20, 0x3fb8aa3b, v3
	v_cmp_gt_f32_e32 vcc, s42, v20
	v_cndmask_b32_e32 v21, 0, v15, vcc
	v_fma_mix_f32 v21, v4, s41, v21 op_sel:[1,0,0] op_sel_hi:[1,0,0]
	v_exp_f32_e32 v21, v21
	v_cndmask_b32_e32 v20, 1.0, v14, vcc
	v_fma_f32 v20, v21, v20, 1.0
	v_cmp_gt_f32_e32 vcc, s43, v20
	v_cndmask_b32_e32 v21, 1.0, v16, vcc
	v_mul_f32_e32 v20, v20, v21
	v_log_f32_e32 v20, v20
	v_cndmask_b32_e32 v21, 0, v17, vcc
	v_cmp_gt_f16_sdwa vcc, v4, s40 src0_sel:WORD_1 src1_sel:DWORD
	v_sub_f32_e32 v20, v20, v21
	v_mul_f32_e32 v20, 0x3f317218, v20
	v_cndmask_b32_e32 v3, v20, v3, vcc
	v_mul_f32_e32 v4, 0x4f800000, v3
	v_cmp_gt_f32_e64 s[8:9], s44, v3
	v_cndmask_b32_e64 v3, v3, v4, s[8:9]
	v_sqrt_f32_e32 v4, v3
	s_and_b64 vcc, exec, s[2:3]
	v_add_u32_e32 v20, -1, v4
	v_add_u32_e32 v21, 1, v4
	v_fma_f32 v22, -v20, v4, v3
	v_fma_f32 v23, -v21, v4, v3
	v_cmp_ge_f32_e64 s[10:11], 0, v22
	v_cndmask_b32_e64 v4, v4, v20, s[10:11]
	v_cmp_lt_f32_e64 s[10:11], 0, v23
	v_cndmask_b32_e64 v4, v4, v21, s[10:11]
	v_mul_f32_e32 v20, 0x37800000, v4
	v_cndmask_b32_e64 v4, v4, v20, s[8:9]
	v_cmp_class_f32_e64 s[8:9], v3, v18
	v_cndmask_b32_e64 v3, v4, v3, s[8:9]
	s_cbranch_vccnz .LBB200_7
; %bb.6:                                ;   in Loop: Header=BB200_3 Depth=1
	v_mov_b32_e32 v4, s30
	v_add_co_u32_e32 v20, vcc, s29, v10
	v_addc_co_u32_e32 v21, vcc, v4, v11, vcc
	global_load_ushort v4, v[20:21], off
	s_waitcnt vmcnt(0)
	v_lshlrev_b32_e32 v4, 16, v4
	v_add_f32_e32 v3, v3, v4
.LBB200_7:                              ;   in Loop: Header=BB200_3 Depth=1
	v_cvt_f32_f16_e32 v4, v5
	v_mul_f32_e32 v20, 0x3fb8aa3b, v4
	v_cmp_gt_f32_e32 vcc, s42, v20
	v_cndmask_b32_e32 v21, 0, v15, vcc
	v_fma_mix_f32 v21, v5, s41, v21 op_sel_hi:[1,0,0]
	v_exp_f32_e32 v21, v21
	v_cndmask_b32_e32 v20, 1.0, v14, vcc
	v_fma_f32 v20, v21, v20, 1.0
	v_cmp_gt_f32_e32 vcc, s43, v20
	v_cndmask_b32_e32 v21, 1.0, v16, vcc
	v_mul_f32_e32 v20, v20, v21
	v_log_f32_e32 v20, v20
	v_cndmask_b32_e32 v21, 0, v17, vcc
	v_cmp_lt_f16_e32 vcc, s40, v5
	v_sub_f32_e32 v20, v20, v21
	v_mul_f32_e32 v20, 0x3f317218, v20
	v_cndmask_b32_e32 v4, v20, v4, vcc
	v_mul_f32_e32 v20, 0x4f800000, v4
	v_cmp_gt_f32_e64 s[8:9], s44, v4
	v_cndmask_b32_e64 v4, v4, v20, s[8:9]
	v_sqrt_f32_e32 v20, v4
	s_and_b64 vcc, exec, s[2:3]
	v_add_u32_e32 v21, -1, v20
	v_add_u32_e32 v22, 1, v20
	v_fma_f32 v23, -v21, v20, v4
	v_fma_f32 v24, -v22, v20, v4
	v_cmp_ge_f32_e64 s[10:11], 0, v23
	v_cndmask_b32_e64 v20, v20, v21, s[10:11]
	v_cmp_lt_f32_e64 s[10:11], 0, v24
	v_cndmask_b32_e64 v20, v20, v22, s[10:11]
	v_mul_f32_e32 v21, 0x37800000, v20
	v_cndmask_b32_e64 v20, v20, v21, s[8:9]
	v_cmp_class_f32_e64 s[8:9], v4, v18
	v_cndmask_b32_e64 v4, v20, v4, s[8:9]
	s_cbranch_vccnz .LBB200_9
; %bb.8:                                ;   in Loop: Header=BB200_3 Depth=1
	v_mov_b32_e32 v21, s33
	v_add_co_u32_e32 v20, vcc, s31, v10
	v_addc_co_u32_e32 v21, vcc, v21, v11, vcc
	global_load_ushort v20, v[20:21], off
	s_waitcnt vmcnt(0)
	v_lshlrev_b32_e32 v20, 16, v20
	v_add_f32_e32 v4, v4, v20
.LBB200_9:                              ;   in Loop: Header=BB200_3 Depth=1
	v_cvt_f32_f16_sdwa v20, v5 dst_sel:DWORD dst_unused:UNUSED_PAD src0_sel:WORD_1
	v_mul_f32_e32 v21, 0x3fb8aa3b, v20
	v_cmp_gt_f32_e32 vcc, s42, v21
	v_cndmask_b32_e32 v22, 0, v15, vcc
	v_fma_mix_f32 v22, v5, s41, v22 op_sel:[1,0,0] op_sel_hi:[1,0,0]
	v_exp_f32_e32 v22, v22
	v_cndmask_b32_e32 v21, 1.0, v14, vcc
	v_fma_f32 v21, v22, v21, 1.0
	v_cmp_gt_f32_e32 vcc, s43, v21
	v_cndmask_b32_e32 v22, 1.0, v16, vcc
	v_mul_f32_e32 v21, v21, v22
	v_log_f32_e32 v21, v21
	v_cndmask_b32_e32 v22, 0, v17, vcc
	v_cmp_gt_f16_sdwa vcc, v5, s40 src0_sel:WORD_1 src1_sel:DWORD
	v_sub_f32_e32 v21, v21, v22
	v_mul_f32_e32 v21, 0x3f317218, v21
	v_cndmask_b32_e32 v5, v21, v20, vcc
	v_mul_f32_e32 v20, 0x4f800000, v5
	v_cmp_gt_f32_e64 s[8:9], s44, v5
	v_cndmask_b32_e64 v5, v5, v20, s[8:9]
	v_sqrt_f32_e32 v20, v5
	s_and_b64 vcc, exec, s[2:3]
	v_add_u32_e32 v21, -1, v20
	v_add_u32_e32 v22, 1, v20
	v_fma_f32 v23, -v21, v20, v5
	v_fma_f32 v24, -v22, v20, v5
	v_cmp_ge_f32_e64 s[10:11], 0, v23
	v_cndmask_b32_e64 v20, v20, v21, s[10:11]
	v_cmp_lt_f32_e64 s[10:11], 0, v24
	v_cndmask_b32_e64 v20, v20, v22, s[10:11]
	v_mul_f32_e32 v21, 0x37800000, v20
	v_cndmask_b32_e64 v20, v20, v21, s[8:9]
	v_cmp_class_f32_e64 s[8:9], v5, v18
	v_cndmask_b32_e64 v5, v20, v5, s[8:9]
	s_cbranch_vccnz .LBB200_2
; %bb.10:                               ;   in Loop: Header=BB200_3 Depth=1
	v_mov_b32_e32 v20, s35
	v_add_co_u32_e32 v10, vcc, s34, v10
	v_addc_co_u32_e32 v11, vcc, v20, v11, vcc
	global_load_ushort v10, v[10:11], off
	s_waitcnt vmcnt(0)
	v_lshlrev_b32_e32 v10, 16, v10
	v_add_f32_e32 v5, v5, v10
	s_branch .LBB200_2
.LBB200_11:
	s_or_b64 exec, exec, s[24:25]
	v_lshl_add_u32 v2, s7, 2, v0
	v_cmp_gt_i32_e32 vcc, s20, v2
	s_and_saveexec_b64 s[10:11], vcc
	s_cbranch_execz .LBB200_16
; %bb.12:
	s_load_dword s8, s[4:5], 0x44
	s_lshl_b64 s[2:3], s[22:23], 1
	s_add_u32 s22, s12, s2
	s_addc_u32 s9, s13, s3
	s_cmp_lg_u64 s[14:15], 0
	s_cselect_b64 s[2:3], -1, 0
	s_waitcnt lgkmcnt(0)
	s_and_b32 s23, s8, 0xffff
	s_lshl_b32 s8, s7, 4
	s_add_i32 s8, s8, 0
	v_cndmask_b32_e64 v3, 0, 1, s[2:3]
	s_mov_b64 s[12:13], 0
	v_lshl_add_u32 v6, v0, 2, s8
	s_lshl_b32 s24, s23, 2
	v_mov_b32_e32 v7, s9
	s_movk_i32 s25, 0x4d00
	s_mov_b32 s26, 0x3fb8aa3b
	s_mov_b32 s27, 0xc2fc0000
	v_mov_b32_e32 v8, 0x42800000
	v_mov_b32_e32 v9, 0x1f800000
	s_mov_b32 s28, 0x800000
	v_mov_b32_e32 v10, 0x4f800000
	v_mov_b32_e32 v11, 0x42000000
	s_mov_b32 s29, 0xf800000
	v_mov_b32_e32 v13, 0x260
	v_cmp_ne_u32_e64 s[2:3], 1, v3
	s_branch .LBB200_14
.LBB200_13:                             ;   in Loop: Header=BB200_14 Depth=1
	v_add_u32_e32 v2, s23, v2
	v_cmp_le_i32_e32 vcc, s20, v2
	s_or_b64 s[12:13], vcc, s[12:13]
	v_add_u32_e32 v6, s24, v6
	s_andn2_b64 exec, exec, s[12:13]
	s_cbranch_execz .LBB200_16
.LBB200_14:                             ; =>This Inner Loop Header: Depth=1
	v_ashrrev_i32_e32 v3, 31, v2
	v_lshlrev_b64 v[4:5], 1, v[2:3]
	v_add_co_u32_e32 v14, vcc, s22, v4
	v_addc_co_u32_e32 v15, vcc, v7, v5, vcc
	global_load_ushort v3, v[14:15], off
	s_waitcnt vmcnt(0)
	v_cvt_f32_f16_e32 v14, v3
	v_mul_f32_e32 v15, 0x3fb8aa3b, v14
	v_cmp_gt_f32_e32 vcc, s27, v15
	v_cndmask_b32_e32 v15, 0, v8, vcc
	v_fma_mix_f32 v15, v3, s26, v15 op_sel_hi:[1,0,0]
	v_exp_f32_e32 v15, v15
	v_cndmask_b32_e32 v16, 1.0, v9, vcc
	v_fma_f32 v15, v15, v16, 1.0
	v_cmp_gt_f32_e32 vcc, s28, v15
	v_cndmask_b32_e32 v16, 1.0, v10, vcc
	v_mul_f32_e32 v15, v15, v16
	v_log_f32_e32 v15, v15
	v_cndmask_b32_e32 v16, 0, v11, vcc
	v_cmp_lt_f16_e32 vcc, s25, v3
	v_sub_f32_e32 v15, v15, v16
	v_mul_f32_e32 v15, 0x3f317218, v15
	v_cndmask_b32_e32 v3, v15, v14, vcc
	v_mul_f32_e32 v14, 0x4f800000, v3
	v_cmp_gt_f32_e32 vcc, s29, v3
	v_cndmask_b32_e32 v3, v3, v14, vcc
	v_sqrt_f32_e32 v14, v3
	v_add_u32_e32 v15, -1, v14
	v_add_u32_e32 v16, 1, v14
	v_fma_f32 v17, -v15, v14, v3
	v_fma_f32 v18, -v16, v14, v3
	v_cmp_ge_f32_e64 s[8:9], 0, v17
	v_cndmask_b32_e64 v14, v14, v15, s[8:9]
	v_cmp_lt_f32_e64 s[8:9], 0, v18
	v_cndmask_b32_e64 v14, v14, v16, s[8:9]
	v_mul_f32_e32 v15, 0x37800000, v14
	v_cndmask_b32_e32 v14, v14, v15, vcc
	v_cmp_class_f32_e32 vcc, v3, v13
	v_cndmask_b32_e32 v3, v14, v3, vcc
	s_and_b64 vcc, exec, s[2:3]
	ds_write_b32 v6, v3
	s_cbranch_vccnz .LBB200_13
; %bb.15:                               ;   in Loop: Header=BB200_14 Depth=1
	v_mov_b32_e32 v14, s15
	v_add_co_u32_e32 v4, vcc, s14, v4
	v_addc_co_u32_e32 v5, vcc, v14, v5, vcc
	global_load_ushort v4, v[4:5], off
	s_waitcnt vmcnt(0)
	v_lshlrev_b32_e32 v4, 16, v4
	v_add_f32_e32 v3, v3, v4
	ds_write_b32 v6, v3
	s_branch .LBB200_13
.LBB200_16:
	s_or_b64 exec, exec, s[10:11]
	s_cmp_lt_i32 s21, 1
	s_waitcnt lgkmcnt(0)
	s_barrier
	s_cbranch_scc1 .LBB200_25
; %bb.17:
	s_add_u32 s2, s4, 56
	s_addc_u32 s3, s5, 0
	v_mbcnt_lo_u32_b32 v3, -1, 0
	s_cmp_lg_u64 s[14:15], 0
	v_mbcnt_hi_u32_b32 v3, -1, v3
	v_bfrev_b32_e32 v5, 0.5
	s_cselect_b64 s[8:9], -1, 0
	s_mov_b32 s20, 0
	v_mov_b32_e32 v2, 0
	v_mov_b32_e32 v4, 0
	v_lshl_or_b32 v5, v3, 2, v5
	v_mov_b32_e32 v6, 0xff800000
	v_mov_b32_e32 v3, 0
	s_branch .LBB200_19
.LBB200_18:                             ;   in Loop: Header=BB200_19 Depth=1
	s_lshl_b32 s11, s10, 2
	s_add_i32 s11, s11, 0
	v_mov_b32_e32 v7, s11
	ds_write_b32 v7, v6
	v_mov_b32_e32 v7, s10
	v_cmp_eq_u32_e32 vcc, s20, v0
	s_add_i32 s20, s20, 1
	v_cndmask_b32_e32 v2, v2, v7, vcc
	s_cmp_eq_u32 s20, s21
	v_cndmask_b32_e32 v3, v3, v9, vcc
	s_cbranch_scc1 .LBB200_26
.LBB200_19:                             ; =>This Loop Header: Depth=1
                                        ;     Child Loop BB200_21 Depth 2
	v_mov_b32_e32 v7, s20
	v_mov_b32_e32 v8, 0xff800000
	s_and_saveexec_b64 s[10:11], s[0:1]
	s_cbranch_execz .LBB200_23
; %bb.20:                               ;   in Loop: Header=BB200_19 Depth=1
	s_load_dword s22, s[2:3], 0xc
	s_mov_b64 s[12:13], 0
	v_mov_b32_e32 v7, s20
	v_mov_b32_e32 v8, 0xff800000
	;; [unrolled: 1-line block ×3, first 2 shown]
	s_waitcnt lgkmcnt(0)
	s_and_b32 s22, s22, 0xffff
	s_lshl_b32 s23, s22, 2
	s_lshl_b32 s24, s22, 4
	v_mov_b32_e32 v10, v1
	v_mov_b32_e32 v11, v0
.LBB200_21:                             ;   Parent Loop BB200_19 Depth=1
                                        ; =>  This Inner Loop Header: Depth=2
	ds_read_b128 v[14:17], v9
	v_add_u32_e32 v11, s22, v11
	v_cmp_le_i32_e32 vcc, s7, v11
	s_or_b64 s[12:13], vcc, s[12:13]
	v_add_u32_e32 v13, 1, v10
	s_waitcnt lgkmcnt(0)
	v_cmp_gt_f32_e32 vcc, v14, v8
	v_cndmask_b32_e32 v8, v8, v14, vcc
	v_cndmask_b32_e32 v7, v7, v10, vcc
	v_cmp_gt_f32_e32 vcc, v15, v8
	v_cndmask_b32_e32 v8, v8, v15, vcc
	v_cndmask_b32_e32 v7, v7, v13, vcc
	v_cmp_gt_f32_e32 vcc, v16, v8
	v_add_u32_e32 v18, 2, v10
	v_cndmask_b32_e32 v8, v8, v16, vcc
	v_add_u32_e32 v19, 3, v10
	v_cndmask_b32_e32 v7, v7, v18, vcc
	v_cmp_gt_f32_e32 vcc, v17, v8
	v_add_u32_e32 v9, s24, v9
	v_add_u32_e32 v10, s23, v10
	v_cndmask_b32_e32 v8, v8, v17, vcc
	v_cndmask_b32_e32 v7, v7, v19, vcc
	s_andn2_b64 exec, exec, s[12:13]
	s_cbranch_execnz .LBB200_21
; %bb.22:                               ;   in Loop: Header=BB200_19 Depth=1
	s_or_b64 exec, exec, s[12:13]
.LBB200_23:                             ;   in Loop: Header=BB200_19 Depth=1
	s_or_b64 exec, exec, s[10:11]
	;;#ASMSTART
	v_max_f32 v9, v8, v8 quad_perm:[1,0,3,2] row_mask:0xf bank_mask:0xf bound_ctrl:1
	;;#ASMEND
	;;#ASMSTART
	v_max_f32 v10, v9, v9 quad_perm:[2,3,0,1] row_mask:0xf bank_mask:0xf bound_ctrl:1
	;;#ASMEND
	;;#ASMSTART
	v_max_f32 v9, v10, v10 row_half_mirror row_mask:0xf bank_mask:0xf bound_ctrl:1
	;;#ASMEND
	;;#ASMSTART
	v_max_f32 v10, v9, v9 row_mirror row_mask:0xf bank_mask:0xf bound_ctrl:1
	;;#ASMEND
	;;#ASMSTART
	v_max_f32 v9, v10, v10 row_ror:4 row_mask:0xf bank_mask:0xf bound_ctrl:1
	;;#ASMEND
	;;#ASMSTART
	v_max_f32 v10, v9, v9 row_ror:8 row_mask:0xf bank_mask:0xf bound_ctrl:1
	;;#ASMEND
	;;#ASMSTART
	v_max_f32 v9, v10, v10 row_bcast:15 row_mask:0xf bank_mask:0xf bound_ctrl:1
	;;#ASMEND
	;;#ASMSTART
	v_max_f32 v10, v9, v9 row_bcast:31 row_mask:0xf bank_mask:0xf bound_ctrl:1
	;;#ASMEND
	ds_bpermute_b32 v9, v5, v10
	s_waitcnt lgkmcnt(0)
	v_cmp_eq_f32_e32 vcc, v8, v9
	s_ff1_i32_b64 s10, vcc
	s_cmp_lg_u64 vcc, 0
	s_cselect_b32 s10, s10, 0
	s_and_b64 vcc, exec, s[8:9]
	v_readlane_b32 s10, v7, s10
	s_cbranch_vccz .LBB200_18
; %bb.24:                               ;   in Loop: Header=BB200_19 Depth=1
	s_ashr_i32 s11, s10, 31
	s_lshl_b64 s[12:13], s[10:11], 1
	s_add_u32 s12, s14, s12
	s_addc_u32 s13, s15, s13
	global_load_ushort v7, v4, s[12:13]
	s_waitcnt vmcnt(0)
	v_lshlrev_b32_e32 v7, 16, v7
	v_sub_f32_e32 v9, v9, v7
	s_branch .LBB200_18
.LBB200_25:
	v_mov_b32_e32 v3, 0
	v_mov_b32_e32 v2, 0
.LBB200_26:
	v_cmp_gt_i32_e32 vcc, s21, v0
	s_and_saveexec_b64 s[0:1], vcc
	s_cbranch_execz .LBB200_29
; %bb.27:
	s_load_dword s2, s[4:5], 0x34
	s_load_dwordx2 s[0:1], s[4:5], 0x20
	s_ashr_i32 s3, s6, 31
	s_load_dword s4, s[4:5], 0x44
	v_mov_b32_e32 v4, s17
	s_waitcnt lgkmcnt(0)
	v_mul_f32_e32 v1, s2, v3
	s_mul_i32 s1, s6, s1
	s_mul_hi_u32 s2, s6, s0
	s_add_i32 s1, s2, s1
	s_mul_i32 s3, s3, s0
	s_add_i32 s5, s1, s3
	s_mul_i32 s2, s6, s0
	s_and_b32 s3, s4, 0xffff
	s_mov_b64 s[0:1], 0
	v_mov_b32_e32 v3, s5
	v_mov_b32_e32 v5, s19
.LBB200_28:                             ; =>This Inner Loop Header: Depth=1
	v_ashrrev_i32_e32 v7, 31, v0
	v_add_co_u32_e32 v6, vcc, s2, v0
	v_addc_co_u32_e32 v7, vcc, v3, v7, vcc
	v_add_u32_e32 v0, s3, v0
	v_cmp_le_i32_e32 vcc, s21, v0
	v_lshlrev_b64 v[6:7], 2, v[6:7]
	s_or_b64 s[0:1], vcc, s[0:1]
	v_add_co_u32_e32 v8, vcc, s16, v6
	v_addc_co_u32_e32 v9, vcc, v4, v7, vcc
	v_add_co_u32_e32 v6, vcc, s18, v6
	v_addc_co_u32_e32 v7, vcc, v5, v7, vcc
	global_store_dword v[8:9], v1, off
	global_store_dword v[6:7], v2, off
	s_andn2_b64 exec, exec, s[0:1]
	s_cbranch_execnz .LBB200_28
.LBB200_29:
	s_endpgm
	.section	.rodata,"a",@progbits
	.p2align	6, 0x0
	.amdhsa_kernel _ZN5aiter20topk_softplus_kernelI6__half12hip_bfloat16Dv4_fLb0ELi0EEEvPKT_PKT0_PfPimiiif
		.amdhsa_group_segment_fixed_size 0
		.amdhsa_private_segment_fixed_size 0
		.amdhsa_kernarg_size 312
		.amdhsa_user_sgpr_count 6
		.amdhsa_user_sgpr_private_segment_buffer 1
		.amdhsa_user_sgpr_dispatch_ptr 0
		.amdhsa_user_sgpr_queue_ptr 0
		.amdhsa_user_sgpr_kernarg_segment_ptr 1
		.amdhsa_user_sgpr_dispatch_id 0
		.amdhsa_user_sgpr_flat_scratch_init 0
		.amdhsa_user_sgpr_kernarg_preload_length 0
		.amdhsa_user_sgpr_kernarg_preload_offset 0
		.amdhsa_user_sgpr_private_segment_size 0
		.amdhsa_uses_dynamic_stack 0
		.amdhsa_system_sgpr_private_segment_wavefront_offset 0
		.amdhsa_system_sgpr_workgroup_id_x 1
		.amdhsa_system_sgpr_workgroup_id_y 0
		.amdhsa_system_sgpr_workgroup_id_z 0
		.amdhsa_system_sgpr_workgroup_info 0
		.amdhsa_system_vgpr_workitem_id 0
		.amdhsa_next_free_vgpr 25
		.amdhsa_next_free_sgpr 45
		.amdhsa_accum_offset 28
		.amdhsa_reserve_vcc 1
		.amdhsa_reserve_flat_scratch 0
		.amdhsa_float_round_mode_32 0
		.amdhsa_float_round_mode_16_64 0
		.amdhsa_float_denorm_mode_32 3
		.amdhsa_float_denorm_mode_16_64 3
		.amdhsa_dx10_clamp 1
		.amdhsa_ieee_mode 1
		.amdhsa_fp16_overflow 0
		.amdhsa_tg_split 0
		.amdhsa_exception_fp_ieee_invalid_op 0
		.amdhsa_exception_fp_denorm_src 0
		.amdhsa_exception_fp_ieee_div_zero 0
		.amdhsa_exception_fp_ieee_overflow 0
		.amdhsa_exception_fp_ieee_underflow 0
		.amdhsa_exception_fp_ieee_inexact 0
		.amdhsa_exception_int_div_zero 0
	.end_amdhsa_kernel
	.section	.text._ZN5aiter20topk_softplus_kernelI6__half12hip_bfloat16Dv4_fLb0ELi0EEEvPKT_PKT0_PfPimiiif,"axG",@progbits,_ZN5aiter20topk_softplus_kernelI6__half12hip_bfloat16Dv4_fLb0ELi0EEEvPKT_PKT0_PfPimiiif,comdat
.Lfunc_end200:
	.size	_ZN5aiter20topk_softplus_kernelI6__half12hip_bfloat16Dv4_fLb0ELi0EEEvPKT_PKT0_PfPimiiif, .Lfunc_end200-_ZN5aiter20topk_softplus_kernelI6__half12hip_bfloat16Dv4_fLb0ELi0EEEvPKT_PKT0_PfPimiiif
                                        ; -- End function
	.section	.AMDGPU.csdata,"",@progbits
; Kernel info:
; codeLenInByte = 2472
; NumSgprs: 49
; NumVgprs: 25
; NumAgprs: 0
; TotalNumVgprs: 25
; ScratchSize: 0
; MemoryBound: 0
; FloatMode: 240
; IeeeMode: 1
; LDSByteSize: 0 bytes/workgroup (compile time only)
; SGPRBlocks: 6
; VGPRBlocks: 3
; NumSGPRsForWavesPerEU: 49
; NumVGPRsForWavesPerEU: 25
; AccumOffset: 28
; Occupancy: 8
; WaveLimiterHint : 0
; COMPUTE_PGM_RSRC2:SCRATCH_EN: 0
; COMPUTE_PGM_RSRC2:USER_SGPR: 6
; COMPUTE_PGM_RSRC2:TRAP_HANDLER: 0
; COMPUTE_PGM_RSRC2:TGID_X_EN: 1
; COMPUTE_PGM_RSRC2:TGID_Y_EN: 0
; COMPUTE_PGM_RSRC2:TGID_Z_EN: 0
; COMPUTE_PGM_RSRC2:TIDIG_COMP_CNT: 0
; COMPUTE_PGM_RSRC3_GFX90A:ACCUM_OFFSET: 6
; COMPUTE_PGM_RSRC3_GFX90A:TG_SPLIT: 0
	.section	.text._ZN5aiter20topk_softplus_kernelI6__half12hip_bfloat16Dv2_fLb1ELi0EEEvPKT_PKT0_PfPimiiif,"axG",@progbits,_ZN5aiter20topk_softplus_kernelI6__half12hip_bfloat16Dv2_fLb1ELi0EEEvPKT_PKT0_PfPimiiif,comdat
	.protected	_ZN5aiter20topk_softplus_kernelI6__half12hip_bfloat16Dv2_fLb1ELi0EEEvPKT_PKT0_PfPimiiif ; -- Begin function _ZN5aiter20topk_softplus_kernelI6__half12hip_bfloat16Dv2_fLb1ELi0EEEvPKT_PKT0_PfPimiiif
	.globl	_ZN5aiter20topk_softplus_kernelI6__half12hip_bfloat16Dv2_fLb1ELi0EEEvPKT_PKT0_PfPimiiif
	.p2align	8
	.type	_ZN5aiter20topk_softplus_kernelI6__half12hip_bfloat16Dv2_fLb1ELi0EEEvPKT_PKT0_PfPimiiif,@function
_ZN5aiter20topk_softplus_kernelI6__half12hip_bfloat16Dv2_fLb1ELi0EEEvPKT_PKT0_PfPimiiif: ; @_ZN5aiter20topk_softplus_kernelI6__half12hip_bfloat16Dv2_fLb1ELi0EEEvPKT_PKT0_PfPimiiif
; %bb.0:
	s_load_dwordx2 s[20:21], s[4:5], 0x28
	s_load_dwordx8 s[12:19], s[4:5], 0x0
	v_lshl_add_u32 v6, v0, 3, 0
	s_waitcnt lgkmcnt(0)
	s_lshr_b32 s1, s20, 31
	s_mul_i32 s0, s6, s20
	s_add_i32 s1, s20, s1
	s_ashr_i32 s7, s1, 1
	s_ashr_i32 s1, s0, 31
	s_lshl_b64 s[0:1], s[0:1], 1
	s_add_u32 s24, s12, s0
	s_addc_u32 s25, s13, s1
	v_cmp_gt_i32_e64 s[0:1], s7, v0
	s_and_saveexec_b64 s[12:13], s[0:1]
	s_cbranch_execz .LBB201_7
; %bb.1:
	s_load_dword s8, s[4:5], 0x44
	s_cmp_lg_u64 s[14:15], 0
	s_cselect_b64 s[2:3], -1, 0
	v_cndmask_b32_e64 v4, 0, 1, s[2:3]
	s_mov_b64 s[22:23], 0
	s_waitcnt lgkmcnt(0)
	s_and_b32 s26, s8, 0xffff
	s_mov_b32 s8, 0
	v_lshlrev_b32_e32 v2, 2, v0
	v_mov_b32_e32 v1, 0
	s_lshl_b32 s27, s26, 2
	v_lshl_add_u32 v3, v0, 3, 0
	s_lshl_b32 s28, s26, 3
	v_mov_b32_e32 v7, s25
	s_movk_i32 s29, 0x4d00
	s_mov_b32 s30, 0x3fb8aa3b
	s_mov_b32 s31, 0xc2fc0000
	v_mov_b32_e32 v8, 0x42800000
	v_mov_b32_e32 v9, 0x1f800000
	s_mov_b32 s33, 0x800000
	v_mov_b32_e32 v10, 0x4f800000
	v_mov_b32_e32 v11, 0x42000000
	s_mov_b32 s34, 0xf800000
	v_mov_b32_e32 v12, 0x260
	v_cmp_ne_u32_e64 s[2:3], 1, v4
	v_mov_b32_e32 v13, s8
	v_mov_b32_e32 v14, v0
	s_branch .LBB201_3
.LBB201_2:                              ;   in Loop: Header=BB201_3 Depth=1
	v_add_co_u32_e32 v2, vcc, s27, v2
	v_add_u32_e32 v14, s26, v14
	v_addc_co_u32_e32 v1, vcc, v1, v13, vcc
	v_cmp_le_i32_e32 vcc, s7, v14
	ds_write_b64 v3, v[4:5]
	s_or_b64 s[22:23], vcc, s[22:23]
	v_add_u32_e32 v3, s28, v3
	s_andn2_b64 exec, exec, s[22:23]
	s_cbranch_execz .LBB201_7
.LBB201_3:                              ; =>This Inner Loop Header: Depth=1
	v_add_co_u32_e32 v4, vcc, s24, v2
	v_addc_co_u32_e32 v5, vcc, v7, v1, vcc
	global_load_dword v5, v[4:5], off
	s_waitcnt vmcnt(0)
	v_cvt_f32_f16_e32 v4, v5
	v_mul_f32_e32 v15, 0x3fb8aa3b, v4
	v_cmp_gt_f32_e32 vcc, s31, v15
	v_cndmask_b32_e32 v15, 0, v8, vcc
	v_fma_mix_f32 v15, v5, s30, v15 op_sel_hi:[1,0,0]
	v_exp_f32_e32 v15, v15
	v_cndmask_b32_e32 v16, 1.0, v9, vcc
	v_fma_f32 v15, v15, v16, 1.0
	v_cmp_gt_f32_e32 vcc, s33, v15
	v_cndmask_b32_e32 v16, 1.0, v10, vcc
	v_mul_f32_e32 v15, v15, v16
	v_log_f32_e32 v15, v15
	v_cndmask_b32_e32 v16, 0, v11, vcc
	v_cmp_lt_f16_e32 vcc, s29, v5
	v_sub_f32_e32 v15, v15, v16
	v_mul_f32_e32 v15, 0x3f317218, v15
	v_cndmask_b32_e32 v4, v15, v4, vcc
	v_mul_f32_e32 v15, 0x4f800000, v4
	v_cmp_gt_f32_e64 s[8:9], s34, v4
	v_cndmask_b32_e64 v4, v4, v15, s[8:9]
	v_sqrt_f32_e32 v15, v4
	s_and_b64 vcc, exec, s[2:3]
	v_add_u32_e32 v16, -1, v15
	v_add_u32_e32 v17, 1, v15
	v_fma_f32 v18, -v16, v15, v4
	v_fma_f32 v19, -v17, v15, v4
	v_cmp_ge_f32_e64 s[10:11], 0, v18
	v_cndmask_b32_e64 v15, v15, v16, s[10:11]
	v_cmp_lt_f32_e64 s[10:11], 0, v19
	v_cndmask_b32_e64 v15, v15, v17, s[10:11]
	v_mul_f32_e32 v16, 0x37800000, v15
	v_cndmask_b32_e64 v15, v15, v16, s[8:9]
	v_cmp_class_f32_e64 s[8:9], v4, v12
	v_cndmask_b32_e64 v4, v15, v4, s[8:9]
	s_cbranch_vccnz .LBB201_5
; %bb.4:                                ;   in Loop: Header=BB201_3 Depth=1
	v_mov_b32_e32 v15, s15
	v_add_co_u32_e32 v16, vcc, s14, v2
	v_addc_co_u32_e32 v17, vcc, v15, v1, vcc
	global_load_ushort v15, v[16:17], off
	s_waitcnt vmcnt(0)
	v_lshlrev_b32_e32 v15, 16, v15
	v_add_f32_e32 v4, v4, v15
.LBB201_5:                              ;   in Loop: Header=BB201_3 Depth=1
	v_cvt_f32_f16_sdwa v15, v5 dst_sel:DWORD dst_unused:UNUSED_PAD src0_sel:WORD_1
	v_mul_f32_e32 v16, 0x3fb8aa3b, v15
	v_cmp_gt_f32_e32 vcc, s31, v16
	v_cndmask_b32_e32 v17, 0, v8, vcc
	v_fma_mix_f32 v17, v5, s30, v17 op_sel:[1,0,0] op_sel_hi:[1,0,0]
	v_exp_f32_e32 v17, v17
	v_cndmask_b32_e32 v16, 1.0, v9, vcc
	v_fma_f32 v16, v17, v16, 1.0
	v_cmp_gt_f32_e32 vcc, s33, v16
	v_cndmask_b32_e32 v17, 1.0, v10, vcc
	v_mul_f32_e32 v16, v16, v17
	v_log_f32_e32 v16, v16
	v_cndmask_b32_e32 v17, 0, v11, vcc
	v_cmp_gt_f16_sdwa vcc, v5, s29 src0_sel:WORD_1 src1_sel:DWORD
	v_sub_f32_e32 v16, v16, v17
	v_mul_f32_e32 v16, 0x3f317218, v16
	v_cndmask_b32_e32 v5, v16, v15, vcc
	v_mul_f32_e32 v15, 0x4f800000, v5
	v_cmp_gt_f32_e64 s[8:9], s34, v5
	v_cndmask_b32_e64 v5, v5, v15, s[8:9]
	v_sqrt_f32_e32 v15, v5
	s_and_b64 vcc, exec, s[2:3]
	v_add_u32_e32 v16, -1, v15
	v_add_u32_e32 v17, 1, v15
	v_fma_f32 v18, -v16, v15, v5
	v_fma_f32 v19, -v17, v15, v5
	v_cmp_ge_f32_e64 s[10:11], 0, v18
	v_cndmask_b32_e64 v15, v15, v16, s[10:11]
	v_cmp_lt_f32_e64 s[10:11], 0, v19
	v_cndmask_b32_e64 v15, v15, v17, s[10:11]
	v_mul_f32_e32 v16, 0x37800000, v15
	v_cndmask_b32_e64 v15, v15, v16, s[8:9]
	v_cmp_class_f32_e64 s[8:9], v5, v12
	v_cndmask_b32_e64 v5, v15, v5, s[8:9]
	s_cbranch_vccnz .LBB201_2
; %bb.6:                                ;   in Loop: Header=BB201_3 Depth=1
	v_mov_b32_e32 v15, s15
	v_add_co_u32_e32 v16, vcc, s14, v2
	v_addc_co_u32_e32 v17, vcc, v15, v1, vcc
	global_load_ushort v15, v[16:17], off offset:2
	s_waitcnt vmcnt(0)
	v_lshlrev_b32_e32 v15, 16, v15
	v_add_f32_e32 v5, v5, v15
	s_branch .LBB201_2
.LBB201_7:
	s_or_b64 exec, exec, s[12:13]
	v_lshl_add_u32 v2, s7, 1, v0
	v_cmp_gt_i32_e32 vcc, s20, v2
	s_and_saveexec_b64 s[10:11], vcc
	s_cbranch_execz .LBB201_12
; %bb.8:
	s_load_dword s8, s[4:5], 0x44
	s_cmp_lg_u64 s[14:15], 0
	s_cselect_b64 s[2:3], -1, 0
	s_lshl_b32 s9, s7, 3
	v_cndmask_b32_e64 v3, 0, 1, s[2:3]
	s_waitcnt lgkmcnt(0)
	s_and_b32 s22, s8, 0xffff
	s_add_i32 s8, s9, 0
	s_mov_b64 s[12:13], 0
	v_lshl_add_u32 v1, v0, 2, s8
	s_lshl_b32 s23, s22, 2
	v_mov_b32_e32 v7, s25
	s_movk_i32 s25, 0x4d00
	s_mov_b32 s26, 0x3fb8aa3b
	s_mov_b32 s27, 0xc2fc0000
	v_mov_b32_e32 v8, 0x42800000
	v_mov_b32_e32 v9, 0x1f800000
	s_mov_b32 s28, 0x800000
	v_mov_b32_e32 v10, 0x4f800000
	v_mov_b32_e32 v11, 0x42000000
	s_mov_b32 s29, 0xf800000
	v_mov_b32_e32 v12, 0x260
	v_cmp_ne_u32_e64 s[2:3], 1, v3
	s_branch .LBB201_10
.LBB201_9:                              ;   in Loop: Header=BB201_10 Depth=1
	v_add_u32_e32 v2, s22, v2
	v_cmp_le_i32_e32 vcc, s20, v2
	s_or_b64 s[12:13], vcc, s[12:13]
	v_add_u32_e32 v1, s23, v1
	s_andn2_b64 exec, exec, s[12:13]
	s_cbranch_execz .LBB201_12
.LBB201_10:                             ; =>This Inner Loop Header: Depth=1
	v_ashrrev_i32_e32 v3, 31, v2
	v_lshlrev_b64 v[4:5], 1, v[2:3]
	v_add_co_u32_e32 v14, vcc, s24, v4
	v_addc_co_u32_e32 v15, vcc, v7, v5, vcc
	global_load_ushort v3, v[14:15], off
	s_waitcnt vmcnt(0)
	v_cvt_f32_f16_e32 v13, v3
	v_mul_f32_e32 v14, 0x3fb8aa3b, v13
	v_cmp_gt_f32_e32 vcc, s27, v14
	v_cndmask_b32_e32 v14, 0, v8, vcc
	v_fma_mix_f32 v14, v3, s26, v14 op_sel_hi:[1,0,0]
	v_exp_f32_e32 v14, v14
	v_cndmask_b32_e32 v15, 1.0, v9, vcc
	v_fma_f32 v14, v14, v15, 1.0
	v_cmp_gt_f32_e32 vcc, s28, v14
	v_cndmask_b32_e32 v15, 1.0, v10, vcc
	v_mul_f32_e32 v14, v14, v15
	v_log_f32_e32 v14, v14
	v_cndmask_b32_e32 v15, 0, v11, vcc
	v_cmp_lt_f16_e32 vcc, s25, v3
	v_sub_f32_e32 v14, v14, v15
	v_mul_f32_e32 v14, 0x3f317218, v14
	v_cndmask_b32_e32 v3, v14, v13, vcc
	v_mul_f32_e32 v13, 0x4f800000, v3
	v_cmp_gt_f32_e32 vcc, s29, v3
	v_cndmask_b32_e32 v3, v3, v13, vcc
	v_sqrt_f32_e32 v13, v3
	v_add_u32_e32 v14, -1, v13
	v_add_u32_e32 v15, 1, v13
	v_fma_f32 v16, -v14, v13, v3
	v_fma_f32 v17, -v15, v13, v3
	v_cmp_ge_f32_e64 s[8:9], 0, v16
	v_cndmask_b32_e64 v13, v13, v14, s[8:9]
	v_cmp_lt_f32_e64 s[8:9], 0, v17
	v_cndmask_b32_e64 v13, v13, v15, s[8:9]
	v_mul_f32_e32 v14, 0x37800000, v13
	v_cndmask_b32_e32 v13, v13, v14, vcc
	v_cmp_class_f32_e32 vcc, v3, v12
	v_cndmask_b32_e32 v3, v13, v3, vcc
	s_and_b64 vcc, exec, s[2:3]
	ds_write_b32 v1, v3
	s_cbranch_vccnz .LBB201_9
; %bb.11:                               ;   in Loop: Header=BB201_10 Depth=1
	v_mov_b32_e32 v13, s15
	v_add_co_u32_e32 v4, vcc, s14, v4
	v_addc_co_u32_e32 v5, vcc, v13, v5, vcc
	global_load_ushort v4, v[4:5], off
	s_waitcnt vmcnt(0)
	v_lshlrev_b32_e32 v4, 16, v4
	v_add_f32_e32 v3, v3, v4
	ds_write_b32 v1, v3
	s_branch .LBB201_9
.LBB201_12:
	s_or_b64 exec, exec, s[10:11]
	s_cmp_lt_i32 s21, 1
	v_mov_b32_e32 v2, 0
	s_waitcnt lgkmcnt(0)
	s_barrier
	s_cbranch_scc1 .LBB201_21
; %bb.13:
	s_add_u32 s2, s4, 56
	s_addc_u32 s3, s5, 0
	v_mbcnt_lo_u32_b32 v1, -1, 0
	s_cmp_lg_u64 s[14:15], 0
	v_mbcnt_hi_u32_b32 v1, -1, v1
	v_bfrev_b32_e32 v3, 0.5
	s_cselect_b64 s[8:9], -1, 0
	v_lshlrev_b32_e32 v4, 1, v0
	s_mov_b32 s20, 0
	v_mov_b32_e32 v2, 0
	v_lshl_or_b32 v5, v1, 2, v3
	v_mov_b32_e32 v7, 0
	v_mov_b32_e32 v8, 0xff800000
	;; [unrolled: 1-line block ×4, first 2 shown]
	s_branch .LBB201_15
.LBB201_14:                             ;   in Loop: Header=BB201_15 Depth=1
	s_lshl_b32 s11, s10, 2
	s_add_i32 s11, s11, 0
	v_mov_b32_e32 v9, s11
	ds_write_b32 v9, v8
	v_mov_b32_e32 v9, s10
	v_cmp_eq_u32_e32 vcc, s20, v0
	s_add_i32 s20, s20, 1
	v_cndmask_b32_e32 v1, v1, v9, vcc
	v_cndmask_b32_e32 v2, v2, v11, vcc
	s_cmp_eq_u32 s20, s21
	v_add_f32_e32 v3, v3, v11
	s_cbranch_scc1 .LBB201_22
.LBB201_15:                             ; =>This Loop Header: Depth=1
                                        ;     Child Loop BB201_17 Depth 2
	v_mov_b32_e32 v9, s20
	v_mov_b32_e32 v10, 0xff800000
	s_and_saveexec_b64 s[10:11], s[0:1]
	s_cbranch_execz .LBB201_19
; %bb.16:                               ;   in Loop: Header=BB201_15 Depth=1
	s_load_dword s22, s[2:3], 0xc
	s_mov_b64 s[12:13], 0
	v_mov_b32_e32 v9, s20
	v_mov_b32_e32 v10, 0xff800000
	;; [unrolled: 1-line block ×3, first 2 shown]
	s_waitcnt lgkmcnt(0)
	s_and_b32 s22, s22, 0xffff
	s_lshl_b32 s23, s22, 1
	s_lshl_b32 s24, s22, 3
	v_mov_b32_e32 v12, v4
	v_mov_b32_e32 v13, v0
.LBB201_17:                             ;   Parent Loop BB201_15 Depth=1
                                        ; =>  This Inner Loop Header: Depth=2
	ds_read_b64 v[14:15], v11
	v_add_u32_e32 v13, s22, v13
	v_cmp_le_i32_e32 vcc, s7, v13
	s_or_b64 s[12:13], vcc, s[12:13]
	v_add_u32_e32 v16, 1, v12
	s_waitcnt lgkmcnt(0)
	v_cmp_gt_f32_e32 vcc, v14, v10
	v_cndmask_b32_e32 v10, v10, v14, vcc
	v_cndmask_b32_e32 v9, v9, v12, vcc
	v_cmp_gt_f32_e32 vcc, v15, v10
	v_add_u32_e32 v11, s24, v11
	v_cndmask_b32_e32 v10, v10, v15, vcc
	v_add_u32_e32 v12, s23, v12
	v_cndmask_b32_e32 v9, v9, v16, vcc
	s_andn2_b64 exec, exec, s[12:13]
	s_cbranch_execnz .LBB201_17
; %bb.18:                               ;   in Loop: Header=BB201_15 Depth=1
	s_or_b64 exec, exec, s[12:13]
.LBB201_19:                             ;   in Loop: Header=BB201_15 Depth=1
	s_or_b64 exec, exec, s[10:11]
	;;#ASMSTART
	v_max_f32 v11, v10, v10 quad_perm:[1,0,3,2] row_mask:0xf bank_mask:0xf bound_ctrl:1
	;;#ASMEND
	;;#ASMSTART
	v_max_f32 v12, v11, v11 quad_perm:[2,3,0,1] row_mask:0xf bank_mask:0xf bound_ctrl:1
	;;#ASMEND
	;;#ASMSTART
	v_max_f32 v11, v12, v12 row_half_mirror row_mask:0xf bank_mask:0xf bound_ctrl:1
	;;#ASMEND
	;;#ASMSTART
	v_max_f32 v12, v11, v11 row_mirror row_mask:0xf bank_mask:0xf bound_ctrl:1
	;;#ASMEND
	;;#ASMSTART
	v_max_f32 v11, v12, v12 row_ror:4 row_mask:0xf bank_mask:0xf bound_ctrl:1
	;;#ASMEND
	;;#ASMSTART
	v_max_f32 v12, v11, v11 row_ror:8 row_mask:0xf bank_mask:0xf bound_ctrl:1
	;;#ASMEND
	;;#ASMSTART
	v_max_f32 v11, v12, v12 row_bcast:15 row_mask:0xf bank_mask:0xf bound_ctrl:1
	;;#ASMEND
	;;#ASMSTART
	v_max_f32 v12, v11, v11 row_bcast:31 row_mask:0xf bank_mask:0xf bound_ctrl:1
	;;#ASMEND
	ds_bpermute_b32 v11, v5, v12
	s_waitcnt lgkmcnt(0)
	v_cmp_eq_f32_e32 vcc, v10, v11
	s_ff1_i32_b64 s10, vcc
	s_cmp_lg_u64 vcc, 0
	s_cselect_b32 s10, s10, 0
	s_and_b64 vcc, exec, s[8:9]
	v_readlane_b32 s10, v9, s10
	s_cbranch_vccz .LBB201_14
; %bb.20:                               ;   in Loop: Header=BB201_15 Depth=1
	s_ashr_i32 s11, s10, 31
	s_lshl_b64 s[12:13], s[10:11], 1
	s_add_u32 s12, s14, s12
	s_addc_u32 s13, s15, s13
	global_load_ushort v9, v7, s[12:13]
	s_waitcnt vmcnt(0)
	v_lshlrev_b32_e32 v9, 16, v9
	v_sub_f32_e32 v11, v11, v9
	s_branch .LBB201_14
.LBB201_21:
	v_mov_b32_e32 v1, 0
	v_mov_b32_e32 v3, 0
.LBB201_22:
	v_cmp_gt_i32_e32 vcc, s21, v0
	s_and_saveexec_b64 s[0:1], vcc
	s_cbranch_execz .LBB201_25
; %bb.23:
	s_load_dword s2, s[4:5], 0x34
	v_max_f32_e32 v3, v3, v3
	v_max_f32_e32 v3, 0x1e3ce508, v3
	s_load_dword s3, s[4:5], 0x44
	s_waitcnt lgkmcnt(0)
	v_div_scale_f32 v4, s[0:1], v3, v3, s2
	s_load_dwordx2 s[0:1], s[4:5], 0x20
	v_rcp_f32_e32 v5, v4
	v_div_scale_f32 v6, vcc, s2, v3, s2
	s_and_b32 s3, s3, 0xffff
	v_fma_f32 v7, -v4, v5, 1.0
	v_fmac_f32_e32 v5, v7, v5
	v_mul_f32_e32 v7, v6, v5
	v_fma_f32 v8, -v4, v7, v6
	v_fmac_f32_e32 v7, v8, v5
	v_fma_f32 v4, -v4, v7, v6
	v_div_fmas_f32 v4, v4, v5, v7
	v_div_fixup_f32 v3, v4, v3, s2
	s_ashr_i32 s2, s6, 31
	s_waitcnt lgkmcnt(0)
	s_mul_i32 s1, s6, s1
	s_mul_hi_u32 s4, s6, s0
	s_add_i32 s1, s4, s1
	s_mul_i32 s2, s2, s0
	s_add_i32 s4, s1, s2
	v_mul_f32_e32 v2, v2, v3
	s_mul_i32 s2, s6, s0
	s_mov_b64 s[0:1], 0
	v_mov_b32_e32 v3, s4
	v_mov_b32_e32 v4, s17
	;; [unrolled: 1-line block ×3, first 2 shown]
.LBB201_24:                             ; =>This Inner Loop Header: Depth=1
	v_ashrrev_i32_e32 v7, 31, v0
	v_add_co_u32_e32 v6, vcc, s2, v0
	v_addc_co_u32_e32 v7, vcc, v3, v7, vcc
	v_add_u32_e32 v0, s3, v0
	v_cmp_le_i32_e32 vcc, s21, v0
	v_lshlrev_b64 v[6:7], 2, v[6:7]
	s_or_b64 s[0:1], vcc, s[0:1]
	v_add_co_u32_e32 v8, vcc, s16, v6
	v_addc_co_u32_e32 v9, vcc, v4, v7, vcc
	v_add_co_u32_e32 v6, vcc, s18, v6
	v_addc_co_u32_e32 v7, vcc, v5, v7, vcc
	global_store_dword v[8:9], v2, off
	global_store_dword v[6:7], v1, off
	s_andn2_b64 exec, exec, s[0:1]
	s_cbranch_execnz .LBB201_24
.LBB201_25:
	s_endpgm
	.section	.rodata,"a",@progbits
	.p2align	6, 0x0
	.amdhsa_kernel _ZN5aiter20topk_softplus_kernelI6__half12hip_bfloat16Dv2_fLb1ELi0EEEvPKT_PKT0_PfPimiiif
		.amdhsa_group_segment_fixed_size 0
		.amdhsa_private_segment_fixed_size 0
		.amdhsa_kernarg_size 312
		.amdhsa_user_sgpr_count 6
		.amdhsa_user_sgpr_private_segment_buffer 1
		.amdhsa_user_sgpr_dispatch_ptr 0
		.amdhsa_user_sgpr_queue_ptr 0
		.amdhsa_user_sgpr_kernarg_segment_ptr 1
		.amdhsa_user_sgpr_dispatch_id 0
		.amdhsa_user_sgpr_flat_scratch_init 0
		.amdhsa_user_sgpr_kernarg_preload_length 0
		.amdhsa_user_sgpr_kernarg_preload_offset 0
		.amdhsa_user_sgpr_private_segment_size 0
		.amdhsa_uses_dynamic_stack 0
		.amdhsa_system_sgpr_private_segment_wavefront_offset 0
		.amdhsa_system_sgpr_workgroup_id_x 1
		.amdhsa_system_sgpr_workgroup_id_y 0
		.amdhsa_system_sgpr_workgroup_id_z 0
		.amdhsa_system_sgpr_workgroup_info 0
		.amdhsa_system_vgpr_workitem_id 0
		.amdhsa_next_free_vgpr 20
		.amdhsa_next_free_sgpr 35
		.amdhsa_accum_offset 20
		.amdhsa_reserve_vcc 1
		.amdhsa_reserve_flat_scratch 0
		.amdhsa_float_round_mode_32 0
		.amdhsa_float_round_mode_16_64 0
		.amdhsa_float_denorm_mode_32 3
		.amdhsa_float_denorm_mode_16_64 3
		.amdhsa_dx10_clamp 1
		.amdhsa_ieee_mode 1
		.amdhsa_fp16_overflow 0
		.amdhsa_tg_split 0
		.amdhsa_exception_fp_ieee_invalid_op 0
		.amdhsa_exception_fp_denorm_src 0
		.amdhsa_exception_fp_ieee_div_zero 0
		.amdhsa_exception_fp_ieee_overflow 0
		.amdhsa_exception_fp_ieee_underflow 0
		.amdhsa_exception_fp_ieee_inexact 0
		.amdhsa_exception_int_div_zero 0
	.end_amdhsa_kernel
	.section	.text._ZN5aiter20topk_softplus_kernelI6__half12hip_bfloat16Dv2_fLb1ELi0EEEvPKT_PKT0_PfPimiiif,"axG",@progbits,_ZN5aiter20topk_softplus_kernelI6__half12hip_bfloat16Dv2_fLb1ELi0EEEvPKT_PKT0_PfPimiiif,comdat
.Lfunc_end201:
	.size	_ZN5aiter20topk_softplus_kernelI6__half12hip_bfloat16Dv2_fLb1ELi0EEEvPKT_PKT0_PfPimiiif, .Lfunc_end201-_ZN5aiter20topk_softplus_kernelI6__half12hip_bfloat16Dv2_fLb1ELi0EEEvPKT_PKT0_PfPimiiif
                                        ; -- End function
	.section	.AMDGPU.csdata,"",@progbits
; Kernel info:
; codeLenInByte = 1992
; NumSgprs: 39
; NumVgprs: 20
; NumAgprs: 0
; TotalNumVgprs: 20
; ScratchSize: 0
; MemoryBound: 0
; FloatMode: 240
; IeeeMode: 1
; LDSByteSize: 0 bytes/workgroup (compile time only)
; SGPRBlocks: 4
; VGPRBlocks: 2
; NumSGPRsForWavesPerEU: 39
; NumVGPRsForWavesPerEU: 20
; AccumOffset: 20
; Occupancy: 8
; WaveLimiterHint : 0
; COMPUTE_PGM_RSRC2:SCRATCH_EN: 0
; COMPUTE_PGM_RSRC2:USER_SGPR: 6
; COMPUTE_PGM_RSRC2:TRAP_HANDLER: 0
; COMPUTE_PGM_RSRC2:TGID_X_EN: 1
; COMPUTE_PGM_RSRC2:TGID_Y_EN: 0
; COMPUTE_PGM_RSRC2:TGID_Z_EN: 0
; COMPUTE_PGM_RSRC2:TIDIG_COMP_CNT: 0
; COMPUTE_PGM_RSRC3_GFX90A:ACCUM_OFFSET: 4
; COMPUTE_PGM_RSRC3_GFX90A:TG_SPLIT: 0
	.section	.text._ZN5aiter20topk_softplus_kernelI6__half12hip_bfloat16Dv2_fLb0ELi0EEEvPKT_PKT0_PfPimiiif,"axG",@progbits,_ZN5aiter20topk_softplus_kernelI6__half12hip_bfloat16Dv2_fLb0ELi0EEEvPKT_PKT0_PfPimiiif,comdat
	.protected	_ZN5aiter20topk_softplus_kernelI6__half12hip_bfloat16Dv2_fLb0ELi0EEEvPKT_PKT0_PfPimiiif ; -- Begin function _ZN5aiter20topk_softplus_kernelI6__half12hip_bfloat16Dv2_fLb0ELi0EEEvPKT_PKT0_PfPimiiif
	.globl	_ZN5aiter20topk_softplus_kernelI6__half12hip_bfloat16Dv2_fLb0ELi0EEEvPKT_PKT0_PfPimiiif
	.p2align	8
	.type	_ZN5aiter20topk_softplus_kernelI6__half12hip_bfloat16Dv2_fLb0ELi0EEEvPKT_PKT0_PfPimiiif,@function
_ZN5aiter20topk_softplus_kernelI6__half12hip_bfloat16Dv2_fLb0ELi0EEEvPKT_PKT0_PfPimiiif: ; @_ZN5aiter20topk_softplus_kernelI6__half12hip_bfloat16Dv2_fLb0ELi0EEEvPKT_PKT0_PfPimiiif
; %bb.0:
	s_load_dwordx2 s[20:21], s[4:5], 0x28
	s_load_dwordx8 s[12:19], s[4:5], 0x0
	v_lshl_add_u32 v6, v0, 3, 0
	s_waitcnt lgkmcnt(0)
	s_lshr_b32 s1, s20, 31
	s_mul_i32 s0, s6, s20
	s_add_i32 s1, s20, s1
	s_ashr_i32 s7, s1, 1
	s_ashr_i32 s1, s0, 31
	s_lshl_b64 s[0:1], s[0:1], 1
	s_add_u32 s24, s12, s0
	s_addc_u32 s25, s13, s1
	v_cmp_gt_i32_e64 s[0:1], s7, v0
	s_and_saveexec_b64 s[12:13], s[0:1]
	s_cbranch_execz .LBB202_7
; %bb.1:
	s_load_dword s8, s[4:5], 0x44
	s_cmp_lg_u64 s[14:15], 0
	s_cselect_b64 s[2:3], -1, 0
	v_cndmask_b32_e64 v4, 0, 1, s[2:3]
	s_mov_b64 s[22:23], 0
	s_waitcnt lgkmcnt(0)
	s_and_b32 s26, s8, 0xffff
	s_mov_b32 s8, 0
	v_lshlrev_b32_e32 v2, 2, v0
	v_mov_b32_e32 v1, 0
	s_lshl_b32 s27, s26, 2
	v_lshl_add_u32 v3, v0, 3, 0
	s_lshl_b32 s28, s26, 3
	v_mov_b32_e32 v7, s25
	s_movk_i32 s29, 0x4d00
	s_mov_b32 s30, 0x3fb8aa3b
	s_mov_b32 s31, 0xc2fc0000
	v_mov_b32_e32 v8, 0x42800000
	v_mov_b32_e32 v9, 0x1f800000
	s_mov_b32 s33, 0x800000
	v_mov_b32_e32 v10, 0x4f800000
	v_mov_b32_e32 v11, 0x42000000
	s_mov_b32 s34, 0xf800000
	v_mov_b32_e32 v12, 0x260
	v_cmp_ne_u32_e64 s[2:3], 1, v4
	v_mov_b32_e32 v13, s8
	v_mov_b32_e32 v14, v0
	s_branch .LBB202_3
.LBB202_2:                              ;   in Loop: Header=BB202_3 Depth=1
	v_add_co_u32_e32 v2, vcc, s27, v2
	v_add_u32_e32 v14, s26, v14
	v_addc_co_u32_e32 v1, vcc, v1, v13, vcc
	v_cmp_le_i32_e32 vcc, s7, v14
	ds_write_b64 v3, v[4:5]
	s_or_b64 s[22:23], vcc, s[22:23]
	v_add_u32_e32 v3, s28, v3
	s_andn2_b64 exec, exec, s[22:23]
	s_cbranch_execz .LBB202_7
.LBB202_3:                              ; =>This Inner Loop Header: Depth=1
	v_add_co_u32_e32 v4, vcc, s24, v2
	v_addc_co_u32_e32 v5, vcc, v7, v1, vcc
	global_load_dword v5, v[4:5], off
	s_waitcnt vmcnt(0)
	v_cvt_f32_f16_e32 v4, v5
	v_mul_f32_e32 v15, 0x3fb8aa3b, v4
	v_cmp_gt_f32_e32 vcc, s31, v15
	v_cndmask_b32_e32 v15, 0, v8, vcc
	v_fma_mix_f32 v15, v5, s30, v15 op_sel_hi:[1,0,0]
	v_exp_f32_e32 v15, v15
	v_cndmask_b32_e32 v16, 1.0, v9, vcc
	v_fma_f32 v15, v15, v16, 1.0
	v_cmp_gt_f32_e32 vcc, s33, v15
	v_cndmask_b32_e32 v16, 1.0, v10, vcc
	v_mul_f32_e32 v15, v15, v16
	v_log_f32_e32 v15, v15
	v_cndmask_b32_e32 v16, 0, v11, vcc
	v_cmp_lt_f16_e32 vcc, s29, v5
	v_sub_f32_e32 v15, v15, v16
	v_mul_f32_e32 v15, 0x3f317218, v15
	v_cndmask_b32_e32 v4, v15, v4, vcc
	v_mul_f32_e32 v15, 0x4f800000, v4
	v_cmp_gt_f32_e64 s[8:9], s34, v4
	v_cndmask_b32_e64 v4, v4, v15, s[8:9]
	v_sqrt_f32_e32 v15, v4
	s_and_b64 vcc, exec, s[2:3]
	v_add_u32_e32 v16, -1, v15
	v_add_u32_e32 v17, 1, v15
	v_fma_f32 v18, -v16, v15, v4
	v_fma_f32 v19, -v17, v15, v4
	v_cmp_ge_f32_e64 s[10:11], 0, v18
	v_cndmask_b32_e64 v15, v15, v16, s[10:11]
	v_cmp_lt_f32_e64 s[10:11], 0, v19
	v_cndmask_b32_e64 v15, v15, v17, s[10:11]
	v_mul_f32_e32 v16, 0x37800000, v15
	v_cndmask_b32_e64 v15, v15, v16, s[8:9]
	v_cmp_class_f32_e64 s[8:9], v4, v12
	v_cndmask_b32_e64 v4, v15, v4, s[8:9]
	s_cbranch_vccnz .LBB202_5
; %bb.4:                                ;   in Loop: Header=BB202_3 Depth=1
	v_mov_b32_e32 v15, s15
	v_add_co_u32_e32 v16, vcc, s14, v2
	v_addc_co_u32_e32 v17, vcc, v15, v1, vcc
	global_load_ushort v15, v[16:17], off
	s_waitcnt vmcnt(0)
	v_lshlrev_b32_e32 v15, 16, v15
	v_add_f32_e32 v4, v4, v15
.LBB202_5:                              ;   in Loop: Header=BB202_3 Depth=1
	v_cvt_f32_f16_sdwa v15, v5 dst_sel:DWORD dst_unused:UNUSED_PAD src0_sel:WORD_1
	v_mul_f32_e32 v16, 0x3fb8aa3b, v15
	v_cmp_gt_f32_e32 vcc, s31, v16
	v_cndmask_b32_e32 v17, 0, v8, vcc
	v_fma_mix_f32 v17, v5, s30, v17 op_sel:[1,0,0] op_sel_hi:[1,0,0]
	v_exp_f32_e32 v17, v17
	v_cndmask_b32_e32 v16, 1.0, v9, vcc
	v_fma_f32 v16, v17, v16, 1.0
	v_cmp_gt_f32_e32 vcc, s33, v16
	v_cndmask_b32_e32 v17, 1.0, v10, vcc
	v_mul_f32_e32 v16, v16, v17
	v_log_f32_e32 v16, v16
	v_cndmask_b32_e32 v17, 0, v11, vcc
	v_cmp_gt_f16_sdwa vcc, v5, s29 src0_sel:WORD_1 src1_sel:DWORD
	v_sub_f32_e32 v16, v16, v17
	v_mul_f32_e32 v16, 0x3f317218, v16
	v_cndmask_b32_e32 v5, v16, v15, vcc
	v_mul_f32_e32 v15, 0x4f800000, v5
	v_cmp_gt_f32_e64 s[8:9], s34, v5
	v_cndmask_b32_e64 v5, v5, v15, s[8:9]
	v_sqrt_f32_e32 v15, v5
	s_and_b64 vcc, exec, s[2:3]
	v_add_u32_e32 v16, -1, v15
	v_add_u32_e32 v17, 1, v15
	v_fma_f32 v18, -v16, v15, v5
	v_fma_f32 v19, -v17, v15, v5
	v_cmp_ge_f32_e64 s[10:11], 0, v18
	v_cndmask_b32_e64 v15, v15, v16, s[10:11]
	v_cmp_lt_f32_e64 s[10:11], 0, v19
	v_cndmask_b32_e64 v15, v15, v17, s[10:11]
	v_mul_f32_e32 v16, 0x37800000, v15
	v_cndmask_b32_e64 v15, v15, v16, s[8:9]
	v_cmp_class_f32_e64 s[8:9], v5, v12
	v_cndmask_b32_e64 v5, v15, v5, s[8:9]
	s_cbranch_vccnz .LBB202_2
; %bb.6:                                ;   in Loop: Header=BB202_3 Depth=1
	v_mov_b32_e32 v15, s15
	v_add_co_u32_e32 v16, vcc, s14, v2
	v_addc_co_u32_e32 v17, vcc, v15, v1, vcc
	global_load_ushort v15, v[16:17], off offset:2
	s_waitcnt vmcnt(0)
	v_lshlrev_b32_e32 v15, 16, v15
	v_add_f32_e32 v5, v5, v15
	s_branch .LBB202_2
.LBB202_7:
	s_or_b64 exec, exec, s[12:13]
	v_lshl_add_u32 v2, s7, 1, v0
	v_cmp_gt_i32_e32 vcc, s20, v2
	s_and_saveexec_b64 s[10:11], vcc
	s_cbranch_execz .LBB202_12
; %bb.8:
	s_load_dword s8, s[4:5], 0x44
	s_cmp_lg_u64 s[14:15], 0
	s_cselect_b64 s[2:3], -1, 0
	s_lshl_b32 s9, s7, 3
	v_cndmask_b32_e64 v3, 0, 1, s[2:3]
	s_waitcnt lgkmcnt(0)
	s_and_b32 s22, s8, 0xffff
	s_add_i32 s8, s9, 0
	s_mov_b64 s[12:13], 0
	v_lshl_add_u32 v1, v0, 2, s8
	s_lshl_b32 s23, s22, 2
	v_mov_b32_e32 v7, s25
	s_movk_i32 s25, 0x4d00
	s_mov_b32 s26, 0x3fb8aa3b
	s_mov_b32 s27, 0xc2fc0000
	v_mov_b32_e32 v8, 0x42800000
	v_mov_b32_e32 v9, 0x1f800000
	s_mov_b32 s28, 0x800000
	v_mov_b32_e32 v10, 0x4f800000
	v_mov_b32_e32 v11, 0x42000000
	s_mov_b32 s29, 0xf800000
	v_mov_b32_e32 v12, 0x260
	v_cmp_ne_u32_e64 s[2:3], 1, v3
	s_branch .LBB202_10
.LBB202_9:                              ;   in Loop: Header=BB202_10 Depth=1
	v_add_u32_e32 v2, s22, v2
	v_cmp_le_i32_e32 vcc, s20, v2
	s_or_b64 s[12:13], vcc, s[12:13]
	v_add_u32_e32 v1, s23, v1
	s_andn2_b64 exec, exec, s[12:13]
	s_cbranch_execz .LBB202_12
.LBB202_10:                             ; =>This Inner Loop Header: Depth=1
	v_ashrrev_i32_e32 v3, 31, v2
	v_lshlrev_b64 v[4:5], 1, v[2:3]
	v_add_co_u32_e32 v14, vcc, s24, v4
	v_addc_co_u32_e32 v15, vcc, v7, v5, vcc
	global_load_ushort v3, v[14:15], off
	s_waitcnt vmcnt(0)
	v_cvt_f32_f16_e32 v13, v3
	v_mul_f32_e32 v14, 0x3fb8aa3b, v13
	v_cmp_gt_f32_e32 vcc, s27, v14
	v_cndmask_b32_e32 v14, 0, v8, vcc
	v_fma_mix_f32 v14, v3, s26, v14 op_sel_hi:[1,0,0]
	v_exp_f32_e32 v14, v14
	v_cndmask_b32_e32 v15, 1.0, v9, vcc
	v_fma_f32 v14, v14, v15, 1.0
	v_cmp_gt_f32_e32 vcc, s28, v14
	v_cndmask_b32_e32 v15, 1.0, v10, vcc
	v_mul_f32_e32 v14, v14, v15
	v_log_f32_e32 v14, v14
	v_cndmask_b32_e32 v15, 0, v11, vcc
	v_cmp_lt_f16_e32 vcc, s25, v3
	v_sub_f32_e32 v14, v14, v15
	v_mul_f32_e32 v14, 0x3f317218, v14
	v_cndmask_b32_e32 v3, v14, v13, vcc
	v_mul_f32_e32 v13, 0x4f800000, v3
	v_cmp_gt_f32_e32 vcc, s29, v3
	v_cndmask_b32_e32 v3, v3, v13, vcc
	v_sqrt_f32_e32 v13, v3
	v_add_u32_e32 v14, -1, v13
	v_add_u32_e32 v15, 1, v13
	v_fma_f32 v16, -v14, v13, v3
	v_fma_f32 v17, -v15, v13, v3
	v_cmp_ge_f32_e64 s[8:9], 0, v16
	v_cndmask_b32_e64 v13, v13, v14, s[8:9]
	v_cmp_lt_f32_e64 s[8:9], 0, v17
	v_cndmask_b32_e64 v13, v13, v15, s[8:9]
	v_mul_f32_e32 v14, 0x37800000, v13
	v_cndmask_b32_e32 v13, v13, v14, vcc
	v_cmp_class_f32_e32 vcc, v3, v12
	v_cndmask_b32_e32 v3, v13, v3, vcc
	s_and_b64 vcc, exec, s[2:3]
	ds_write_b32 v1, v3
	s_cbranch_vccnz .LBB202_9
; %bb.11:                               ;   in Loop: Header=BB202_10 Depth=1
	v_mov_b32_e32 v13, s15
	v_add_co_u32_e32 v4, vcc, s14, v4
	v_addc_co_u32_e32 v5, vcc, v13, v5, vcc
	global_load_ushort v4, v[4:5], off
	s_waitcnt vmcnt(0)
	v_lshlrev_b32_e32 v4, 16, v4
	v_add_f32_e32 v3, v3, v4
	ds_write_b32 v1, v3
	s_branch .LBB202_9
.LBB202_12:
	s_or_b64 exec, exec, s[10:11]
	s_cmp_lt_i32 s21, 1
	s_waitcnt lgkmcnt(0)
	s_barrier
	s_cbranch_scc1 .LBB202_21
; %bb.13:
	s_add_u32 s2, s4, 56
	s_addc_u32 s3, s5, 0
	v_mbcnt_lo_u32_b32 v2, -1, 0
	s_cmp_lg_u64 s[14:15], 0
	v_mbcnt_hi_u32_b32 v2, -1, v2
	v_bfrev_b32_e32 v5, 0.5
	s_cselect_b64 s[8:9], -1, 0
	v_lshlrev_b32_e32 v3, 1, v0
	s_mov_b32 s20, 0
	v_mov_b32_e32 v1, 0
	v_mov_b32_e32 v4, 0
	v_lshl_or_b32 v5, v2, 2, v5
	v_mov_b32_e32 v7, 0xff800000
	v_mov_b32_e32 v2, 0
	s_branch .LBB202_15
.LBB202_14:                             ;   in Loop: Header=BB202_15 Depth=1
	s_lshl_b32 s11, s10, 2
	s_add_i32 s11, s11, 0
	v_mov_b32_e32 v8, s11
	ds_write_b32 v8, v7
	v_mov_b32_e32 v8, s10
	v_cmp_eq_u32_e32 vcc, s20, v0
	s_add_i32 s20, s20, 1
	v_cndmask_b32_e32 v1, v1, v8, vcc
	s_cmp_eq_u32 s20, s21
	v_cndmask_b32_e32 v2, v2, v10, vcc
	s_cbranch_scc1 .LBB202_22
.LBB202_15:                             ; =>This Loop Header: Depth=1
                                        ;     Child Loop BB202_17 Depth 2
	v_mov_b32_e32 v8, s20
	v_mov_b32_e32 v9, 0xff800000
	s_and_saveexec_b64 s[10:11], s[0:1]
	s_cbranch_execz .LBB202_19
; %bb.16:                               ;   in Loop: Header=BB202_15 Depth=1
	s_load_dword s22, s[2:3], 0xc
	s_mov_b64 s[12:13], 0
	v_mov_b32_e32 v8, s20
	v_mov_b32_e32 v9, 0xff800000
	;; [unrolled: 1-line block ×3, first 2 shown]
	s_waitcnt lgkmcnt(0)
	s_and_b32 s22, s22, 0xffff
	s_lshl_b32 s23, s22, 1
	s_lshl_b32 s24, s22, 3
	v_mov_b32_e32 v11, v3
	v_mov_b32_e32 v12, v0
.LBB202_17:                             ;   Parent Loop BB202_15 Depth=1
                                        ; =>  This Inner Loop Header: Depth=2
	ds_read_b64 v[14:15], v10
	v_add_u32_e32 v12, s22, v12
	v_cmp_le_i32_e32 vcc, s7, v12
	s_or_b64 s[12:13], vcc, s[12:13]
	v_add_u32_e32 v13, 1, v11
	s_waitcnt lgkmcnt(0)
	v_cmp_gt_f32_e32 vcc, v14, v9
	v_cndmask_b32_e32 v9, v9, v14, vcc
	v_cndmask_b32_e32 v8, v8, v11, vcc
	v_cmp_gt_f32_e32 vcc, v15, v9
	v_add_u32_e32 v10, s24, v10
	v_cndmask_b32_e32 v9, v9, v15, vcc
	v_add_u32_e32 v11, s23, v11
	v_cndmask_b32_e32 v8, v8, v13, vcc
	s_andn2_b64 exec, exec, s[12:13]
	s_cbranch_execnz .LBB202_17
; %bb.18:                               ;   in Loop: Header=BB202_15 Depth=1
	s_or_b64 exec, exec, s[12:13]
.LBB202_19:                             ;   in Loop: Header=BB202_15 Depth=1
	s_or_b64 exec, exec, s[10:11]
	;;#ASMSTART
	v_max_f32 v10, v9, v9 quad_perm:[1,0,3,2] row_mask:0xf bank_mask:0xf bound_ctrl:1
	;;#ASMEND
	;;#ASMSTART
	v_max_f32 v11, v10, v10 quad_perm:[2,3,0,1] row_mask:0xf bank_mask:0xf bound_ctrl:1
	;;#ASMEND
	;;#ASMSTART
	v_max_f32 v10, v11, v11 row_half_mirror row_mask:0xf bank_mask:0xf bound_ctrl:1
	;;#ASMEND
	;;#ASMSTART
	v_max_f32 v11, v10, v10 row_mirror row_mask:0xf bank_mask:0xf bound_ctrl:1
	;;#ASMEND
	;;#ASMSTART
	v_max_f32 v10, v11, v11 row_ror:4 row_mask:0xf bank_mask:0xf bound_ctrl:1
	;;#ASMEND
	;;#ASMSTART
	v_max_f32 v11, v10, v10 row_ror:8 row_mask:0xf bank_mask:0xf bound_ctrl:1
	;;#ASMEND
	;;#ASMSTART
	v_max_f32 v10, v11, v11 row_bcast:15 row_mask:0xf bank_mask:0xf bound_ctrl:1
	;;#ASMEND
	;;#ASMSTART
	v_max_f32 v11, v10, v10 row_bcast:31 row_mask:0xf bank_mask:0xf bound_ctrl:1
	;;#ASMEND
	ds_bpermute_b32 v10, v5, v11
	s_waitcnt lgkmcnt(0)
	v_cmp_eq_f32_e32 vcc, v9, v10
	s_ff1_i32_b64 s10, vcc
	s_cmp_lg_u64 vcc, 0
	s_cselect_b32 s10, s10, 0
	s_and_b64 vcc, exec, s[8:9]
	v_readlane_b32 s10, v8, s10
	s_cbranch_vccz .LBB202_14
; %bb.20:                               ;   in Loop: Header=BB202_15 Depth=1
	s_ashr_i32 s11, s10, 31
	s_lshl_b64 s[12:13], s[10:11], 1
	s_add_u32 s12, s14, s12
	s_addc_u32 s13, s15, s13
	global_load_ushort v8, v4, s[12:13]
	s_waitcnt vmcnt(0)
	v_lshlrev_b32_e32 v8, 16, v8
	v_sub_f32_e32 v10, v10, v8
	s_branch .LBB202_14
.LBB202_21:
	v_mov_b32_e32 v2, 0
	v_mov_b32_e32 v1, 0
.LBB202_22:
	v_cmp_gt_i32_e32 vcc, s21, v0
	s_and_saveexec_b64 s[0:1], vcc
	s_cbranch_execz .LBB202_25
; %bb.23:
	s_load_dword s2, s[4:5], 0x34
	s_load_dwordx2 s[0:1], s[4:5], 0x20
	s_ashr_i32 s3, s6, 31
	s_load_dword s4, s[4:5], 0x44
	v_mov_b32_e32 v4, s17
	s_waitcnt lgkmcnt(0)
	v_mul_f32_e32 v2, s2, v2
	s_mul_i32 s1, s6, s1
	s_mul_hi_u32 s2, s6, s0
	s_add_i32 s1, s2, s1
	s_mul_i32 s3, s3, s0
	s_add_i32 s5, s1, s3
	s_mul_i32 s2, s6, s0
	s_and_b32 s3, s4, 0xffff
	s_mov_b64 s[0:1], 0
	v_mov_b32_e32 v3, s5
	v_mov_b32_e32 v5, s19
.LBB202_24:                             ; =>This Inner Loop Header: Depth=1
	v_ashrrev_i32_e32 v7, 31, v0
	v_add_co_u32_e32 v6, vcc, s2, v0
	v_addc_co_u32_e32 v7, vcc, v3, v7, vcc
	v_add_u32_e32 v0, s3, v0
	v_cmp_le_i32_e32 vcc, s21, v0
	v_lshlrev_b64 v[6:7], 2, v[6:7]
	s_or_b64 s[0:1], vcc, s[0:1]
	v_add_co_u32_e32 v8, vcc, s16, v6
	v_addc_co_u32_e32 v9, vcc, v4, v7, vcc
	v_add_co_u32_e32 v6, vcc, s18, v6
	v_addc_co_u32_e32 v7, vcc, v5, v7, vcc
	global_store_dword v[8:9], v2, off
	global_store_dword v[6:7], v1, off
	s_andn2_b64 exec, exec, s[0:1]
	s_cbranch_execnz .LBB202_24
.LBB202_25:
	s_endpgm
	.section	.rodata,"a",@progbits
	.p2align	6, 0x0
	.amdhsa_kernel _ZN5aiter20topk_softplus_kernelI6__half12hip_bfloat16Dv2_fLb0ELi0EEEvPKT_PKT0_PfPimiiif
		.amdhsa_group_segment_fixed_size 0
		.amdhsa_private_segment_fixed_size 0
		.amdhsa_kernarg_size 312
		.amdhsa_user_sgpr_count 6
		.amdhsa_user_sgpr_private_segment_buffer 1
		.amdhsa_user_sgpr_dispatch_ptr 0
		.amdhsa_user_sgpr_queue_ptr 0
		.amdhsa_user_sgpr_kernarg_segment_ptr 1
		.amdhsa_user_sgpr_dispatch_id 0
		.amdhsa_user_sgpr_flat_scratch_init 0
		.amdhsa_user_sgpr_kernarg_preload_length 0
		.amdhsa_user_sgpr_kernarg_preload_offset 0
		.amdhsa_user_sgpr_private_segment_size 0
		.amdhsa_uses_dynamic_stack 0
		.amdhsa_system_sgpr_private_segment_wavefront_offset 0
		.amdhsa_system_sgpr_workgroup_id_x 1
		.amdhsa_system_sgpr_workgroup_id_y 0
		.amdhsa_system_sgpr_workgroup_id_z 0
		.amdhsa_system_sgpr_workgroup_info 0
		.amdhsa_system_vgpr_workitem_id 0
		.amdhsa_next_free_vgpr 20
		.amdhsa_next_free_sgpr 35
		.amdhsa_accum_offset 20
		.amdhsa_reserve_vcc 1
		.amdhsa_reserve_flat_scratch 0
		.amdhsa_float_round_mode_32 0
		.amdhsa_float_round_mode_16_64 0
		.amdhsa_float_denorm_mode_32 3
		.amdhsa_float_denorm_mode_16_64 3
		.amdhsa_dx10_clamp 1
		.amdhsa_ieee_mode 1
		.amdhsa_fp16_overflow 0
		.amdhsa_tg_split 0
		.amdhsa_exception_fp_ieee_invalid_op 0
		.amdhsa_exception_fp_denorm_src 0
		.amdhsa_exception_fp_ieee_div_zero 0
		.amdhsa_exception_fp_ieee_overflow 0
		.amdhsa_exception_fp_ieee_underflow 0
		.amdhsa_exception_fp_ieee_inexact 0
		.amdhsa_exception_int_div_zero 0
	.end_amdhsa_kernel
	.section	.text._ZN5aiter20topk_softplus_kernelI6__half12hip_bfloat16Dv2_fLb0ELi0EEEvPKT_PKT0_PfPimiiif,"axG",@progbits,_ZN5aiter20topk_softplus_kernelI6__half12hip_bfloat16Dv2_fLb0ELi0EEEvPKT_PKT0_PfPimiiif,comdat
.Lfunc_end202:
	.size	_ZN5aiter20topk_softplus_kernelI6__half12hip_bfloat16Dv2_fLb0ELi0EEEvPKT_PKT0_PfPimiiif, .Lfunc_end202-_ZN5aiter20topk_softplus_kernelI6__half12hip_bfloat16Dv2_fLb0ELi0EEEvPKT_PKT0_PfPimiiif
                                        ; -- End function
	.section	.AMDGPU.csdata,"",@progbits
; Kernel info:
; codeLenInByte = 1892
; NumSgprs: 39
; NumVgprs: 20
; NumAgprs: 0
; TotalNumVgprs: 20
; ScratchSize: 0
; MemoryBound: 0
; FloatMode: 240
; IeeeMode: 1
; LDSByteSize: 0 bytes/workgroup (compile time only)
; SGPRBlocks: 4
; VGPRBlocks: 2
; NumSGPRsForWavesPerEU: 39
; NumVGPRsForWavesPerEU: 20
; AccumOffset: 20
; Occupancy: 8
; WaveLimiterHint : 0
; COMPUTE_PGM_RSRC2:SCRATCH_EN: 0
; COMPUTE_PGM_RSRC2:USER_SGPR: 6
; COMPUTE_PGM_RSRC2:TRAP_HANDLER: 0
; COMPUTE_PGM_RSRC2:TGID_X_EN: 1
; COMPUTE_PGM_RSRC2:TGID_Y_EN: 0
; COMPUTE_PGM_RSRC2:TGID_Z_EN: 0
; COMPUTE_PGM_RSRC2:TIDIG_COMP_CNT: 0
; COMPUTE_PGM_RSRC3_GFX90A:ACCUM_OFFSET: 4
; COMPUTE_PGM_RSRC3_GFX90A:TG_SPLIT: 0
	.section	.text._ZN5aiter20topk_softplus_kernelI6__half12hip_bfloat16Dv1_fLb1ELi0EEEvPKT_PKT0_PfPimiiif,"axG",@progbits,_ZN5aiter20topk_softplus_kernelI6__half12hip_bfloat16Dv1_fLb1ELi0EEEvPKT_PKT0_PfPimiiif,comdat
	.protected	_ZN5aiter20topk_softplus_kernelI6__half12hip_bfloat16Dv1_fLb1ELi0EEEvPKT_PKT0_PfPimiiif ; -- Begin function _ZN5aiter20topk_softplus_kernelI6__half12hip_bfloat16Dv1_fLb1ELi0EEEvPKT_PKT0_PfPimiiif
	.globl	_ZN5aiter20topk_softplus_kernelI6__half12hip_bfloat16Dv1_fLb1ELi0EEEvPKT_PKT0_PfPimiiif
	.p2align	8
	.type	_ZN5aiter20topk_softplus_kernelI6__half12hip_bfloat16Dv1_fLb1ELi0EEEvPKT_PKT0_PfPimiiif,@function
_ZN5aiter20topk_softplus_kernelI6__half12hip_bfloat16Dv1_fLb1ELi0EEEvPKT_PKT0_PfPimiiif: ; @_ZN5aiter20topk_softplus_kernelI6__half12hip_bfloat16Dv1_fLb1ELi0EEEvPKT_PKT0_PfPimiiif
; %bb.0:
	s_load_dwordx2 s[20:21], s[4:5], 0x28
	s_load_dwordx8 s[12:19], s[4:5], 0x0
	v_lshl_add_u32 v1, v0, 2, 0
	s_waitcnt lgkmcnt(0)
	s_mul_i32 s2, s6, s20
	s_ashr_i32 s3, s2, 31
	s_lshl_b64 s[2:3], s[2:3], 1
	s_add_u32 s7, s12, s2
	v_cmp_gt_i32_e64 s[0:1], s20, v0
	s_addc_u32 s24, s13, s3
	s_and_saveexec_b64 s[12:13], s[0:1]
	s_cbranch_execz .LBB203_5
; %bb.1:
	s_load_dword s8, s[4:5], 0x44
	s_cmp_lg_u64 s[14:15], 0
	s_cselect_b64 s[2:3], -1, 0
	v_cndmask_b32_e64 v2, 0, 1, s[2:3]
	s_mov_b64 s[22:23], 0
	s_waitcnt lgkmcnt(0)
	s_and_b32 s25, s8, 0xffff
	v_lshl_add_u32 v6, v0, 2, 0
	s_lshl_b32 s26, s25, 2
	v_mov_b32_e32 v7, s24
	s_movk_i32 s27, 0x4d00
	s_mov_b32 s28, 0x3fb8aa3b
	s_mov_b32 s29, 0xc2fc0000
	v_mov_b32_e32 v8, 0x42800000
	v_mov_b32_e32 v9, 0x1f800000
	s_mov_b32 s30, 0x800000
	v_mov_b32_e32 v10, 0x4f800000
	v_mov_b32_e32 v11, 0x42000000
	s_mov_b32 s31, 0xf800000
	v_mov_b32_e32 v12, 0x260
	v_cmp_ne_u32_e64 s[2:3], 1, v2
	v_mov_b32_e32 v2, v0
	s_branch .LBB203_3
.LBB203_2:                              ;   in Loop: Header=BB203_3 Depth=1
	v_add_u32_e32 v2, s25, v2
	v_cmp_le_i32_e32 vcc, s20, v2
	ds_write_b32 v6, v3
	s_or_b64 s[22:23], vcc, s[22:23]
	v_add_u32_e32 v6, s26, v6
	s_andn2_b64 exec, exec, s[22:23]
	s_cbranch_execz .LBB203_5
.LBB203_3:                              ; =>This Inner Loop Header: Depth=1
	v_ashrrev_i32_e32 v3, 31, v2
	v_lshlrev_b64 v[4:5], 1, v[2:3]
	v_add_co_u32_e32 v14, vcc, s7, v4
	v_addc_co_u32_e32 v15, vcc, v7, v5, vcc
	global_load_ushort v3, v[14:15], off
	s_waitcnt vmcnt(0)
	v_cvt_f32_f16_e32 v13, v3
	v_mul_f32_e32 v14, 0x3fb8aa3b, v13
	v_cmp_gt_f32_e32 vcc, s29, v14
	v_cndmask_b32_e32 v14, 0, v8, vcc
	v_fma_mix_f32 v14, v3, s28, v14 op_sel_hi:[1,0,0]
	v_exp_f32_e32 v14, v14
	v_cndmask_b32_e32 v15, 1.0, v9, vcc
	v_fma_f32 v14, v14, v15, 1.0
	v_cmp_gt_f32_e32 vcc, s30, v14
	v_cndmask_b32_e32 v15, 1.0, v10, vcc
	v_mul_f32_e32 v14, v14, v15
	v_log_f32_e32 v14, v14
	v_cndmask_b32_e32 v15, 0, v11, vcc
	v_cmp_lt_f16_e32 vcc, s27, v3
	v_sub_f32_e32 v14, v14, v15
	v_mul_f32_e32 v14, 0x3f317218, v14
	v_cndmask_b32_e32 v3, v14, v13, vcc
	v_mul_f32_e32 v13, 0x4f800000, v3
	v_cmp_gt_f32_e64 s[8:9], s31, v3
	v_cndmask_b32_e64 v3, v3, v13, s[8:9]
	v_sqrt_f32_e32 v13, v3
	s_and_b64 vcc, exec, s[2:3]
	v_add_u32_e32 v14, -1, v13
	v_add_u32_e32 v15, 1, v13
	v_fma_f32 v16, -v14, v13, v3
	v_fma_f32 v17, -v15, v13, v3
	v_cmp_ge_f32_e64 s[10:11], 0, v16
	v_cndmask_b32_e64 v13, v13, v14, s[10:11]
	v_cmp_lt_f32_e64 s[10:11], 0, v17
	v_cndmask_b32_e64 v13, v13, v15, s[10:11]
	v_mul_f32_e32 v14, 0x37800000, v13
	v_cndmask_b32_e64 v13, v13, v14, s[8:9]
	v_cmp_class_f32_e64 s[8:9], v3, v12
	v_cndmask_b32_e64 v3, v13, v3, s[8:9]
	s_cbranch_vccnz .LBB203_2
; %bb.4:                                ;   in Loop: Header=BB203_3 Depth=1
	v_mov_b32_e32 v13, s15
	v_add_co_u32_e32 v4, vcc, s14, v4
	v_addc_co_u32_e32 v5, vcc, v13, v5, vcc
	global_load_ushort v4, v[4:5], off
	s_waitcnt vmcnt(0)
	v_lshlrev_b32_e32 v4, 16, v4
	v_add_f32_e32 v3, v3, v4
	s_branch .LBB203_2
.LBB203_5:
	s_or_b64 exec, exec, s[12:13]
	v_add_u32_e32 v2, s20, v0
	v_cmp_gt_i32_e32 vcc, s20, v2
	s_and_saveexec_b64 s[10:11], vcc
	s_cbranch_execz .LBB203_10
; %bb.6:
	s_load_dword s8, s[4:5], 0x44
	s_cmp_lg_u64 s[14:15], 0
	s_cselect_b64 s[2:3], -1, 0
	v_cndmask_b32_e64 v3, 0, 1, s[2:3]
	s_mov_b64 s[12:13], 0
	s_waitcnt lgkmcnt(0)
	s_and_b32 s22, s8, 0xffff
	v_lshl_add_u32 v6, v2, 2, 0
	s_lshl_b32 s23, s22, 2
	v_mov_b32_e32 v7, s24
	s_movk_i32 s24, 0x4d00
	s_mov_b32 s25, 0x3fb8aa3b
	s_mov_b32 s26, 0xc2fc0000
	v_mov_b32_e32 v8, 0x42800000
	v_mov_b32_e32 v9, 0x1f800000
	s_mov_b32 s27, 0x800000
	v_mov_b32_e32 v10, 0x4f800000
	v_mov_b32_e32 v11, 0x42000000
	s_mov_b32 s28, 0xf800000
	v_mov_b32_e32 v12, 0x260
	v_cmp_ne_u32_e64 s[2:3], 1, v3
	s_branch .LBB203_8
.LBB203_7:                              ;   in Loop: Header=BB203_8 Depth=1
	v_add_u32_e32 v2, s22, v2
	v_cmp_le_i32_e32 vcc, s20, v2
	s_or_b64 s[12:13], vcc, s[12:13]
	v_add_u32_e32 v6, s23, v6
	s_andn2_b64 exec, exec, s[12:13]
	s_cbranch_execz .LBB203_10
.LBB203_8:                              ; =>This Inner Loop Header: Depth=1
	v_ashrrev_i32_e32 v3, 31, v2
	v_lshlrev_b64 v[4:5], 1, v[2:3]
	v_add_co_u32_e32 v14, vcc, s7, v4
	v_addc_co_u32_e32 v15, vcc, v7, v5, vcc
	global_load_ushort v3, v[14:15], off
	s_waitcnt vmcnt(0)
	v_cvt_f32_f16_e32 v13, v3
	v_mul_f32_e32 v14, 0x3fb8aa3b, v13
	v_cmp_gt_f32_e32 vcc, s26, v14
	v_cndmask_b32_e32 v14, 0, v8, vcc
	v_fma_mix_f32 v14, v3, s25, v14 op_sel_hi:[1,0,0]
	v_exp_f32_e32 v14, v14
	v_cndmask_b32_e32 v15, 1.0, v9, vcc
	v_fma_f32 v14, v14, v15, 1.0
	v_cmp_gt_f32_e32 vcc, s27, v14
	v_cndmask_b32_e32 v15, 1.0, v10, vcc
	v_mul_f32_e32 v14, v14, v15
	v_log_f32_e32 v14, v14
	v_cndmask_b32_e32 v15, 0, v11, vcc
	v_cmp_lt_f16_e32 vcc, s24, v3
	v_sub_f32_e32 v14, v14, v15
	v_mul_f32_e32 v14, 0x3f317218, v14
	v_cndmask_b32_e32 v3, v14, v13, vcc
	v_mul_f32_e32 v13, 0x4f800000, v3
	v_cmp_gt_f32_e32 vcc, s28, v3
	v_cndmask_b32_e32 v3, v3, v13, vcc
	v_sqrt_f32_e32 v13, v3
	v_add_u32_e32 v14, -1, v13
	v_add_u32_e32 v15, 1, v13
	v_fma_f32 v16, -v14, v13, v3
	v_fma_f32 v17, -v15, v13, v3
	v_cmp_ge_f32_e64 s[8:9], 0, v16
	v_cndmask_b32_e64 v13, v13, v14, s[8:9]
	v_cmp_lt_f32_e64 s[8:9], 0, v17
	v_cndmask_b32_e64 v13, v13, v15, s[8:9]
	v_mul_f32_e32 v14, 0x37800000, v13
	v_cndmask_b32_e32 v13, v13, v14, vcc
	v_cmp_class_f32_e32 vcc, v3, v12
	v_cndmask_b32_e32 v3, v13, v3, vcc
	s_and_b64 vcc, exec, s[2:3]
	ds_write_b32 v6, v3
	s_cbranch_vccnz .LBB203_7
; %bb.9:                                ;   in Loop: Header=BB203_8 Depth=1
	v_mov_b32_e32 v13, s15
	v_add_co_u32_e32 v4, vcc, s14, v4
	v_addc_co_u32_e32 v5, vcc, v13, v5, vcc
	global_load_ushort v4, v[4:5], off
	s_waitcnt vmcnt(0)
	v_lshlrev_b32_e32 v4, 16, v4
	v_add_f32_e32 v3, v3, v4
	ds_write_b32 v6, v3
	s_branch .LBB203_7
.LBB203_10:
	s_or_b64 exec, exec, s[10:11]
	s_cmp_lt_i32 s21, 1
	v_mov_b32_e32 v3, 0
	s_waitcnt lgkmcnt(0)
	s_barrier
	s_cbranch_scc1 .LBB203_19
; %bb.11:
	s_add_u32 s2, s4, 56
	s_addc_u32 s3, s5, 0
	v_mbcnt_lo_u32_b32 v2, -1, 0
	s_cmp_lg_u64 s[14:15], 0
	v_mbcnt_hi_u32_b32 v2, -1, v2
	v_bfrev_b32_e32 v4, 0.5
	s_cselect_b64 s[8:9], -1, 0
	s_mov_b32 s7, 0
	v_mov_b32_e32 v3, 0
	v_lshl_or_b32 v5, v2, 2, v4
	v_mov_b32_e32 v6, 0
	v_mov_b32_e32 v7, 0xff800000
	;; [unrolled: 1-line block ×4, first 2 shown]
	s_branch .LBB203_13
.LBB203_12:                             ;   in Loop: Header=BB203_13 Depth=1
	s_lshl_b32 s11, s10, 2
	s_add_i32 s11, s11, 0
	v_mov_b32_e32 v8, s11
	ds_write_b32 v8, v7
	v_mov_b32_e32 v8, s10
	v_cmp_eq_u32_e32 vcc, s7, v0
	s_add_i32 s7, s7, 1
	v_cndmask_b32_e32 v2, v2, v8, vcc
	v_cndmask_b32_e32 v3, v3, v10, vcc
	s_cmp_eq_u32 s7, s21
	v_add_f32_e32 v4, v4, v10
	s_cbranch_scc1 .LBB203_20
.LBB203_13:                             ; =>This Loop Header: Depth=1
                                        ;     Child Loop BB203_15 Depth 2
	v_mov_b32_e32 v8, s7
	v_mov_b32_e32 v9, 0xff800000
	s_and_saveexec_b64 s[10:11], s[0:1]
	s_cbranch_execz .LBB203_17
; %bb.14:                               ;   in Loop: Header=BB203_13 Depth=1
	s_load_dword s22, s[2:3], 0xc
	s_mov_b64 s[12:13], 0
	v_mov_b32_e32 v8, s7
	v_mov_b32_e32 v9, 0xff800000
	;; [unrolled: 1-line block ×3, first 2 shown]
	s_waitcnt lgkmcnt(0)
	s_and_b32 s22, s22, 0xffff
	s_lshl_b32 s23, s22, 2
	v_mov_b32_e32 v11, v0
.LBB203_15:                             ;   Parent Loop BB203_13 Depth=1
                                        ; =>  This Inner Loop Header: Depth=2
	ds_read_b32 v12, v10
	v_add_u32_e32 v10, s23, v10
	s_waitcnt lgkmcnt(0)
	v_cmp_gt_f32_e32 vcc, v12, v9
	v_cndmask_b32_e32 v8, v8, v11, vcc
	v_add_u32_e32 v11, s22, v11
	v_cndmask_b32_e32 v9, v9, v12, vcc
	v_cmp_le_i32_e32 vcc, s20, v11
	s_or_b64 s[12:13], vcc, s[12:13]
	s_andn2_b64 exec, exec, s[12:13]
	s_cbranch_execnz .LBB203_15
; %bb.16:                               ;   in Loop: Header=BB203_13 Depth=1
	s_or_b64 exec, exec, s[12:13]
.LBB203_17:                             ;   in Loop: Header=BB203_13 Depth=1
	s_or_b64 exec, exec, s[10:11]
	;;#ASMSTART
	v_max_f32 v10, v9, v9 quad_perm:[1,0,3,2] row_mask:0xf bank_mask:0xf bound_ctrl:1
	;;#ASMEND
	;;#ASMSTART
	v_max_f32 v11, v10, v10 quad_perm:[2,3,0,1] row_mask:0xf bank_mask:0xf bound_ctrl:1
	;;#ASMEND
	;;#ASMSTART
	v_max_f32 v10, v11, v11 row_half_mirror row_mask:0xf bank_mask:0xf bound_ctrl:1
	;;#ASMEND
	;;#ASMSTART
	v_max_f32 v11, v10, v10 row_mirror row_mask:0xf bank_mask:0xf bound_ctrl:1
	;;#ASMEND
	;;#ASMSTART
	v_max_f32 v10, v11, v11 row_ror:4 row_mask:0xf bank_mask:0xf bound_ctrl:1
	;;#ASMEND
	;;#ASMSTART
	v_max_f32 v11, v10, v10 row_ror:8 row_mask:0xf bank_mask:0xf bound_ctrl:1
	;;#ASMEND
	;;#ASMSTART
	v_max_f32 v10, v11, v11 row_bcast:15 row_mask:0xf bank_mask:0xf bound_ctrl:1
	;;#ASMEND
	;;#ASMSTART
	v_max_f32 v11, v10, v10 row_bcast:31 row_mask:0xf bank_mask:0xf bound_ctrl:1
	;;#ASMEND
	ds_bpermute_b32 v10, v5, v11
	s_waitcnt lgkmcnt(0)
	v_cmp_eq_f32_e32 vcc, v9, v10
	s_ff1_i32_b64 s10, vcc
	s_cmp_lg_u64 vcc, 0
	s_cselect_b32 s10, s10, 0
	s_and_b64 vcc, exec, s[8:9]
	v_readlane_b32 s10, v8, s10
	s_cbranch_vccz .LBB203_12
; %bb.18:                               ;   in Loop: Header=BB203_13 Depth=1
	s_ashr_i32 s11, s10, 31
	s_lshl_b64 s[12:13], s[10:11], 1
	s_add_u32 s12, s14, s12
	s_addc_u32 s13, s15, s13
	global_load_ushort v8, v6, s[12:13]
	s_waitcnt vmcnt(0)
	v_lshlrev_b32_e32 v8, 16, v8
	v_sub_f32_e32 v10, v10, v8
	s_branch .LBB203_12
.LBB203_19:
	v_mov_b32_e32 v2, 0
	v_mov_b32_e32 v4, 0
.LBB203_20:
	v_cmp_gt_i32_e32 vcc, s21, v0
	s_and_saveexec_b64 s[0:1], vcc
	s_cbranch_execz .LBB203_23
; %bb.21:
	s_load_dword s2, s[4:5], 0x34
	v_max_f32_e32 v1, v4, v4
	v_max_f32_e32 v1, 0x1e3ce508, v1
	s_load_dword s3, s[4:5], 0x44
	s_waitcnt lgkmcnt(0)
	v_div_scale_f32 v4, s[0:1], v1, v1, s2
	s_load_dwordx2 s[0:1], s[4:5], 0x20
	v_rcp_f32_e32 v5, v4
	v_div_scale_f32 v6, vcc, s2, v1, s2
	s_and_b32 s3, s3, 0xffff
	v_fma_f32 v7, -v4, v5, 1.0
	v_fmac_f32_e32 v5, v7, v5
	v_mul_f32_e32 v7, v6, v5
	v_fma_f32 v8, -v4, v7, v6
	v_fmac_f32_e32 v7, v8, v5
	v_fma_f32 v4, -v4, v7, v6
	v_div_fmas_f32 v4, v4, v5, v7
	v_div_fixup_f32 v1, v4, v1, s2
	s_ashr_i32 s2, s6, 31
	s_waitcnt lgkmcnt(0)
	s_mul_i32 s1, s6, s1
	s_mul_hi_u32 s4, s6, s0
	s_add_i32 s1, s4, s1
	s_mul_i32 s2, s2, s0
	s_add_i32 s4, s1, s2
	v_mul_f32_e32 v1, v3, v1
	s_mul_i32 s2, s6, s0
	s_mov_b64 s[0:1], 0
	v_mov_b32_e32 v3, s4
	v_mov_b32_e32 v4, s17
	v_mov_b32_e32 v5, s19
.LBB203_22:                             ; =>This Inner Loop Header: Depth=1
	v_ashrrev_i32_e32 v7, 31, v0
	v_add_co_u32_e32 v6, vcc, s2, v0
	v_addc_co_u32_e32 v7, vcc, v3, v7, vcc
	v_add_u32_e32 v0, s3, v0
	v_cmp_le_i32_e32 vcc, s21, v0
	v_lshlrev_b64 v[6:7], 2, v[6:7]
	s_or_b64 s[0:1], vcc, s[0:1]
	v_add_co_u32_e32 v8, vcc, s16, v6
	v_addc_co_u32_e32 v9, vcc, v4, v7, vcc
	v_add_co_u32_e32 v6, vcc, s18, v6
	v_addc_co_u32_e32 v7, vcc, v5, v7, vcc
	global_store_dword v[8:9], v1, off
	global_store_dword v[6:7], v2, off
	s_andn2_b64 exec, exec, s[0:1]
	s_cbranch_execnz .LBB203_22
.LBB203_23:
	s_endpgm
	.section	.rodata,"a",@progbits
	.p2align	6, 0x0
	.amdhsa_kernel _ZN5aiter20topk_softplus_kernelI6__half12hip_bfloat16Dv1_fLb1ELi0EEEvPKT_PKT0_PfPimiiif
		.amdhsa_group_segment_fixed_size 0
		.amdhsa_private_segment_fixed_size 0
		.amdhsa_kernarg_size 312
		.amdhsa_user_sgpr_count 6
		.amdhsa_user_sgpr_private_segment_buffer 1
		.amdhsa_user_sgpr_dispatch_ptr 0
		.amdhsa_user_sgpr_queue_ptr 0
		.amdhsa_user_sgpr_kernarg_segment_ptr 1
		.amdhsa_user_sgpr_dispatch_id 0
		.amdhsa_user_sgpr_flat_scratch_init 0
		.amdhsa_user_sgpr_kernarg_preload_length 0
		.amdhsa_user_sgpr_kernarg_preload_offset 0
		.amdhsa_user_sgpr_private_segment_size 0
		.amdhsa_uses_dynamic_stack 0
		.amdhsa_system_sgpr_private_segment_wavefront_offset 0
		.amdhsa_system_sgpr_workgroup_id_x 1
		.amdhsa_system_sgpr_workgroup_id_y 0
		.amdhsa_system_sgpr_workgroup_id_z 0
		.amdhsa_system_sgpr_workgroup_info 0
		.amdhsa_system_vgpr_workitem_id 0
		.amdhsa_next_free_vgpr 18
		.amdhsa_next_free_sgpr 32
		.amdhsa_accum_offset 20
		.amdhsa_reserve_vcc 1
		.amdhsa_reserve_flat_scratch 0
		.amdhsa_float_round_mode_32 0
		.amdhsa_float_round_mode_16_64 0
		.amdhsa_float_denorm_mode_32 3
		.amdhsa_float_denorm_mode_16_64 3
		.amdhsa_dx10_clamp 1
		.amdhsa_ieee_mode 1
		.amdhsa_fp16_overflow 0
		.amdhsa_tg_split 0
		.amdhsa_exception_fp_ieee_invalid_op 0
		.amdhsa_exception_fp_denorm_src 0
		.amdhsa_exception_fp_ieee_div_zero 0
		.amdhsa_exception_fp_ieee_overflow 0
		.amdhsa_exception_fp_ieee_underflow 0
		.amdhsa_exception_fp_ieee_inexact 0
		.amdhsa_exception_int_div_zero 0
	.end_amdhsa_kernel
	.section	.text._ZN5aiter20topk_softplus_kernelI6__half12hip_bfloat16Dv1_fLb1ELi0EEEvPKT_PKT0_PfPimiiif,"axG",@progbits,_ZN5aiter20topk_softplus_kernelI6__half12hip_bfloat16Dv1_fLb1ELi0EEEvPKT_PKT0_PfPimiiif,comdat
.Lfunc_end203:
	.size	_ZN5aiter20topk_softplus_kernelI6__half12hip_bfloat16Dv1_fLb1ELi0EEEvPKT_PKT0_PfPimiiif, .Lfunc_end203-_ZN5aiter20topk_softplus_kernelI6__half12hip_bfloat16Dv1_fLb1ELi0EEEvPKT_PKT0_PfPimiiif
                                        ; -- End function
	.section	.AMDGPU.csdata,"",@progbits
; Kernel info:
; codeLenInByte = 1672
; NumSgprs: 36
; NumVgprs: 18
; NumAgprs: 0
; TotalNumVgprs: 18
; ScratchSize: 0
; MemoryBound: 0
; FloatMode: 240
; IeeeMode: 1
; LDSByteSize: 0 bytes/workgroup (compile time only)
; SGPRBlocks: 4
; VGPRBlocks: 2
; NumSGPRsForWavesPerEU: 36
; NumVGPRsForWavesPerEU: 18
; AccumOffset: 20
; Occupancy: 8
; WaveLimiterHint : 0
; COMPUTE_PGM_RSRC2:SCRATCH_EN: 0
; COMPUTE_PGM_RSRC2:USER_SGPR: 6
; COMPUTE_PGM_RSRC2:TRAP_HANDLER: 0
; COMPUTE_PGM_RSRC2:TGID_X_EN: 1
; COMPUTE_PGM_RSRC2:TGID_Y_EN: 0
; COMPUTE_PGM_RSRC2:TGID_Z_EN: 0
; COMPUTE_PGM_RSRC2:TIDIG_COMP_CNT: 0
; COMPUTE_PGM_RSRC3_GFX90A:ACCUM_OFFSET: 4
; COMPUTE_PGM_RSRC3_GFX90A:TG_SPLIT: 0
	.section	.text._ZN5aiter20topk_softplus_kernelI6__half12hip_bfloat16Dv1_fLb0ELi0EEEvPKT_PKT0_PfPimiiif,"axG",@progbits,_ZN5aiter20topk_softplus_kernelI6__half12hip_bfloat16Dv1_fLb0ELi0EEEvPKT_PKT0_PfPimiiif,comdat
	.protected	_ZN5aiter20topk_softplus_kernelI6__half12hip_bfloat16Dv1_fLb0ELi0EEEvPKT_PKT0_PfPimiiif ; -- Begin function _ZN5aiter20topk_softplus_kernelI6__half12hip_bfloat16Dv1_fLb0ELi0EEEvPKT_PKT0_PfPimiiif
	.globl	_ZN5aiter20topk_softplus_kernelI6__half12hip_bfloat16Dv1_fLb0ELi0EEEvPKT_PKT0_PfPimiiif
	.p2align	8
	.type	_ZN5aiter20topk_softplus_kernelI6__half12hip_bfloat16Dv1_fLb0ELi0EEEvPKT_PKT0_PfPimiiif,@function
_ZN5aiter20topk_softplus_kernelI6__half12hip_bfloat16Dv1_fLb0ELi0EEEvPKT_PKT0_PfPimiiif: ; @_ZN5aiter20topk_softplus_kernelI6__half12hip_bfloat16Dv1_fLb0ELi0EEEvPKT_PKT0_PfPimiiif
; %bb.0:
	s_load_dwordx2 s[20:21], s[4:5], 0x28
	s_load_dwordx8 s[12:19], s[4:5], 0x0
	v_lshl_add_u32 v1, v0, 2, 0
	s_waitcnt lgkmcnt(0)
	s_mul_i32 s2, s6, s20
	s_ashr_i32 s3, s2, 31
	s_lshl_b64 s[2:3], s[2:3], 1
	s_add_u32 s7, s12, s2
	v_cmp_gt_i32_e64 s[0:1], s20, v0
	s_addc_u32 s24, s13, s3
	s_and_saveexec_b64 s[12:13], s[0:1]
	s_cbranch_execz .LBB204_5
; %bb.1:
	s_load_dword s8, s[4:5], 0x44
	s_cmp_lg_u64 s[14:15], 0
	s_cselect_b64 s[2:3], -1, 0
	v_cndmask_b32_e64 v2, 0, 1, s[2:3]
	s_mov_b64 s[22:23], 0
	s_waitcnt lgkmcnt(0)
	s_and_b32 s25, s8, 0xffff
	v_lshl_add_u32 v6, v0, 2, 0
	s_lshl_b32 s26, s25, 2
	v_mov_b32_e32 v7, s24
	s_movk_i32 s27, 0x4d00
	s_mov_b32 s28, 0x3fb8aa3b
	s_mov_b32 s29, 0xc2fc0000
	v_mov_b32_e32 v8, 0x42800000
	v_mov_b32_e32 v9, 0x1f800000
	s_mov_b32 s30, 0x800000
	v_mov_b32_e32 v10, 0x4f800000
	v_mov_b32_e32 v11, 0x42000000
	s_mov_b32 s31, 0xf800000
	v_mov_b32_e32 v12, 0x260
	v_cmp_ne_u32_e64 s[2:3], 1, v2
	v_mov_b32_e32 v2, v0
	s_branch .LBB204_3
.LBB204_2:                              ;   in Loop: Header=BB204_3 Depth=1
	v_add_u32_e32 v2, s25, v2
	v_cmp_le_i32_e32 vcc, s20, v2
	ds_write_b32 v6, v3
	s_or_b64 s[22:23], vcc, s[22:23]
	v_add_u32_e32 v6, s26, v6
	s_andn2_b64 exec, exec, s[22:23]
	s_cbranch_execz .LBB204_5
.LBB204_3:                              ; =>This Inner Loop Header: Depth=1
	v_ashrrev_i32_e32 v3, 31, v2
	v_lshlrev_b64 v[4:5], 1, v[2:3]
	v_add_co_u32_e32 v14, vcc, s7, v4
	v_addc_co_u32_e32 v15, vcc, v7, v5, vcc
	global_load_ushort v3, v[14:15], off
	s_waitcnt vmcnt(0)
	v_cvt_f32_f16_e32 v13, v3
	v_mul_f32_e32 v14, 0x3fb8aa3b, v13
	v_cmp_gt_f32_e32 vcc, s29, v14
	v_cndmask_b32_e32 v14, 0, v8, vcc
	v_fma_mix_f32 v14, v3, s28, v14 op_sel_hi:[1,0,0]
	v_exp_f32_e32 v14, v14
	v_cndmask_b32_e32 v15, 1.0, v9, vcc
	v_fma_f32 v14, v14, v15, 1.0
	v_cmp_gt_f32_e32 vcc, s30, v14
	v_cndmask_b32_e32 v15, 1.0, v10, vcc
	v_mul_f32_e32 v14, v14, v15
	v_log_f32_e32 v14, v14
	v_cndmask_b32_e32 v15, 0, v11, vcc
	v_cmp_lt_f16_e32 vcc, s27, v3
	v_sub_f32_e32 v14, v14, v15
	v_mul_f32_e32 v14, 0x3f317218, v14
	v_cndmask_b32_e32 v3, v14, v13, vcc
	v_mul_f32_e32 v13, 0x4f800000, v3
	v_cmp_gt_f32_e64 s[8:9], s31, v3
	v_cndmask_b32_e64 v3, v3, v13, s[8:9]
	v_sqrt_f32_e32 v13, v3
	s_and_b64 vcc, exec, s[2:3]
	v_add_u32_e32 v14, -1, v13
	v_add_u32_e32 v15, 1, v13
	v_fma_f32 v16, -v14, v13, v3
	v_fma_f32 v17, -v15, v13, v3
	v_cmp_ge_f32_e64 s[10:11], 0, v16
	v_cndmask_b32_e64 v13, v13, v14, s[10:11]
	v_cmp_lt_f32_e64 s[10:11], 0, v17
	v_cndmask_b32_e64 v13, v13, v15, s[10:11]
	v_mul_f32_e32 v14, 0x37800000, v13
	v_cndmask_b32_e64 v13, v13, v14, s[8:9]
	v_cmp_class_f32_e64 s[8:9], v3, v12
	v_cndmask_b32_e64 v3, v13, v3, s[8:9]
	s_cbranch_vccnz .LBB204_2
; %bb.4:                                ;   in Loop: Header=BB204_3 Depth=1
	v_mov_b32_e32 v13, s15
	v_add_co_u32_e32 v4, vcc, s14, v4
	v_addc_co_u32_e32 v5, vcc, v13, v5, vcc
	global_load_ushort v4, v[4:5], off
	s_waitcnt vmcnt(0)
	v_lshlrev_b32_e32 v4, 16, v4
	v_add_f32_e32 v3, v3, v4
	s_branch .LBB204_2
.LBB204_5:
	s_or_b64 exec, exec, s[12:13]
	v_add_u32_e32 v2, s20, v0
	v_cmp_gt_i32_e32 vcc, s20, v2
	s_and_saveexec_b64 s[10:11], vcc
	s_cbranch_execz .LBB204_10
; %bb.6:
	s_load_dword s8, s[4:5], 0x44
	s_cmp_lg_u64 s[14:15], 0
	s_cselect_b64 s[2:3], -1, 0
	v_cndmask_b32_e64 v3, 0, 1, s[2:3]
	s_mov_b64 s[12:13], 0
	s_waitcnt lgkmcnt(0)
	s_and_b32 s22, s8, 0xffff
	v_lshl_add_u32 v6, v2, 2, 0
	s_lshl_b32 s23, s22, 2
	v_mov_b32_e32 v7, s24
	s_movk_i32 s24, 0x4d00
	s_mov_b32 s25, 0x3fb8aa3b
	s_mov_b32 s26, 0xc2fc0000
	v_mov_b32_e32 v8, 0x42800000
	v_mov_b32_e32 v9, 0x1f800000
	s_mov_b32 s27, 0x800000
	v_mov_b32_e32 v10, 0x4f800000
	v_mov_b32_e32 v11, 0x42000000
	s_mov_b32 s28, 0xf800000
	v_mov_b32_e32 v12, 0x260
	v_cmp_ne_u32_e64 s[2:3], 1, v3
	s_branch .LBB204_8
.LBB204_7:                              ;   in Loop: Header=BB204_8 Depth=1
	v_add_u32_e32 v2, s22, v2
	v_cmp_le_i32_e32 vcc, s20, v2
	s_or_b64 s[12:13], vcc, s[12:13]
	v_add_u32_e32 v6, s23, v6
	s_andn2_b64 exec, exec, s[12:13]
	s_cbranch_execz .LBB204_10
.LBB204_8:                              ; =>This Inner Loop Header: Depth=1
	v_ashrrev_i32_e32 v3, 31, v2
	v_lshlrev_b64 v[4:5], 1, v[2:3]
	v_add_co_u32_e32 v14, vcc, s7, v4
	v_addc_co_u32_e32 v15, vcc, v7, v5, vcc
	global_load_ushort v3, v[14:15], off
	s_waitcnt vmcnt(0)
	v_cvt_f32_f16_e32 v13, v3
	v_mul_f32_e32 v14, 0x3fb8aa3b, v13
	v_cmp_gt_f32_e32 vcc, s26, v14
	v_cndmask_b32_e32 v14, 0, v8, vcc
	v_fma_mix_f32 v14, v3, s25, v14 op_sel_hi:[1,0,0]
	v_exp_f32_e32 v14, v14
	v_cndmask_b32_e32 v15, 1.0, v9, vcc
	v_fma_f32 v14, v14, v15, 1.0
	v_cmp_gt_f32_e32 vcc, s27, v14
	v_cndmask_b32_e32 v15, 1.0, v10, vcc
	v_mul_f32_e32 v14, v14, v15
	v_log_f32_e32 v14, v14
	v_cndmask_b32_e32 v15, 0, v11, vcc
	v_cmp_lt_f16_e32 vcc, s24, v3
	v_sub_f32_e32 v14, v14, v15
	v_mul_f32_e32 v14, 0x3f317218, v14
	v_cndmask_b32_e32 v3, v14, v13, vcc
	v_mul_f32_e32 v13, 0x4f800000, v3
	v_cmp_gt_f32_e32 vcc, s28, v3
	v_cndmask_b32_e32 v3, v3, v13, vcc
	v_sqrt_f32_e32 v13, v3
	v_add_u32_e32 v14, -1, v13
	v_add_u32_e32 v15, 1, v13
	v_fma_f32 v16, -v14, v13, v3
	v_fma_f32 v17, -v15, v13, v3
	v_cmp_ge_f32_e64 s[8:9], 0, v16
	v_cndmask_b32_e64 v13, v13, v14, s[8:9]
	v_cmp_lt_f32_e64 s[8:9], 0, v17
	v_cndmask_b32_e64 v13, v13, v15, s[8:9]
	v_mul_f32_e32 v14, 0x37800000, v13
	v_cndmask_b32_e32 v13, v13, v14, vcc
	v_cmp_class_f32_e32 vcc, v3, v12
	v_cndmask_b32_e32 v3, v13, v3, vcc
	s_and_b64 vcc, exec, s[2:3]
	ds_write_b32 v6, v3
	s_cbranch_vccnz .LBB204_7
; %bb.9:                                ;   in Loop: Header=BB204_8 Depth=1
	v_mov_b32_e32 v13, s15
	v_add_co_u32_e32 v4, vcc, s14, v4
	v_addc_co_u32_e32 v5, vcc, v13, v5, vcc
	global_load_ushort v4, v[4:5], off
	s_waitcnt vmcnt(0)
	v_lshlrev_b32_e32 v4, 16, v4
	v_add_f32_e32 v3, v3, v4
	ds_write_b32 v6, v3
	s_branch .LBB204_7
.LBB204_10:
	s_or_b64 exec, exec, s[10:11]
	s_cmp_lt_i32 s21, 1
	s_waitcnt lgkmcnt(0)
	s_barrier
	s_cbranch_scc1 .LBB204_19
; %bb.11:
	s_add_u32 s2, s4, 56
	s_addc_u32 s3, s5, 0
	v_mbcnt_lo_u32_b32 v3, -1, 0
	s_cmp_lg_u64 s[14:15], 0
	v_mbcnt_hi_u32_b32 v3, -1, v3
	v_bfrev_b32_e32 v5, 0.5
	s_cselect_b64 s[8:9], -1, 0
	s_mov_b32 s7, 0
	v_mov_b32_e32 v2, 0
	v_mov_b32_e32 v4, 0
	v_lshl_or_b32 v5, v3, 2, v5
	v_mov_b32_e32 v6, 0xff800000
	v_mov_b32_e32 v3, 0
	s_branch .LBB204_13
.LBB204_12:                             ;   in Loop: Header=BB204_13 Depth=1
	s_lshl_b32 s11, s10, 2
	s_add_i32 s11, s11, 0
	v_mov_b32_e32 v7, s11
	ds_write_b32 v7, v6
	v_mov_b32_e32 v7, s10
	v_cmp_eq_u32_e32 vcc, s7, v0
	s_add_i32 s7, s7, 1
	v_cndmask_b32_e32 v2, v2, v7, vcc
	s_cmp_eq_u32 s7, s21
	v_cndmask_b32_e32 v3, v3, v9, vcc
	s_cbranch_scc1 .LBB204_20
.LBB204_13:                             ; =>This Loop Header: Depth=1
                                        ;     Child Loop BB204_15 Depth 2
	v_mov_b32_e32 v7, s7
	v_mov_b32_e32 v8, 0xff800000
	s_and_saveexec_b64 s[10:11], s[0:1]
	s_cbranch_execz .LBB204_17
; %bb.14:                               ;   in Loop: Header=BB204_13 Depth=1
	s_load_dword s22, s[2:3], 0xc
	s_mov_b64 s[12:13], 0
	v_mov_b32_e32 v7, s7
	v_mov_b32_e32 v8, 0xff800000
	v_mov_b32_e32 v9, v1
	s_waitcnt lgkmcnt(0)
	s_and_b32 s22, s22, 0xffff
	s_lshl_b32 s23, s22, 2
	v_mov_b32_e32 v10, v0
.LBB204_15:                             ;   Parent Loop BB204_13 Depth=1
                                        ; =>  This Inner Loop Header: Depth=2
	ds_read_b32 v11, v9
	v_add_u32_e32 v9, s23, v9
	s_waitcnt lgkmcnt(0)
	v_cmp_gt_f32_e32 vcc, v11, v8
	v_cndmask_b32_e32 v7, v7, v10, vcc
	v_add_u32_e32 v10, s22, v10
	v_cndmask_b32_e32 v8, v8, v11, vcc
	v_cmp_le_i32_e32 vcc, s20, v10
	s_or_b64 s[12:13], vcc, s[12:13]
	s_andn2_b64 exec, exec, s[12:13]
	s_cbranch_execnz .LBB204_15
; %bb.16:                               ;   in Loop: Header=BB204_13 Depth=1
	s_or_b64 exec, exec, s[12:13]
.LBB204_17:                             ;   in Loop: Header=BB204_13 Depth=1
	s_or_b64 exec, exec, s[10:11]
	;;#ASMSTART
	v_max_f32 v9, v8, v8 quad_perm:[1,0,3,2] row_mask:0xf bank_mask:0xf bound_ctrl:1
	;;#ASMEND
	;;#ASMSTART
	v_max_f32 v10, v9, v9 quad_perm:[2,3,0,1] row_mask:0xf bank_mask:0xf bound_ctrl:1
	;;#ASMEND
	;;#ASMSTART
	v_max_f32 v9, v10, v10 row_half_mirror row_mask:0xf bank_mask:0xf bound_ctrl:1
	;;#ASMEND
	;;#ASMSTART
	v_max_f32 v10, v9, v9 row_mirror row_mask:0xf bank_mask:0xf bound_ctrl:1
	;;#ASMEND
	;;#ASMSTART
	v_max_f32 v9, v10, v10 row_ror:4 row_mask:0xf bank_mask:0xf bound_ctrl:1
	;;#ASMEND
	;;#ASMSTART
	v_max_f32 v10, v9, v9 row_ror:8 row_mask:0xf bank_mask:0xf bound_ctrl:1
	;;#ASMEND
	;;#ASMSTART
	v_max_f32 v9, v10, v10 row_bcast:15 row_mask:0xf bank_mask:0xf bound_ctrl:1
	;;#ASMEND
	;;#ASMSTART
	v_max_f32 v10, v9, v9 row_bcast:31 row_mask:0xf bank_mask:0xf bound_ctrl:1
	;;#ASMEND
	ds_bpermute_b32 v9, v5, v10
	s_waitcnt lgkmcnt(0)
	v_cmp_eq_f32_e32 vcc, v8, v9
	s_ff1_i32_b64 s10, vcc
	s_cmp_lg_u64 vcc, 0
	s_cselect_b32 s10, s10, 0
	s_and_b64 vcc, exec, s[8:9]
	v_readlane_b32 s10, v7, s10
	s_cbranch_vccz .LBB204_12
; %bb.18:                               ;   in Loop: Header=BB204_13 Depth=1
	s_ashr_i32 s11, s10, 31
	s_lshl_b64 s[12:13], s[10:11], 1
	s_add_u32 s12, s14, s12
	s_addc_u32 s13, s15, s13
	global_load_ushort v7, v4, s[12:13]
	s_waitcnt vmcnt(0)
	v_lshlrev_b32_e32 v7, 16, v7
	v_sub_f32_e32 v9, v9, v7
	s_branch .LBB204_12
.LBB204_19:
	v_mov_b32_e32 v3, 0
	v_mov_b32_e32 v2, 0
.LBB204_20:
	v_cmp_gt_i32_e32 vcc, s21, v0
	s_and_saveexec_b64 s[0:1], vcc
	s_cbranch_execz .LBB204_23
; %bb.21:
	s_load_dword s2, s[4:5], 0x34
	s_load_dwordx2 s[0:1], s[4:5], 0x20
	s_ashr_i32 s3, s6, 31
	s_load_dword s4, s[4:5], 0x44
	v_mov_b32_e32 v4, s17
	s_waitcnt lgkmcnt(0)
	v_mul_f32_e32 v1, s2, v3
	s_mul_i32 s1, s6, s1
	s_mul_hi_u32 s2, s6, s0
	s_add_i32 s1, s2, s1
	s_mul_i32 s3, s3, s0
	s_add_i32 s5, s1, s3
	s_mul_i32 s2, s6, s0
	s_and_b32 s3, s4, 0xffff
	s_mov_b64 s[0:1], 0
	v_mov_b32_e32 v3, s5
	v_mov_b32_e32 v5, s19
.LBB204_22:                             ; =>This Inner Loop Header: Depth=1
	v_ashrrev_i32_e32 v7, 31, v0
	v_add_co_u32_e32 v6, vcc, s2, v0
	v_addc_co_u32_e32 v7, vcc, v3, v7, vcc
	v_add_u32_e32 v0, s3, v0
	v_cmp_le_i32_e32 vcc, s21, v0
	v_lshlrev_b64 v[6:7], 2, v[6:7]
	s_or_b64 s[0:1], vcc, s[0:1]
	v_add_co_u32_e32 v8, vcc, s16, v6
	v_addc_co_u32_e32 v9, vcc, v4, v7, vcc
	v_add_co_u32_e32 v6, vcc, s18, v6
	v_addc_co_u32_e32 v7, vcc, v5, v7, vcc
	global_store_dword v[8:9], v1, off
	global_store_dword v[6:7], v2, off
	s_andn2_b64 exec, exec, s[0:1]
	s_cbranch_execnz .LBB204_22
.LBB204_23:
	s_endpgm
	.section	.rodata,"a",@progbits
	.p2align	6, 0x0
	.amdhsa_kernel _ZN5aiter20topk_softplus_kernelI6__half12hip_bfloat16Dv1_fLb0ELi0EEEvPKT_PKT0_PfPimiiif
		.amdhsa_group_segment_fixed_size 0
		.amdhsa_private_segment_fixed_size 0
		.amdhsa_kernarg_size 312
		.amdhsa_user_sgpr_count 6
		.amdhsa_user_sgpr_private_segment_buffer 1
		.amdhsa_user_sgpr_dispatch_ptr 0
		.amdhsa_user_sgpr_queue_ptr 0
		.amdhsa_user_sgpr_kernarg_segment_ptr 1
		.amdhsa_user_sgpr_dispatch_id 0
		.amdhsa_user_sgpr_flat_scratch_init 0
		.amdhsa_user_sgpr_kernarg_preload_length 0
		.amdhsa_user_sgpr_kernarg_preload_offset 0
		.amdhsa_user_sgpr_private_segment_size 0
		.amdhsa_uses_dynamic_stack 0
		.amdhsa_system_sgpr_private_segment_wavefront_offset 0
		.amdhsa_system_sgpr_workgroup_id_x 1
		.amdhsa_system_sgpr_workgroup_id_y 0
		.amdhsa_system_sgpr_workgroup_id_z 0
		.amdhsa_system_sgpr_workgroup_info 0
		.amdhsa_system_vgpr_workitem_id 0
		.amdhsa_next_free_vgpr 18
		.amdhsa_next_free_sgpr 32
		.amdhsa_accum_offset 20
		.amdhsa_reserve_vcc 1
		.amdhsa_reserve_flat_scratch 0
		.amdhsa_float_round_mode_32 0
		.amdhsa_float_round_mode_16_64 0
		.amdhsa_float_denorm_mode_32 3
		.amdhsa_float_denorm_mode_16_64 3
		.amdhsa_dx10_clamp 1
		.amdhsa_ieee_mode 1
		.amdhsa_fp16_overflow 0
		.amdhsa_tg_split 0
		.amdhsa_exception_fp_ieee_invalid_op 0
		.amdhsa_exception_fp_denorm_src 0
		.amdhsa_exception_fp_ieee_div_zero 0
		.amdhsa_exception_fp_ieee_overflow 0
		.amdhsa_exception_fp_ieee_underflow 0
		.amdhsa_exception_fp_ieee_inexact 0
		.amdhsa_exception_int_div_zero 0
	.end_amdhsa_kernel
	.section	.text._ZN5aiter20topk_softplus_kernelI6__half12hip_bfloat16Dv1_fLb0ELi0EEEvPKT_PKT0_PfPimiiif,"axG",@progbits,_ZN5aiter20topk_softplus_kernelI6__half12hip_bfloat16Dv1_fLb0ELi0EEEvPKT_PKT0_PfPimiiif,comdat
.Lfunc_end204:
	.size	_ZN5aiter20topk_softplus_kernelI6__half12hip_bfloat16Dv1_fLb0ELi0EEEvPKT_PKT0_PfPimiiif, .Lfunc_end204-_ZN5aiter20topk_softplus_kernelI6__half12hip_bfloat16Dv1_fLb0ELi0EEEvPKT_PKT0_PfPimiiif
                                        ; -- End function
	.section	.AMDGPU.csdata,"",@progbits
; Kernel info:
; codeLenInByte = 1572
; NumSgprs: 36
; NumVgprs: 18
; NumAgprs: 0
; TotalNumVgprs: 18
; ScratchSize: 0
; MemoryBound: 0
; FloatMode: 240
; IeeeMode: 1
; LDSByteSize: 0 bytes/workgroup (compile time only)
; SGPRBlocks: 4
; VGPRBlocks: 2
; NumSGPRsForWavesPerEU: 36
; NumVGPRsForWavesPerEU: 18
; AccumOffset: 20
; Occupancy: 8
; WaveLimiterHint : 0
; COMPUTE_PGM_RSRC2:SCRATCH_EN: 0
; COMPUTE_PGM_RSRC2:USER_SGPR: 6
; COMPUTE_PGM_RSRC2:TRAP_HANDLER: 0
; COMPUTE_PGM_RSRC2:TGID_X_EN: 1
; COMPUTE_PGM_RSRC2:TGID_Y_EN: 0
; COMPUTE_PGM_RSRC2:TGID_Z_EN: 0
; COMPUTE_PGM_RSRC2:TIDIG_COMP_CNT: 0
; COMPUTE_PGM_RSRC3_GFX90A:ACCUM_OFFSET: 4
; COMPUTE_PGM_RSRC3_GFX90A:TG_SPLIT: 0
	.section	.text._ZN5aiter24topk_softplus_kernel_optI12hip_bfloat16fLi64ELb1ELi1EEEvPKT_PKT0_PfPimiif,"axG",@progbits,_ZN5aiter24topk_softplus_kernel_optI12hip_bfloat16fLi64ELb1ELi1EEEvPKT_PKT0_PfPimiif,comdat
	.protected	_ZN5aiter24topk_softplus_kernel_optI12hip_bfloat16fLi64ELb1ELi1EEEvPKT_PKT0_PfPimiif ; -- Begin function _ZN5aiter24topk_softplus_kernel_optI12hip_bfloat16fLi64ELb1ELi1EEEvPKT_PKT0_PfPimiif
	.globl	_ZN5aiter24topk_softplus_kernel_optI12hip_bfloat16fLi64ELb1ELi1EEEvPKT_PKT0_PfPimiif
	.p2align	8
	.type	_ZN5aiter24topk_softplus_kernel_optI12hip_bfloat16fLi64ELb1ELi1EEEvPKT_PKT0_PfPimiif,@function
_ZN5aiter24topk_softplus_kernel_optI12hip_bfloat16fLi64ELb1ELi1EEEvPKT_PKT0_PfPimiif: ; @_ZN5aiter24topk_softplus_kernel_optI12hip_bfloat16fLi64ELb1ELi1EEEvPKT_PKT0_PfPimiif
; %bb.0:
	s_load_dwordx4 s[0:3], s[4:5], 0x0
	s_lshl_b32 s8, s6, 6
	s_ashr_i32 s9, s8, 31
	s_lshl_b64 s[8:9], s[8:9], 1
	v_lshlrev_b32_e32 v1, 1, v0
	s_waitcnt lgkmcnt(0)
	s_add_u32 s0, s0, s8
	s_addc_u32 s1, s1, s9
	global_load_ushort v1, v1, s[0:1]
	s_mov_b32 s0, 0xc2fc0000
	v_mov_b32_e32 v2, 0x42800000
	s_cmp_eq_u64 s[2:3], 0
	s_waitcnt vmcnt(0)
	v_lshlrev_b32_e32 v1, 16, v1
	v_mul_f32_e32 v3, 0xbfb8aa3b, v1
	v_cmp_gt_f32_e32 vcc, s0, v3
	v_cndmask_b32_e32 v2, 0, v2, vcc
	v_fmac_f32_e32 v2, 0xbfb8aa3b, v1
	v_exp_f32_e32 v1, v2
	v_mov_b32_e32 v2, 0x1f800000
	v_cndmask_b32_e32 v2, 1.0, v2, vcc
	v_fma_f32 v1, v1, v2, 1.0
	v_rcp_f32_e32 v4, v1
	v_mov_b32_e32 v2, 0
	v_lshlrev_b32_e32 v1, 2, v0
	v_mov_b32_e32 v5, v4
	s_cbranch_scc1 .LBB205_2
; %bb.1:
	global_load_dword v3, v1, s[2:3]
	s_waitcnt vmcnt(0)
	v_add_f32_e32 v5, v4, v3
.LBB205_2:
	s_load_dword s2, s[4:5], 0x28
	s_load_dwordx4 s[8:11], s[4:5], 0x10
	s_mov_b32 s3, 0
	v_mov_b32_e32 v6, 0
	v_mov_b32_e32 v3, 0
	s_waitcnt lgkmcnt(0)
	s_cmp_lt_i32 s2, 1
	s_cbranch_scc1 .LBB205_5
; %bb.3:
	v_mbcnt_lo_u32_b32 v2, -1, 0
	v_mbcnt_hi_u32_b32 v2, -1, v2
	v_bfrev_b32_e32 v3, 0.5
	v_mov_b32_e32 v7, 0
	v_mov_b32_e32 v8, 0xff800000
	v_lshl_or_b32 v9, v2, 2, v3
	v_mov_b32_e32 v6, 0
	v_mov_b32_e32 v2, 0
	;; [unrolled: 1-line block ×3, first 2 shown]
.LBB205_4:                              ; =>This Inner Loop Header: Depth=1
	v_cmp_eq_u32_e32 vcc, 0, v7
	v_cndmask_b32_e32 v10, v8, v5, vcc
	;;#ASMSTART
	v_max_f32 v12, v10, v10 quad_perm:[1,0,3,2] row_mask:0xf bank_mask:0xf bound_ctrl:1
	;;#ASMEND
	;;#ASMSTART
	v_max_f32 v13, v12, v12 quad_perm:[2,3,0,1] row_mask:0xf bank_mask:0xf bound_ctrl:1
	;;#ASMEND
	;;#ASMSTART
	v_max_f32 v12, v13, v13 row_half_mirror row_mask:0xf bank_mask:0xf bound_ctrl:1
	;;#ASMEND
	;;#ASMSTART
	v_max_f32 v13, v12, v12 row_mirror row_mask:0xf bank_mask:0xf bound_ctrl:1
	;;#ASMEND
	;;#ASMSTART
	v_max_f32 v12, v13, v13 row_ror:4 row_mask:0xf bank_mask:0xf bound_ctrl:1
	;;#ASMEND
	;;#ASMSTART
	v_max_f32 v13, v12, v12 row_ror:8 row_mask:0xf bank_mask:0xf bound_ctrl:1
	;;#ASMEND
	;;#ASMSTART
	v_max_f32 v12, v13, v13 row_bcast:15 row_mask:0xf bank_mask:0xf bound_ctrl:1
	;;#ASMEND
	;;#ASMSTART
	v_max_f32 v13, v12, v12 row_bcast:31 row_mask:0xf bank_mask:0xf bound_ctrl:1
	;;#ASMEND
	ds_bpermute_b32 v12, v9, v13
	v_cndmask_b32_e32 v11, 0, v0, vcc
	s_waitcnt lgkmcnt(0)
	v_cmp_eq_f32_e64 s[0:1], v10, v12
	s_ff1_i32_b64 s7, s[0:1]
	s_cmp_lg_u64 s[0:1], 0
	s_cselect_b32 s0, s7, 0
	s_nop 0
	v_readlane_b32 s7, v11, s0
	v_cmp_eq_u32_e64 s[0:1], s7, v0
	s_and_b64 vcc, vcc, s[0:1]
	s_and_b32 s12, s7, 63
	v_cndmask_b32_e32 v11, 0, v4, vcc
	v_addc_co_u32_e32 v7, vcc, 0, v7, vcc
	v_readlane_b32 s0, v11, s12
	v_mov_b32_e32 v10, s7
	v_mov_b32_e32 v11, s0
	v_cmp_eq_u32_e32 vcc, s3, v0
	s_add_i32 s3, s3, 1
	v_add_f32_e32 v6, s0, v6
	v_cndmask_b32_e32 v3, v3, v11, vcc
	s_cmp_eq_u32 s2, s3
	v_cndmask_b32_e32 v2, v2, v10, vcc
	s_cbranch_scc0 .LBB205_4
.LBB205_5:
	v_cmp_gt_i32_e32 vcc, s2, v0
	s_and_saveexec_b64 s[0:1], vcc
	s_cbranch_execz .LBB205_7
; %bb.6:
	s_load_dword s2, s[4:5], 0x30
	v_max_f32_e32 v0, v6, v6
	v_max_f32_e32 v0, 0x1e3ce508, v0
	s_waitcnt lgkmcnt(0)
	v_div_scale_f32 v4, s[0:1], v0, v0, s2
	v_rcp_f32_e32 v5, v4
	v_div_scale_f32 v6, vcc, s2, v0, s2
	s_load_dwordx2 s[0:1], s[4:5], 0x20
	v_fma_f32 v7, -v4, v5, 1.0
	v_fmac_f32_e32 v5, v7, v5
	v_mul_f32_e32 v7, v6, v5
	v_fma_f32 v8, -v4, v7, v6
	v_fmac_f32_e32 v7, v8, v5
	v_fma_f32 v4, -v4, v7, v6
	v_div_fmas_f32 v4, v4, v5, v7
	v_div_fixup_f32 v0, v4, v0, s2
	s_ashr_i32 s2, s6, 31
	s_waitcnt lgkmcnt(0)
	s_mul_i32 s1, s6, s1
	s_mul_hi_u32 s3, s6, s0
	s_add_i32 s1, s3, s1
	s_mul_i32 s2, s2, s0
	s_add_i32 s1, s1, s2
	s_mul_i32 s0, s6, s0
	s_lshl_b64 s[0:1], s[0:1], 2
	s_add_u32 s2, s8, s0
	s_addc_u32 s3, s9, s1
	s_add_u32 s0, s10, s0
	v_mul_f32_e32 v0, v3, v0
	s_addc_u32 s1, s11, s1
	global_store_dword v1, v0, s[2:3]
	global_store_dword v1, v2, s[0:1]
.LBB205_7:
	s_endpgm
	.section	.rodata,"a",@progbits
	.p2align	6, 0x0
	.amdhsa_kernel _ZN5aiter24topk_softplus_kernel_optI12hip_bfloat16fLi64ELb1ELi1EEEvPKT_PKT0_PfPimiif
		.amdhsa_group_segment_fixed_size 0
		.amdhsa_private_segment_fixed_size 0
		.amdhsa_kernarg_size 52
		.amdhsa_user_sgpr_count 6
		.amdhsa_user_sgpr_private_segment_buffer 1
		.amdhsa_user_sgpr_dispatch_ptr 0
		.amdhsa_user_sgpr_queue_ptr 0
		.amdhsa_user_sgpr_kernarg_segment_ptr 1
		.amdhsa_user_sgpr_dispatch_id 0
		.amdhsa_user_sgpr_flat_scratch_init 0
		.amdhsa_user_sgpr_kernarg_preload_length 0
		.amdhsa_user_sgpr_kernarg_preload_offset 0
		.amdhsa_user_sgpr_private_segment_size 0
		.amdhsa_uses_dynamic_stack 0
		.amdhsa_system_sgpr_private_segment_wavefront_offset 0
		.amdhsa_system_sgpr_workgroup_id_x 1
		.amdhsa_system_sgpr_workgroup_id_y 0
		.amdhsa_system_sgpr_workgroup_id_z 0
		.amdhsa_system_sgpr_workgroup_info 0
		.amdhsa_system_vgpr_workitem_id 0
		.amdhsa_next_free_vgpr 14
		.amdhsa_next_free_sgpr 13
		.amdhsa_accum_offset 16
		.amdhsa_reserve_vcc 1
		.amdhsa_reserve_flat_scratch 0
		.amdhsa_float_round_mode_32 0
		.amdhsa_float_round_mode_16_64 0
		.amdhsa_float_denorm_mode_32 3
		.amdhsa_float_denorm_mode_16_64 3
		.amdhsa_dx10_clamp 1
		.amdhsa_ieee_mode 1
		.amdhsa_fp16_overflow 0
		.amdhsa_tg_split 0
		.amdhsa_exception_fp_ieee_invalid_op 0
		.amdhsa_exception_fp_denorm_src 0
		.amdhsa_exception_fp_ieee_div_zero 0
		.amdhsa_exception_fp_ieee_overflow 0
		.amdhsa_exception_fp_ieee_underflow 0
		.amdhsa_exception_fp_ieee_inexact 0
		.amdhsa_exception_int_div_zero 0
	.end_amdhsa_kernel
	.section	.text._ZN5aiter24topk_softplus_kernel_optI12hip_bfloat16fLi64ELb1ELi1EEEvPKT_PKT0_PfPimiif,"axG",@progbits,_ZN5aiter24topk_softplus_kernel_optI12hip_bfloat16fLi64ELb1ELi1EEEvPKT_PKT0_PfPimiif,comdat
.Lfunc_end205:
	.size	_ZN5aiter24topk_softplus_kernel_optI12hip_bfloat16fLi64ELb1ELi1EEEvPKT_PKT0_PfPimiif, .Lfunc_end205-_ZN5aiter24topk_softplus_kernel_optI12hip_bfloat16fLi64ELb1ELi1EEEvPKT_PKT0_PfPimiif
                                        ; -- End function
	.section	.AMDGPU.csdata,"",@progbits
; Kernel info:
; codeLenInByte = 628
; NumSgprs: 17
; NumVgprs: 14
; NumAgprs: 0
; TotalNumVgprs: 14
; ScratchSize: 0
; MemoryBound: 0
; FloatMode: 240
; IeeeMode: 1
; LDSByteSize: 0 bytes/workgroup (compile time only)
; SGPRBlocks: 2
; VGPRBlocks: 1
; NumSGPRsForWavesPerEU: 17
; NumVGPRsForWavesPerEU: 14
; AccumOffset: 16
; Occupancy: 8
; WaveLimiterHint : 0
; COMPUTE_PGM_RSRC2:SCRATCH_EN: 0
; COMPUTE_PGM_RSRC2:USER_SGPR: 6
; COMPUTE_PGM_RSRC2:TRAP_HANDLER: 0
; COMPUTE_PGM_RSRC2:TGID_X_EN: 1
; COMPUTE_PGM_RSRC2:TGID_Y_EN: 0
; COMPUTE_PGM_RSRC2:TGID_Z_EN: 0
; COMPUTE_PGM_RSRC2:TIDIG_COMP_CNT: 0
; COMPUTE_PGM_RSRC3_GFX90A:ACCUM_OFFSET: 3
; COMPUTE_PGM_RSRC3_GFX90A:TG_SPLIT: 0
	.section	.text._ZN5aiter24topk_softplus_kernel_optI12hip_bfloat16fLi64ELb0ELi1EEEvPKT_PKT0_PfPimiif,"axG",@progbits,_ZN5aiter24topk_softplus_kernel_optI12hip_bfloat16fLi64ELb0ELi1EEEvPKT_PKT0_PfPimiif,comdat
	.protected	_ZN5aiter24topk_softplus_kernel_optI12hip_bfloat16fLi64ELb0ELi1EEEvPKT_PKT0_PfPimiif ; -- Begin function _ZN5aiter24topk_softplus_kernel_optI12hip_bfloat16fLi64ELb0ELi1EEEvPKT_PKT0_PfPimiif
	.globl	_ZN5aiter24topk_softplus_kernel_optI12hip_bfloat16fLi64ELb0ELi1EEEvPKT_PKT0_PfPimiif
	.p2align	8
	.type	_ZN5aiter24topk_softplus_kernel_optI12hip_bfloat16fLi64ELb0ELi1EEEvPKT_PKT0_PfPimiif,@function
_ZN5aiter24topk_softplus_kernel_optI12hip_bfloat16fLi64ELb0ELi1EEEvPKT_PKT0_PfPimiif: ; @_ZN5aiter24topk_softplus_kernel_optI12hip_bfloat16fLi64ELb0ELi1EEEvPKT_PKT0_PfPimiif
; %bb.0:
	s_load_dwordx4 s[0:3], s[4:5], 0x0
	s_lshl_b32 s8, s6, 6
	s_ashr_i32 s9, s8, 31
	s_lshl_b64 s[8:9], s[8:9], 1
	v_lshlrev_b32_e32 v1, 1, v0
	s_waitcnt lgkmcnt(0)
	s_add_u32 s0, s0, s8
	s_addc_u32 s1, s1, s9
	global_load_ushort v1, v1, s[0:1]
	s_mov_b32 s0, 0xc2fc0000
	v_mov_b32_e32 v2, 0x42800000
	s_cmp_eq_u64 s[2:3], 0
	s_waitcnt vmcnt(0)
	v_lshlrev_b32_e32 v1, 16, v1
	v_mul_f32_e32 v3, 0xbfb8aa3b, v1
	v_cmp_gt_f32_e32 vcc, s0, v3
	v_cndmask_b32_e32 v2, 0, v2, vcc
	v_fmac_f32_e32 v2, 0xbfb8aa3b, v1
	v_exp_f32_e32 v1, v2
	v_mov_b32_e32 v2, 0x1f800000
	v_cndmask_b32_e32 v2, 1.0, v2, vcc
	v_fma_f32 v1, v1, v2, 1.0
	v_rcp_f32_e32 v4, v1
	v_mov_b32_e32 v2, 0
	v_lshlrev_b32_e32 v1, 2, v0
	v_mov_b32_e32 v5, v4
	s_cbranch_scc1 .LBB206_2
; %bb.1:
	global_load_dword v3, v1, s[2:3]
	s_waitcnt vmcnt(0)
	v_add_f32_e32 v5, v4, v3
.LBB206_2:
	s_load_dword s2, s[4:5], 0x28
	s_load_dwordx4 s[8:11], s[4:5], 0x10
	s_waitcnt lgkmcnt(0)
	s_cmp_lt_i32 s2, 1
	s_cbranch_scc1 .LBB206_8
; %bb.3:
	v_mbcnt_lo_u32_b32 v2, -1, 0
	v_mbcnt_hi_u32_b32 v2, -1, v2
	v_bfrev_b32_e32 v8, 0.5
	s_mov_b32 s3, 0
	v_mov_b32_e32 v6, 0
	v_mov_b32_e32 v3, 0
	;; [unrolled: 1-line block ×3, first 2 shown]
	v_lshl_or_b32 v8, v2, 2, v8
	v_mov_b32_e32 v2, 0
.LBB206_4:                              ; =>This Inner Loop Header: Depth=1
	v_cmp_eq_u32_e32 vcc, 0, v6
	v_cndmask_b32_e32 v9, v7, v5, vcc
	;;#ASMSTART
	v_max_f32 v11, v9, v9 quad_perm:[1,0,3,2] row_mask:0xf bank_mask:0xf bound_ctrl:1
	;;#ASMEND
	;;#ASMSTART
	v_max_f32 v12, v11, v11 quad_perm:[2,3,0,1] row_mask:0xf bank_mask:0xf bound_ctrl:1
	;;#ASMEND
	;;#ASMSTART
	v_max_f32 v11, v12, v12 row_half_mirror row_mask:0xf bank_mask:0xf bound_ctrl:1
	;;#ASMEND
	;;#ASMSTART
	v_max_f32 v12, v11, v11 row_mirror row_mask:0xf bank_mask:0xf bound_ctrl:1
	;;#ASMEND
	;;#ASMSTART
	v_max_f32 v11, v12, v12 row_ror:4 row_mask:0xf bank_mask:0xf bound_ctrl:1
	;;#ASMEND
	;;#ASMSTART
	v_max_f32 v12, v11, v11 row_ror:8 row_mask:0xf bank_mask:0xf bound_ctrl:1
	;;#ASMEND
	;;#ASMSTART
	v_max_f32 v11, v12, v12 row_bcast:15 row_mask:0xf bank_mask:0xf bound_ctrl:1
	;;#ASMEND
	;;#ASMSTART
	v_max_f32 v12, v11, v11 row_bcast:31 row_mask:0xf bank_mask:0xf bound_ctrl:1
	;;#ASMEND
	ds_bpermute_b32 v11, v8, v12
	v_cndmask_b32_e32 v10, 0, v0, vcc
	s_waitcnt lgkmcnt(0)
	v_cmp_eq_f32_e64 s[0:1], v9, v11
	s_ff1_i32_b64 s7, s[0:1]
	s_cmp_lg_u64 s[0:1], 0
	s_cselect_b32 s0, s7, 0
	s_nop 0
	v_readlane_b32 s7, v10, s0
	v_cmp_eq_u32_e64 s[0:1], s7, v0
	s_and_b64 vcc, vcc, s[0:1]
	s_and_b32 s12, s7, 63
	v_cndmask_b32_e32 v10, 0, v4, vcc
	v_addc_co_u32_e32 v6, vcc, 0, v6, vcc
	v_readlane_b32 s0, v10, s12
	v_mov_b32_e32 v9, s7
	v_mov_b32_e32 v10, s0
	v_cmp_eq_u32_e32 vcc, s3, v0
	s_add_i32 s3, s3, 1
	v_cndmask_b32_e32 v3, v3, v10, vcc
	s_cmp_eq_u32 s2, s3
	v_cndmask_b32_e32 v2, v2, v9, vcc
	s_cbranch_scc0 .LBB206_4
; %bb.5:
	v_cmp_gt_i32_e32 vcc, s2, v0
	s_and_saveexec_b64 s[0:1], vcc
	s_cbranch_execz .LBB206_7
.LBB206_6:
	s_load_dword s2, s[4:5], 0x30
	s_load_dwordx2 s[0:1], s[4:5], 0x20
	s_ashr_i32 s3, s6, 31
	s_waitcnt lgkmcnt(0)
	v_mul_f32_e32 v0, s2, v3
	s_mul_i32 s1, s6, s1
	s_mul_hi_u32 s2, s6, s0
	s_add_i32 s1, s2, s1
	s_mul_i32 s3, s3, s0
	s_add_i32 s1, s1, s3
	s_mul_i32 s0, s6, s0
	s_lshl_b64 s[0:1], s[0:1], 2
	s_add_u32 s2, s8, s0
	s_addc_u32 s3, s9, s1
	s_add_u32 s0, s10, s0
	s_addc_u32 s1, s11, s1
	global_store_dword v1, v0, s[2:3]
	global_store_dword v1, v2, s[0:1]
.LBB206_7:
	s_endpgm
.LBB206_8:
	v_mov_b32_e32 v3, 0
	v_cmp_gt_i32_e32 vcc, s2, v0
	s_and_saveexec_b64 s[0:1], vcc
	s_cbranch_execnz .LBB206_6
	s_branch .LBB206_7
	.section	.rodata,"a",@progbits
	.p2align	6, 0x0
	.amdhsa_kernel _ZN5aiter24topk_softplus_kernel_optI12hip_bfloat16fLi64ELb0ELi1EEEvPKT_PKT0_PfPimiif
		.amdhsa_group_segment_fixed_size 0
		.amdhsa_private_segment_fixed_size 0
		.amdhsa_kernarg_size 52
		.amdhsa_user_sgpr_count 6
		.amdhsa_user_sgpr_private_segment_buffer 1
		.amdhsa_user_sgpr_dispatch_ptr 0
		.amdhsa_user_sgpr_queue_ptr 0
		.amdhsa_user_sgpr_kernarg_segment_ptr 1
		.amdhsa_user_sgpr_dispatch_id 0
		.amdhsa_user_sgpr_flat_scratch_init 0
		.amdhsa_user_sgpr_kernarg_preload_length 0
		.amdhsa_user_sgpr_kernarg_preload_offset 0
		.amdhsa_user_sgpr_private_segment_size 0
		.amdhsa_uses_dynamic_stack 0
		.amdhsa_system_sgpr_private_segment_wavefront_offset 0
		.amdhsa_system_sgpr_workgroup_id_x 1
		.amdhsa_system_sgpr_workgroup_id_y 0
		.amdhsa_system_sgpr_workgroup_id_z 0
		.amdhsa_system_sgpr_workgroup_info 0
		.amdhsa_system_vgpr_workitem_id 0
		.amdhsa_next_free_vgpr 13
		.amdhsa_next_free_sgpr 13
		.amdhsa_accum_offset 16
		.amdhsa_reserve_vcc 1
		.amdhsa_reserve_flat_scratch 0
		.amdhsa_float_round_mode_32 0
		.amdhsa_float_round_mode_16_64 0
		.amdhsa_float_denorm_mode_32 3
		.amdhsa_float_denorm_mode_16_64 3
		.amdhsa_dx10_clamp 1
		.amdhsa_ieee_mode 1
		.amdhsa_fp16_overflow 0
		.amdhsa_tg_split 0
		.amdhsa_exception_fp_ieee_invalid_op 0
		.amdhsa_exception_fp_denorm_src 0
		.amdhsa_exception_fp_ieee_div_zero 0
		.amdhsa_exception_fp_ieee_overflow 0
		.amdhsa_exception_fp_ieee_underflow 0
		.amdhsa_exception_fp_ieee_inexact 0
		.amdhsa_exception_int_div_zero 0
	.end_amdhsa_kernel
	.section	.text._ZN5aiter24topk_softplus_kernel_optI12hip_bfloat16fLi64ELb0ELi1EEEvPKT_PKT0_PfPimiif,"axG",@progbits,_ZN5aiter24topk_softplus_kernel_optI12hip_bfloat16fLi64ELb0ELi1EEEvPKT_PKT0_PfPimiif,comdat
.Lfunc_end206:
	.size	_ZN5aiter24topk_softplus_kernel_optI12hip_bfloat16fLi64ELb0ELi1EEEvPKT_PKT0_PfPimiif, .Lfunc_end206-_ZN5aiter24topk_softplus_kernel_optI12hip_bfloat16fLi64ELb0ELi1EEEvPKT_PKT0_PfPimiif
                                        ; -- End function
	.section	.AMDGPU.csdata,"",@progbits
; Kernel info:
; codeLenInByte = 544
; NumSgprs: 17
; NumVgprs: 13
; NumAgprs: 0
; TotalNumVgprs: 13
; ScratchSize: 0
; MemoryBound: 0
; FloatMode: 240
; IeeeMode: 1
; LDSByteSize: 0 bytes/workgroup (compile time only)
; SGPRBlocks: 2
; VGPRBlocks: 1
; NumSGPRsForWavesPerEU: 17
; NumVGPRsForWavesPerEU: 13
; AccumOffset: 16
; Occupancy: 8
; WaveLimiterHint : 0
; COMPUTE_PGM_RSRC2:SCRATCH_EN: 0
; COMPUTE_PGM_RSRC2:USER_SGPR: 6
; COMPUTE_PGM_RSRC2:TRAP_HANDLER: 0
; COMPUTE_PGM_RSRC2:TGID_X_EN: 1
; COMPUTE_PGM_RSRC2:TGID_Y_EN: 0
; COMPUTE_PGM_RSRC2:TGID_Z_EN: 0
; COMPUTE_PGM_RSRC2:TIDIG_COMP_CNT: 0
; COMPUTE_PGM_RSRC3_GFX90A:ACCUM_OFFSET: 3
; COMPUTE_PGM_RSRC3_GFX90A:TG_SPLIT: 0
	.section	.text._ZN5aiter24topk_softplus_kernel_optI12hip_bfloat16fLi128ELb1ELi1EEEvPKT_PKT0_PfPimiif,"axG",@progbits,_ZN5aiter24topk_softplus_kernel_optI12hip_bfloat16fLi128ELb1ELi1EEEvPKT_PKT0_PfPimiif,comdat
	.protected	_ZN5aiter24topk_softplus_kernel_optI12hip_bfloat16fLi128ELb1ELi1EEEvPKT_PKT0_PfPimiif ; -- Begin function _ZN5aiter24topk_softplus_kernel_optI12hip_bfloat16fLi128ELb1ELi1EEEvPKT_PKT0_PfPimiif
	.globl	_ZN5aiter24topk_softplus_kernel_optI12hip_bfloat16fLi128ELb1ELi1EEEvPKT_PKT0_PfPimiif
	.p2align	8
	.type	_ZN5aiter24topk_softplus_kernel_optI12hip_bfloat16fLi128ELb1ELi1EEEvPKT_PKT0_PfPimiif,@function
_ZN5aiter24topk_softplus_kernel_optI12hip_bfloat16fLi128ELb1ELi1EEEvPKT_PKT0_PfPimiif: ; @_ZN5aiter24topk_softplus_kernel_optI12hip_bfloat16fLi128ELb1ELi1EEEvPKT_PKT0_PfPimiif
; %bb.0:
	s_load_dwordx4 s[0:3], s[4:5], 0x0
	s_lshl_b32 s8, s6, 7
	s_ashr_i32 s9, s8, 31
	s_lshl_b64 s[8:9], s[8:9], 1
	v_lshlrev_b32_e32 v2, 1, v0
	s_waitcnt lgkmcnt(0)
	s_add_u32 s8, s0, s8
	s_addc_u32 s9, s1, s9
	global_load_ushort v3, v2, s[8:9]
	s_mov_b32 s7, 0xc2fc0000
	v_mov_b32_e32 v1, 0x42800000
	v_mov_b32_e32 v5, 0x1f800000
	s_cmp_lg_u64 s[2:3], 0
	s_cselect_b64 s[0:1], -1, 0
	v_lshlrev_b32_e32 v7, 2, v0
	s_waitcnt vmcnt(0)
	v_lshlrev_b32_e32 v3, 16, v3
	v_mul_f32_e32 v4, 0xbfb8aa3b, v3
	v_cmp_gt_f32_e32 vcc, s7, v4
	v_cndmask_b32_e32 v4, 0, v1, vcc
	v_fmac_f32_e32 v4, 0xbfb8aa3b, v3
	v_exp_f32_e32 v3, v4
	v_cndmask_b32_e32 v6, 1.0, v5, vcc
	v_mov_b32_e32 v4, s9
	v_add_co_u32_e32 v2, vcc, s8, v2
	v_fma_f32 v3, v3, v6, 1.0
	v_rcp_f32_e32 v6, v3
	v_addc_co_u32_e32 v3, vcc, 0, v4, vcc
	s_and_b64 vcc, exec, s[0:1]
	v_mov_b32_e32 v4, v6
	s_cbranch_vccz .LBB207_2
; %bb.1:
	global_load_dword v4, v7, s[2:3]
	s_waitcnt vmcnt(0)
	v_add_f32_e32 v4, v6, v4
.LBB207_2:
	global_load_ushort v2, v[2:3], off offset:128
	s_waitcnt vmcnt(0)
	v_lshlrev_b32_e32 v2, 16, v2
	v_mul_f32_e32 v3, 0xbfb8aa3b, v2
	v_cmp_gt_f32_e32 vcc, s7, v3
	v_cndmask_b32_e32 v1, 0, v1, vcc
	v_fmac_f32_e32 v1, 0xbfb8aa3b, v2
	v_exp_f32_e32 v1, v1
	v_cndmask_b32_e32 v2, 1.0, v5, vcc
	s_andn2_b64 vcc, exec, s[0:1]
	v_fma_f32 v1, v1, v2, 1.0
	v_rcp_f32_e32 v11, v1
	v_mov_b32_e32 v5, v11
	s_cbranch_vccnz .LBB207_4
; %bb.3:
	global_load_dword v1, v7, s[2:3] offset:256
	s_waitcnt vmcnt(0)
	v_add_f32_e32 v5, v11, v1
.LBB207_4:
	s_load_dword s2, s[4:5], 0x28
	s_load_dwordx4 s[8:11], s[4:5], 0x10
	v_mov_b32_e32 v10, 0
	v_mov_b32_e32 v8, 0
	;; [unrolled: 1-line block ×3, first 2 shown]
	s_waitcnt lgkmcnt(0)
	s_cmp_gt_i32 s2, 0
	s_cbranch_scc0 .LBB207_7
; %bb.5:
	v_mbcnt_lo_u32_b32 v8, -1, 0
	v_add_u32_e32 v2, 64, v0
	v_cmp_lt_f32_e32 vcc, v4, v5
	v_mbcnt_hi_u32_b32 v8, -1, v8
	v_bfrev_b32_e32 v9, 0.5
	v_cndmask_b32_e32 v1, v2, v0, vcc
	v_cndmask_b32_e32 v2, v0, v2, vcc
	v_cndmask_b32_e32 v3, v5, v4, vcc
	v_cndmask_b32_e32 v4, v4, v5, vcc
	v_cndmask_b32_e32 v5, v11, v6, vcc
	v_cndmask_b32_e32 v6, v6, v11, vcc
	v_mov_b32_e32 v10, 0
	v_mov_b32_e32 v11, 0
	;; [unrolled: 1-line block ×3, first 2 shown]
	v_lshl_or_b32 v13, v8, 2, v9
	v_mov_b32_e32 v14, v0
	s_mov_b32 s3, s2
	v_mov_b32_e32 v8, 0
	v_mov_b32_e32 v9, 0
.LBB207_6:                              ; =>This Inner Loop Header: Depth=1
	v_cmp_eq_u32_e32 vcc, 1, v11
	v_cndmask_b32_e32 v15, v4, v3, vcc
	v_cmp_gt_u32_e64 s[0:1], 2, v11
	v_cndmask_b32_e64 v15, v12, v15, s[0:1]
	;;#ASMSTART
	v_max_f32 v19, v15, v15 quad_perm:[1,0,3,2] row_mask:0xf bank_mask:0xf bound_ctrl:1
	;;#ASMEND
	;;#ASMSTART
	v_max_f32 v20, v19, v19 quad_perm:[2,3,0,1] row_mask:0xf bank_mask:0xf bound_ctrl:1
	;;#ASMEND
	;;#ASMSTART
	v_max_f32 v19, v20, v20 row_half_mirror row_mask:0xf bank_mask:0xf bound_ctrl:1
	;;#ASMEND
	;;#ASMSTART
	v_max_f32 v20, v19, v19 row_mirror row_mask:0xf bank_mask:0xf bound_ctrl:1
	;;#ASMEND
	;;#ASMSTART
	v_max_f32 v19, v20, v20 row_ror:4 row_mask:0xf bank_mask:0xf bound_ctrl:1
	;;#ASMEND
	;;#ASMSTART
	v_max_f32 v20, v19, v19 row_ror:8 row_mask:0xf bank_mask:0xf bound_ctrl:1
	;;#ASMEND
	;;#ASMSTART
	v_max_f32 v19, v20, v20 row_bcast:15 row_mask:0xf bank_mask:0xf bound_ctrl:1
	;;#ASMEND
	;;#ASMSTART
	v_max_f32 v20, v19, v19 row_bcast:31 row_mask:0xf bank_mask:0xf bound_ctrl:1
	;;#ASMEND
	ds_bpermute_b32 v19, v13, v20
	v_cndmask_b32_e32 v16, v2, v1, vcc
	v_cndmask_b32_e32 v17, v6, v5, vcc
	v_cndmask_b32_e64 v18, 0, v16, s[0:1]
	s_waitcnt lgkmcnt(0)
	v_cmp_eq_f32_e32 vcc, v15, v19
	s_ff1_i32_b64 s7, vcc
	s_cmp_lg_u64 vcc, 0
	s_cselect_b32 s7, s7, 0
	v_readlane_b32 s7, v18, s7
	v_cmp_eq_u32_e32 vcc, s7, v16
	s_and_b64 vcc, s[0:1], vcc
	s_and_b32 s12, s7, 63
	v_cndmask_b32_e32 v16, 0, v17, vcc
	v_addc_co_u32_e32 v11, vcc, 0, v11, vcc
	v_readlane_b32 s0, v16, s12
	s_add_i32 s3, s3, -1
	v_mov_b32_e32 v15, s7
	v_mov_b32_e32 v16, s0
	v_cmp_eq_u32_e32 vcc, 0, v14
	s_cmp_eq_u32 s3, 0
	v_add_f32_e32 v10, s0, v10
	v_add_u32_e32 v14, -1, v14
	v_cndmask_b32_e32 v9, v9, v16, vcc
	v_cndmask_b32_e32 v8, v8, v15, vcc
	s_cbranch_scc0 .LBB207_6
.LBB207_7:
	v_cmp_gt_i32_e32 vcc, s2, v0
	s_and_saveexec_b64 s[0:1], vcc
	s_cbranch_execz .LBB207_9
; %bb.8:
	s_load_dword s2, s[4:5], 0x30
	v_max_f32_e32 v0, v10, v10
	v_max_f32_e32 v0, 0x1e3ce508, v0
	s_waitcnt lgkmcnt(0)
	v_div_scale_f32 v1, s[0:1], v0, v0, s2
	v_rcp_f32_e32 v2, v1
	v_div_scale_f32 v3, vcc, s2, v0, s2
	s_load_dwordx2 s[0:1], s[4:5], 0x20
	v_fma_f32 v4, -v1, v2, 1.0
	v_fmac_f32_e32 v2, v4, v2
	v_mul_f32_e32 v4, v3, v2
	v_fma_f32 v5, -v1, v4, v3
	v_fmac_f32_e32 v4, v5, v2
	v_fma_f32 v1, -v1, v4, v3
	v_div_fmas_f32 v1, v1, v2, v4
	v_div_fixup_f32 v0, v1, v0, s2
	s_ashr_i32 s2, s6, 31
	s_waitcnt lgkmcnt(0)
	s_mul_i32 s1, s6, s1
	s_mul_hi_u32 s3, s6, s0
	s_add_i32 s1, s3, s1
	s_mul_i32 s2, s2, s0
	s_add_i32 s1, s1, s2
	s_mul_i32 s0, s6, s0
	s_lshl_b64 s[0:1], s[0:1], 2
	s_add_u32 s2, s8, s0
	s_addc_u32 s3, s9, s1
	s_add_u32 s0, s10, s0
	v_mul_f32_e32 v0, v9, v0
	s_addc_u32 s1, s11, s1
	global_store_dword v7, v0, s[2:3]
	global_store_dword v7, v8, s[0:1]
.LBB207_9:
	s_endpgm
	.section	.rodata,"a",@progbits
	.p2align	6, 0x0
	.amdhsa_kernel _ZN5aiter24topk_softplus_kernel_optI12hip_bfloat16fLi128ELb1ELi1EEEvPKT_PKT0_PfPimiif
		.amdhsa_group_segment_fixed_size 0
		.amdhsa_private_segment_fixed_size 0
		.amdhsa_kernarg_size 52
		.amdhsa_user_sgpr_count 6
		.amdhsa_user_sgpr_private_segment_buffer 1
		.amdhsa_user_sgpr_dispatch_ptr 0
		.amdhsa_user_sgpr_queue_ptr 0
		.amdhsa_user_sgpr_kernarg_segment_ptr 1
		.amdhsa_user_sgpr_dispatch_id 0
		.amdhsa_user_sgpr_flat_scratch_init 0
		.amdhsa_user_sgpr_kernarg_preload_length 0
		.amdhsa_user_sgpr_kernarg_preload_offset 0
		.amdhsa_user_sgpr_private_segment_size 0
		.amdhsa_uses_dynamic_stack 0
		.amdhsa_system_sgpr_private_segment_wavefront_offset 0
		.amdhsa_system_sgpr_workgroup_id_x 1
		.amdhsa_system_sgpr_workgroup_id_y 0
		.amdhsa_system_sgpr_workgroup_id_z 0
		.amdhsa_system_sgpr_workgroup_info 0
		.amdhsa_system_vgpr_workitem_id 0
		.amdhsa_next_free_vgpr 21
		.amdhsa_next_free_sgpr 13
		.amdhsa_accum_offset 24
		.amdhsa_reserve_vcc 1
		.amdhsa_reserve_flat_scratch 0
		.amdhsa_float_round_mode_32 0
		.amdhsa_float_round_mode_16_64 0
		.amdhsa_float_denorm_mode_32 3
		.amdhsa_float_denorm_mode_16_64 3
		.amdhsa_dx10_clamp 1
		.amdhsa_ieee_mode 1
		.amdhsa_fp16_overflow 0
		.amdhsa_tg_split 0
		.amdhsa_exception_fp_ieee_invalid_op 0
		.amdhsa_exception_fp_denorm_src 0
		.amdhsa_exception_fp_ieee_div_zero 0
		.amdhsa_exception_fp_ieee_overflow 0
		.amdhsa_exception_fp_ieee_underflow 0
		.amdhsa_exception_fp_ieee_inexact 0
		.amdhsa_exception_int_div_zero 0
	.end_amdhsa_kernel
	.section	.text._ZN5aiter24topk_softplus_kernel_optI12hip_bfloat16fLi128ELb1ELi1EEEvPKT_PKT0_PfPimiif,"axG",@progbits,_ZN5aiter24topk_softplus_kernel_optI12hip_bfloat16fLi128ELb1ELi1EEEvPKT_PKT0_PfPimiif,comdat
.Lfunc_end207:
	.size	_ZN5aiter24topk_softplus_kernel_optI12hip_bfloat16fLi128ELb1ELi1EEEvPKT_PKT0_PfPimiif, .Lfunc_end207-_ZN5aiter24topk_softplus_kernel_optI12hip_bfloat16fLi128ELb1ELi1EEEvPKT_PKT0_PfPimiif
                                        ; -- End function
	.section	.AMDGPU.csdata,"",@progbits
; Kernel info:
; codeLenInByte = 792
; NumSgprs: 17
; NumVgprs: 21
; NumAgprs: 0
; TotalNumVgprs: 21
; ScratchSize: 0
; MemoryBound: 0
; FloatMode: 240
; IeeeMode: 1
; LDSByteSize: 0 bytes/workgroup (compile time only)
; SGPRBlocks: 2
; VGPRBlocks: 2
; NumSGPRsForWavesPerEU: 17
; NumVGPRsForWavesPerEU: 21
; AccumOffset: 24
; Occupancy: 8
; WaveLimiterHint : 0
; COMPUTE_PGM_RSRC2:SCRATCH_EN: 0
; COMPUTE_PGM_RSRC2:USER_SGPR: 6
; COMPUTE_PGM_RSRC2:TRAP_HANDLER: 0
; COMPUTE_PGM_RSRC2:TGID_X_EN: 1
; COMPUTE_PGM_RSRC2:TGID_Y_EN: 0
; COMPUTE_PGM_RSRC2:TGID_Z_EN: 0
; COMPUTE_PGM_RSRC2:TIDIG_COMP_CNT: 0
; COMPUTE_PGM_RSRC3_GFX90A:ACCUM_OFFSET: 5
; COMPUTE_PGM_RSRC3_GFX90A:TG_SPLIT: 0
	.section	.text._ZN5aiter24topk_softplus_kernel_optI12hip_bfloat16fLi128ELb0ELi1EEEvPKT_PKT0_PfPimiif,"axG",@progbits,_ZN5aiter24topk_softplus_kernel_optI12hip_bfloat16fLi128ELb0ELi1EEEvPKT_PKT0_PfPimiif,comdat
	.protected	_ZN5aiter24topk_softplus_kernel_optI12hip_bfloat16fLi128ELb0ELi1EEEvPKT_PKT0_PfPimiif ; -- Begin function _ZN5aiter24topk_softplus_kernel_optI12hip_bfloat16fLi128ELb0ELi1EEEvPKT_PKT0_PfPimiif
	.globl	_ZN5aiter24topk_softplus_kernel_optI12hip_bfloat16fLi128ELb0ELi1EEEvPKT_PKT0_PfPimiif
	.p2align	8
	.type	_ZN5aiter24topk_softplus_kernel_optI12hip_bfloat16fLi128ELb0ELi1EEEvPKT_PKT0_PfPimiif,@function
_ZN5aiter24topk_softplus_kernel_optI12hip_bfloat16fLi128ELb0ELi1EEEvPKT_PKT0_PfPimiif: ; @_ZN5aiter24topk_softplus_kernel_optI12hip_bfloat16fLi128ELb0ELi1EEEvPKT_PKT0_PfPimiif
; %bb.0:
	s_load_dwordx4 s[0:3], s[4:5], 0x0
	s_lshl_b32 s8, s6, 7
	s_ashr_i32 s9, s8, 31
	s_lshl_b64 s[8:9], s[8:9], 1
	v_lshlrev_b32_e32 v2, 1, v0
	s_waitcnt lgkmcnt(0)
	s_add_u32 s8, s0, s8
	s_addc_u32 s9, s1, s9
	global_load_ushort v3, v2, s[8:9]
	s_mov_b32 s7, 0xc2fc0000
	v_mov_b32_e32 v1, 0x42800000
	v_mov_b32_e32 v5, 0x1f800000
	s_cmp_lg_u64 s[2:3], 0
	s_cselect_b64 s[0:1], -1, 0
	v_lshlrev_b32_e32 v7, 2, v0
	s_waitcnt vmcnt(0)
	v_lshlrev_b32_e32 v3, 16, v3
	v_mul_f32_e32 v4, 0xbfb8aa3b, v3
	v_cmp_gt_f32_e32 vcc, s7, v4
	v_cndmask_b32_e32 v4, 0, v1, vcc
	v_fmac_f32_e32 v4, 0xbfb8aa3b, v3
	v_exp_f32_e32 v3, v4
	v_cndmask_b32_e32 v6, 1.0, v5, vcc
	v_mov_b32_e32 v4, s9
	v_add_co_u32_e32 v2, vcc, s8, v2
	v_fma_f32 v3, v3, v6, 1.0
	v_rcp_f32_e32 v6, v3
	v_addc_co_u32_e32 v3, vcc, 0, v4, vcc
	s_and_b64 vcc, exec, s[0:1]
	v_mov_b32_e32 v4, v6
	s_cbranch_vccz .LBB208_2
; %bb.1:
	global_load_dword v4, v7, s[2:3]
	s_waitcnt vmcnt(0)
	v_add_f32_e32 v4, v6, v4
.LBB208_2:
	global_load_ushort v2, v[2:3], off offset:128
	s_waitcnt vmcnt(0)
	v_lshlrev_b32_e32 v2, 16, v2
	v_mul_f32_e32 v3, 0xbfb8aa3b, v2
	v_cmp_gt_f32_e32 vcc, s7, v3
	v_cndmask_b32_e32 v1, 0, v1, vcc
	v_fmac_f32_e32 v1, 0xbfb8aa3b, v2
	v_exp_f32_e32 v1, v1
	v_cndmask_b32_e32 v2, 1.0, v5, vcc
	s_andn2_b64 vcc, exec, s[0:1]
	v_fma_f32 v1, v1, v2, 1.0
	v_rcp_f32_e32 v9, v1
	v_mov_b32_e32 v5, v9
	s_cbranch_vccnz .LBB208_4
; %bb.3:
	global_load_dword v1, v7, s[2:3] offset:256
	s_waitcnt vmcnt(0)
	v_add_f32_e32 v5, v9, v1
.LBB208_4:
	s_load_dword s2, s[4:5], 0x28
	s_load_dwordx4 s[8:11], s[4:5], 0x10
	v_mov_b32_e32 v8, 0
	s_waitcnt lgkmcnt(0)
	s_cmp_gt_i32 s2, 0
	s_cbranch_scc0 .LBB208_10
; %bb.5:
	v_mbcnt_lo_u32_b32 v8, -1, 0
	v_add_u32_e32 v2, 64, v0
	v_cmp_lt_f32_e32 vcc, v4, v5
	v_mbcnt_hi_u32_b32 v8, -1, v8
	v_bfrev_b32_e32 v12, 0.5
	v_cndmask_b32_e32 v1, v2, v0, vcc
	v_cndmask_b32_e32 v2, v0, v2, vcc
	v_cndmask_b32_e32 v3, v5, v4, vcc
	v_cndmask_b32_e32 v4, v4, v5, vcc
	v_cndmask_b32_e32 v5, v9, v6, vcc
	v_cndmask_b32_e32 v6, v6, v9, vcc
	v_mov_b32_e32 v10, 0
	v_mov_b32_e32 v9, 0
	;; [unrolled: 1-line block ×3, first 2 shown]
	v_lshl_or_b32 v12, v8, 2, v12
	v_mov_b32_e32 v13, v0
	s_mov_b32 s3, s2
	v_mov_b32_e32 v8, 0
.LBB208_6:                              ; =>This Inner Loop Header: Depth=1
	v_cmp_eq_u32_e32 vcc, 1, v10
	v_cndmask_b32_e32 v14, v4, v3, vcc
	v_cmp_gt_u32_e64 s[0:1], 2, v10
	v_cndmask_b32_e64 v14, v11, v14, s[0:1]
	;;#ASMSTART
	v_max_f32 v18, v14, v14 quad_perm:[1,0,3,2] row_mask:0xf bank_mask:0xf bound_ctrl:1
	;;#ASMEND
	;;#ASMSTART
	v_max_f32 v19, v18, v18 quad_perm:[2,3,0,1] row_mask:0xf bank_mask:0xf bound_ctrl:1
	;;#ASMEND
	;;#ASMSTART
	v_max_f32 v18, v19, v19 row_half_mirror row_mask:0xf bank_mask:0xf bound_ctrl:1
	;;#ASMEND
	;;#ASMSTART
	v_max_f32 v19, v18, v18 row_mirror row_mask:0xf bank_mask:0xf bound_ctrl:1
	;;#ASMEND
	;;#ASMSTART
	v_max_f32 v18, v19, v19 row_ror:4 row_mask:0xf bank_mask:0xf bound_ctrl:1
	;;#ASMEND
	;;#ASMSTART
	v_max_f32 v19, v18, v18 row_ror:8 row_mask:0xf bank_mask:0xf bound_ctrl:1
	;;#ASMEND
	;;#ASMSTART
	v_max_f32 v18, v19, v19 row_bcast:15 row_mask:0xf bank_mask:0xf bound_ctrl:1
	;;#ASMEND
	;;#ASMSTART
	v_max_f32 v19, v18, v18 row_bcast:31 row_mask:0xf bank_mask:0xf bound_ctrl:1
	;;#ASMEND
	ds_bpermute_b32 v18, v12, v19
	v_cndmask_b32_e32 v15, v2, v1, vcc
	v_cndmask_b32_e32 v16, v6, v5, vcc
	v_cndmask_b32_e64 v17, 0, v15, s[0:1]
	s_waitcnt lgkmcnt(0)
	v_cmp_eq_f32_e32 vcc, v14, v18
	s_ff1_i32_b64 s7, vcc
	s_cmp_lg_u64 vcc, 0
	s_cselect_b32 s7, s7, 0
	v_readlane_b32 s7, v17, s7
	v_cmp_eq_u32_e32 vcc, s7, v15
	s_and_b64 vcc, s[0:1], vcc
	s_and_b32 s12, s7, 63
	v_cndmask_b32_e32 v15, 0, v16, vcc
	v_addc_co_u32_e32 v10, vcc, 0, v10, vcc
	v_readlane_b32 s0, v15, s12
	s_add_i32 s3, s3, -1
	v_mov_b32_e32 v14, s7
	v_mov_b32_e32 v15, s0
	v_cmp_eq_u32_e32 vcc, 0, v13
	s_cmp_eq_u32 s3, 0
	v_add_u32_e32 v13, -1, v13
	v_cndmask_b32_e32 v9, v9, v15, vcc
	v_cndmask_b32_e32 v8, v8, v14, vcc
	s_cbranch_scc0 .LBB208_6
; %bb.7:
	v_cmp_gt_i32_e32 vcc, s2, v0
	s_and_saveexec_b64 s[0:1], vcc
	s_cbranch_execz .LBB208_9
.LBB208_8:
	s_load_dword s2, s[4:5], 0x30
	s_load_dwordx2 s[0:1], s[4:5], 0x20
	s_ashr_i32 s3, s6, 31
	s_waitcnt lgkmcnt(0)
	v_mul_f32_e32 v0, s2, v9
	s_mul_i32 s1, s6, s1
	s_mul_hi_u32 s2, s6, s0
	s_add_i32 s1, s2, s1
	s_mul_i32 s3, s3, s0
	s_add_i32 s1, s1, s3
	s_mul_i32 s0, s6, s0
	s_lshl_b64 s[0:1], s[0:1], 2
	s_add_u32 s2, s8, s0
	s_addc_u32 s3, s9, s1
	s_add_u32 s0, s10, s0
	s_addc_u32 s1, s11, s1
	global_store_dword v7, v0, s[2:3]
	global_store_dword v7, v8, s[0:1]
.LBB208_9:
	s_endpgm
.LBB208_10:
	v_mov_b32_e32 v9, 0
	v_cmp_gt_i32_e32 vcc, s2, v0
	s_and_saveexec_b64 s[0:1], vcc
	s_cbranch_execnz .LBB208_8
	s_branch .LBB208_9
	.section	.rodata,"a",@progbits
	.p2align	6, 0x0
	.amdhsa_kernel _ZN5aiter24topk_softplus_kernel_optI12hip_bfloat16fLi128ELb0ELi1EEEvPKT_PKT0_PfPimiif
		.amdhsa_group_segment_fixed_size 0
		.amdhsa_private_segment_fixed_size 0
		.amdhsa_kernarg_size 52
		.amdhsa_user_sgpr_count 6
		.amdhsa_user_sgpr_private_segment_buffer 1
		.amdhsa_user_sgpr_dispatch_ptr 0
		.amdhsa_user_sgpr_queue_ptr 0
		.amdhsa_user_sgpr_kernarg_segment_ptr 1
		.amdhsa_user_sgpr_dispatch_id 0
		.amdhsa_user_sgpr_flat_scratch_init 0
		.amdhsa_user_sgpr_kernarg_preload_length 0
		.amdhsa_user_sgpr_kernarg_preload_offset 0
		.amdhsa_user_sgpr_private_segment_size 0
		.amdhsa_uses_dynamic_stack 0
		.amdhsa_system_sgpr_private_segment_wavefront_offset 0
		.amdhsa_system_sgpr_workgroup_id_x 1
		.amdhsa_system_sgpr_workgroup_id_y 0
		.amdhsa_system_sgpr_workgroup_id_z 0
		.amdhsa_system_sgpr_workgroup_info 0
		.amdhsa_system_vgpr_workitem_id 0
		.amdhsa_next_free_vgpr 20
		.amdhsa_next_free_sgpr 13
		.amdhsa_accum_offset 20
		.amdhsa_reserve_vcc 1
		.amdhsa_reserve_flat_scratch 0
		.amdhsa_float_round_mode_32 0
		.amdhsa_float_round_mode_16_64 0
		.amdhsa_float_denorm_mode_32 3
		.amdhsa_float_denorm_mode_16_64 3
		.amdhsa_dx10_clamp 1
		.amdhsa_ieee_mode 1
		.amdhsa_fp16_overflow 0
		.amdhsa_tg_split 0
		.amdhsa_exception_fp_ieee_invalid_op 0
		.amdhsa_exception_fp_denorm_src 0
		.amdhsa_exception_fp_ieee_div_zero 0
		.amdhsa_exception_fp_ieee_overflow 0
		.amdhsa_exception_fp_ieee_underflow 0
		.amdhsa_exception_fp_ieee_inexact 0
		.amdhsa_exception_int_div_zero 0
	.end_amdhsa_kernel
	.section	.text._ZN5aiter24topk_softplus_kernel_optI12hip_bfloat16fLi128ELb0ELi1EEEvPKT_PKT0_PfPimiif,"axG",@progbits,_ZN5aiter24topk_softplus_kernel_optI12hip_bfloat16fLi128ELb0ELi1EEEvPKT_PKT0_PfPimiif,comdat
.Lfunc_end208:
	.size	_ZN5aiter24topk_softplus_kernel_optI12hip_bfloat16fLi128ELb0ELi1EEEvPKT_PKT0_PfPimiif, .Lfunc_end208-_ZN5aiter24topk_softplus_kernel_optI12hip_bfloat16fLi128ELb0ELi1EEEvPKT_PKT0_PfPimiif
                                        ; -- End function
	.section	.AMDGPU.csdata,"",@progbits
; Kernel info:
; codeLenInByte = 708
; NumSgprs: 17
; NumVgprs: 20
; NumAgprs: 0
; TotalNumVgprs: 20
; ScratchSize: 0
; MemoryBound: 0
; FloatMode: 240
; IeeeMode: 1
; LDSByteSize: 0 bytes/workgroup (compile time only)
; SGPRBlocks: 2
; VGPRBlocks: 2
; NumSGPRsForWavesPerEU: 17
; NumVGPRsForWavesPerEU: 20
; AccumOffset: 20
; Occupancy: 8
; WaveLimiterHint : 0
; COMPUTE_PGM_RSRC2:SCRATCH_EN: 0
; COMPUTE_PGM_RSRC2:USER_SGPR: 6
; COMPUTE_PGM_RSRC2:TRAP_HANDLER: 0
; COMPUTE_PGM_RSRC2:TGID_X_EN: 1
; COMPUTE_PGM_RSRC2:TGID_Y_EN: 0
; COMPUTE_PGM_RSRC2:TGID_Z_EN: 0
; COMPUTE_PGM_RSRC2:TIDIG_COMP_CNT: 0
; COMPUTE_PGM_RSRC3_GFX90A:ACCUM_OFFSET: 4
; COMPUTE_PGM_RSRC3_GFX90A:TG_SPLIT: 0
	.section	.text._ZN5aiter24topk_softplus_kernel_optI12hip_bfloat16fLi256ELb1ELi1EEEvPKT_PKT0_PfPimiif,"axG",@progbits,_ZN5aiter24topk_softplus_kernel_optI12hip_bfloat16fLi256ELb1ELi1EEEvPKT_PKT0_PfPimiif,comdat
	.protected	_ZN5aiter24topk_softplus_kernel_optI12hip_bfloat16fLi256ELb1ELi1EEEvPKT_PKT0_PfPimiif ; -- Begin function _ZN5aiter24topk_softplus_kernel_optI12hip_bfloat16fLi256ELb1ELi1EEEvPKT_PKT0_PfPimiif
	.globl	_ZN5aiter24topk_softplus_kernel_optI12hip_bfloat16fLi256ELb1ELi1EEEvPKT_PKT0_PfPimiif
	.p2align	8
	.type	_ZN5aiter24topk_softplus_kernel_optI12hip_bfloat16fLi256ELb1ELi1EEEvPKT_PKT0_PfPimiif,@function
_ZN5aiter24topk_softplus_kernel_optI12hip_bfloat16fLi256ELb1ELi1EEEvPKT_PKT0_PfPimiif: ; @_ZN5aiter24topk_softplus_kernel_optI12hip_bfloat16fLi256ELb1ELi1EEEvPKT_PKT0_PfPimiif
; %bb.0:
	s_load_dwordx4 s[0:3], s[4:5], 0x0
	s_lshl_b32 s8, s6, 8
	s_ashr_i32 s9, s8, 31
	s_lshl_b64 s[8:9], s[8:9], 1
	v_lshlrev_b32_e32 v4, 1, v0
	s_waitcnt lgkmcnt(0)
	s_add_u32 s10, s0, s8
	s_addc_u32 s11, s1, s9
	global_load_ushort v2, v4, s[10:11]
	s_mov_b32 s0, 0xc2fc0000
	v_mov_b32_e32 v1, 0x42800000
	v_mov_b32_e32 v3, 0x1f800000
	s_cmp_lg_u64 s[2:3], 0
	s_cselect_b64 s[8:9], -1, 0
	v_lshlrev_b32_e32 v13, 2, v0
	s_waitcnt vmcnt(0)
	v_lshlrev_b32_e32 v2, 16, v2
	v_mul_f32_e32 v5, 0xbfb8aa3b, v2
	v_cmp_gt_f32_e32 vcc, s0, v5
	v_cndmask_b32_e32 v5, 0, v1, vcc
	v_fmac_f32_e32 v5, 0xbfb8aa3b, v2
	v_exp_f32_e32 v2, v5
	v_cndmask_b32_e32 v6, 1.0, v3, vcc
	v_mov_b32_e32 v5, s11
	v_add_co_u32_e32 v4, vcc, s10, v4
	v_fma_f32 v2, v2, v6, 1.0
	v_rcp_f32_e32 v2, v2
	v_addc_co_u32_e32 v5, vcc, 0, v5, vcc
	s_and_b64 vcc, exec, s[8:9]
	v_mov_b32_e32 v10, v2
	s_cbranch_vccz .LBB209_2
; %bb.1:
	global_load_dword v6, v13, s[2:3]
	s_waitcnt vmcnt(0)
	v_add_f32_e32 v10, v2, v6
.LBB209_2:
	global_load_ushort v6, v[4:5], off offset:128
	s_waitcnt vmcnt(0)
	v_lshlrev_b32_e32 v6, 16, v6
	v_mul_f32_e32 v7, 0xbfb8aa3b, v6
	v_cmp_gt_f32_e32 vcc, s0, v7
	v_cndmask_b32_e32 v1, 0, v1, vcc
	v_fmac_f32_e32 v1, 0xbfb8aa3b, v6
	v_exp_f32_e32 v1, v1
	v_cndmask_b32_e32 v3, 1.0, v3, vcc
	s_andn2_b64 vcc, exec, s[8:9]
	v_fma_f32 v1, v1, v3, 1.0
	v_rcp_f32_e32 v1, v1
	v_cndmask_b32_e64 v3, 0, 1, s[8:9]
	v_cmp_ne_u32_e64 s[0:1], 1, v3
	v_mov_b32_e32 v12, v1
	s_cbranch_vccnz .LBB209_4
; %bb.3:
	global_load_dword v3, v13, s[2:3] offset:256
	s_waitcnt vmcnt(0)
	v_add_f32_e32 v12, v1, v3
.LBB209_4:
	global_load_ushort v6, v[4:5], off offset:256
	s_mov_b32 s7, 0xc2fc0000
	v_mov_b32_e32 v3, 0x42800000
	s_waitcnt vmcnt(0)
	v_lshlrev_b32_e32 v6, 16, v6
	v_mul_f32_e32 v7, 0xbfb8aa3b, v6
	v_cmp_gt_f32_e32 vcc, s7, v7
	v_cndmask_b32_e32 v7, 0, v3, vcc
	v_fmac_f32_e32 v7, 0xbfb8aa3b, v6
	v_exp_f32_e32 v6, v7
	v_mov_b32_e32 v7, 0x1f800000
	v_cndmask_b32_e32 v8, 1.0, v7, vcc
	s_and_b64 vcc, exec, s[0:1]
	v_fma_f32 v6, v6, v8, 1.0
	v_rcp_f32_e32 v8, v6
	v_mov_b32_e32 v6, v8
	s_cbranch_vccnz .LBB209_6
; %bb.5:
	global_load_dword v6, v13, s[2:3] offset:512
	s_waitcnt vmcnt(0)
	v_add_f32_e32 v6, v8, v6
.LBB209_6:
	global_load_ushort v4, v[4:5], off offset:384
	s_waitcnt vmcnt(0)
	v_lshlrev_b32_e32 v4, 16, v4
	v_mul_f32_e32 v5, 0xbfb8aa3b, v4
	v_cmp_gt_f32_e32 vcc, s7, v5
	v_cndmask_b32_e32 v3, 0, v3, vcc
	v_fmac_f32_e32 v3, 0xbfb8aa3b, v4
	v_exp_f32_e32 v3, v3
	v_cndmask_b32_e32 v4, 1.0, v7, vcc
	s_and_b64 vcc, exec, s[0:1]
	v_fma_f32 v3, v3, v4, 1.0
	v_rcp_f32_e32 v3, v3
	v_mov_b32_e32 v5, v3
	s_cbranch_vccnz .LBB209_8
; %bb.7:
	global_load_dword v4, v13, s[2:3] offset:768
	s_waitcnt vmcnt(0)
	v_add_f32_e32 v5, v3, v4
.LBB209_8:
	v_add_u32_e32 v4, 64, v0
	v_cmp_lt_f32_e32 vcc, v10, v12
	v_add_u32_e32 v16, 0x80, v0
	v_add_u32_e32 v7, 0xc0, v0
	v_cndmask_b32_e32 v11, v1, v2, vcc
	v_cndmask_b32_e32 v2, v2, v1, vcc
	;; [unrolled: 1-line block ×6, first 2 shown]
	v_cmp_lt_f32_e32 vcc, v6, v5
	v_mov_b32_e32 v12, v6
	s_and_saveexec_b64 s[0:1], vcc
	s_xor_b64 s[0:1], exec, s[0:1]
; %bb.9:
	v_mov_b32_e32 v12, v16
	v_mov_b32_e32 v14, v6
	;; [unrolled: 1-line block ×4, first 2 shown]
	v_swap_b32 v8, v3
	v_swap_b32 v16, v7
	v_mov_b32_e32 v12, v5
	v_mov_b32_e32 v5, v14
; %bb.10:
	s_or_b64 exec, exec, s[0:1]
	v_cmp_lt_f32_e32 vcc, v15, v6
	v_cndmask_b32_e32 v14, v8, v2, vcc
	v_cndmask_b32_e32 v2, v2, v8, vcc
	;; [unrolled: 1-line block ×6, first 2 shown]
	v_cmp_lt_f32_e32 vcc, v9, v5
	v_mov_b32_e32 v15, v9
	s_and_saveexec_b64 s[0:1], vcc
; %bb.11:
	v_mov_b32_e32 v15, v1
	v_mov_b32_e32 v16, v9
	;; [unrolled: 1-line block ×4, first 2 shown]
	v_swap_b32 v11, v3
	v_swap_b32 v1, v7
	v_mov_b32_e32 v15, v5
	v_mov_b32_e32 v5, v16
; %bb.12:
	s_or_b64 exec, exec, s[0:1]
	s_load_dword s2, s[4:5], 0x28
	s_load_dwordx4 s[8:11], s[4:5], 0x10
	v_mov_b32_e32 v16, 0
	s_waitcnt lgkmcnt(0)
	s_cmp_lt_i32 s2, 1
	s_cbranch_scc1 .LBB209_18
; %bb.13:
	v_cmp_lt_f32_e32 vcc, v9, v12
	v_cndmask_b32_e32 v8, v10, v1, vcc
	v_cndmask_b32_e32 v1, v1, v10, vcc
	;; [unrolled: 1-line block ×6, first 2 shown]
	v_mbcnt_lo_u32_b32 v14, -1, 0
	v_mbcnt_hi_u32_b32 v14, -1, v14
	v_bfrev_b32_e32 v15, 0.5
	v_mov_b32_e32 v16, 0
	v_mov_b32_e32 v17, 0
	;; [unrolled: 1-line block ×3, first 2 shown]
	v_lshl_or_b32 v19, v14, 2, v15
	v_mov_b32_e32 v20, v0
	s_mov_b32 s3, s2
	v_mov_b32_e32 v14, 0
	v_mov_b32_e32 v15, 0
.LBB209_14:                             ; =>This Inner Loop Header: Depth=1
	v_cmp_eq_u32_e32 vcc, 1, v17
	v_cndmask_b32_e32 v21, v6, v9, vcc
	v_cmp_eq_u32_e64 s[0:1], 2, v17
	v_cndmask_b32_e64 v21, v21, v10, s[0:1]
	v_cndmask_b32_e32 v22, v4, v1, vcc
	v_cndmask_b32_e32 v23, v2, v11, vcc
	v_cmp_eq_u32_e32 vcc, 3, v17
	v_cndmask_b32_e32 v21, v21, v5, vcc
	v_cndmask_b32_e64 v22, v22, v8, s[0:1]
	v_cndmask_b32_e64 v23, v23, v12, s[0:1]
	v_cmp_gt_u32_e64 s[0:1], 4, v17
	v_cndmask_b32_e64 v21, v18, v21, s[0:1]
	;;#ASMSTART
	v_max_f32 v25, v21, v21 quad_perm:[1,0,3,2] row_mask:0xf bank_mask:0xf bound_ctrl:1
	;;#ASMEND
	;;#ASMSTART
	v_max_f32 v26, v25, v25 quad_perm:[2,3,0,1] row_mask:0xf bank_mask:0xf bound_ctrl:1
	;;#ASMEND
	;;#ASMSTART
	v_max_f32 v25, v26, v26 row_half_mirror row_mask:0xf bank_mask:0xf bound_ctrl:1
	;;#ASMEND
	;;#ASMSTART
	v_max_f32 v26, v25, v25 row_mirror row_mask:0xf bank_mask:0xf bound_ctrl:1
	;;#ASMEND
	;;#ASMSTART
	v_max_f32 v25, v26, v26 row_ror:4 row_mask:0xf bank_mask:0xf bound_ctrl:1
	;;#ASMEND
	;;#ASMSTART
	v_max_f32 v26, v25, v25 row_ror:8 row_mask:0xf bank_mask:0xf bound_ctrl:1
	;;#ASMEND
	;;#ASMSTART
	v_max_f32 v25, v26, v26 row_bcast:15 row_mask:0xf bank_mask:0xf bound_ctrl:1
	;;#ASMEND
	;;#ASMSTART
	v_max_f32 v26, v25, v25 row_bcast:31 row_mask:0xf bank_mask:0xf bound_ctrl:1
	;;#ASMEND
	ds_bpermute_b32 v25, v19, v26
	v_cndmask_b32_e32 v22, v22, v7, vcc
	v_cndmask_b32_e32 v23, v23, v3, vcc
	v_cndmask_b32_e64 v24, 0, v22, s[0:1]
	s_waitcnt lgkmcnt(0)
	v_cmp_eq_f32_e32 vcc, v21, v25
	s_ff1_i32_b64 s7, vcc
	s_cmp_lg_u64 vcc, 0
	s_cselect_b32 s7, s7, 0
	v_readlane_b32 s7, v24, s7
	v_cmp_eq_u32_e32 vcc, s7, v22
	s_and_b64 vcc, s[0:1], vcc
	s_and_b32 s12, s7, 63
	v_cndmask_b32_e32 v22, 0, v23, vcc
	v_addc_co_u32_e32 v17, vcc, 0, v17, vcc
	v_readlane_b32 s0, v22, s12
	s_add_i32 s3, s3, -1
	v_mov_b32_e32 v21, s7
	v_mov_b32_e32 v22, s0
	v_cmp_eq_u32_e32 vcc, 0, v20
	s_cmp_eq_u32 s3, 0
	v_add_f32_e32 v16, s0, v16
	v_add_u32_e32 v20, -1, v20
	v_cndmask_b32_e32 v15, v15, v22, vcc
	v_cndmask_b32_e32 v14, v14, v21, vcc
	s_cbranch_scc0 .LBB209_14
; %bb.15:
	v_cmp_gt_i32_e32 vcc, s2, v0
	s_and_saveexec_b64 s[0:1], vcc
	s_cbranch_execz .LBB209_17
.LBB209_16:
	s_load_dword s2, s[4:5], 0x30
	v_max_f32_e32 v0, v16, v16
	v_max_f32_e32 v0, 0x1e3ce508, v0
	s_waitcnt lgkmcnt(0)
	v_div_scale_f32 v1, s[0:1], v0, v0, s2
	v_rcp_f32_e32 v2, v1
	v_div_scale_f32 v3, vcc, s2, v0, s2
	s_load_dwordx2 s[0:1], s[4:5], 0x20
	v_fma_f32 v4, -v1, v2, 1.0
	v_fmac_f32_e32 v2, v4, v2
	v_mul_f32_e32 v4, v3, v2
	v_fma_f32 v5, -v1, v4, v3
	v_fmac_f32_e32 v4, v5, v2
	v_fma_f32 v1, -v1, v4, v3
	v_div_fmas_f32 v1, v1, v2, v4
	v_div_fixup_f32 v0, v1, v0, s2
	s_ashr_i32 s2, s6, 31
	s_waitcnt lgkmcnt(0)
	s_mul_i32 s1, s6, s1
	s_mul_hi_u32 s3, s6, s0
	s_add_i32 s1, s3, s1
	s_mul_i32 s2, s2, s0
	s_add_i32 s1, s1, s2
	s_mul_i32 s0, s6, s0
	s_lshl_b64 s[0:1], s[0:1], 2
	s_add_u32 s2, s8, s0
	s_addc_u32 s3, s9, s1
	s_add_u32 s0, s10, s0
	v_mul_f32_e32 v0, v15, v0
	s_addc_u32 s1, s11, s1
	global_store_dword v13, v0, s[2:3]
	global_store_dword v13, v14, s[0:1]
.LBB209_17:
	s_endpgm
.LBB209_18:
	v_mov_b32_e32 v14, 0
	v_mov_b32_e32 v15, 0
	v_cmp_gt_i32_e32 vcc, s2, v0
	s_and_saveexec_b64 s[0:1], vcc
	s_cbranch_execnz .LBB209_16
	s_branch .LBB209_17
	.section	.rodata,"a",@progbits
	.p2align	6, 0x0
	.amdhsa_kernel _ZN5aiter24topk_softplus_kernel_optI12hip_bfloat16fLi256ELb1ELi1EEEvPKT_PKT0_PfPimiif
		.amdhsa_group_segment_fixed_size 0
		.amdhsa_private_segment_fixed_size 0
		.amdhsa_kernarg_size 52
		.amdhsa_user_sgpr_count 6
		.amdhsa_user_sgpr_private_segment_buffer 1
		.amdhsa_user_sgpr_dispatch_ptr 0
		.amdhsa_user_sgpr_queue_ptr 0
		.amdhsa_user_sgpr_kernarg_segment_ptr 1
		.amdhsa_user_sgpr_dispatch_id 0
		.amdhsa_user_sgpr_flat_scratch_init 0
		.amdhsa_user_sgpr_kernarg_preload_length 0
		.amdhsa_user_sgpr_kernarg_preload_offset 0
		.amdhsa_user_sgpr_private_segment_size 0
		.amdhsa_uses_dynamic_stack 0
		.amdhsa_system_sgpr_private_segment_wavefront_offset 0
		.amdhsa_system_sgpr_workgroup_id_x 1
		.amdhsa_system_sgpr_workgroup_id_y 0
		.amdhsa_system_sgpr_workgroup_id_z 0
		.amdhsa_system_sgpr_workgroup_info 0
		.amdhsa_system_vgpr_workitem_id 0
		.amdhsa_next_free_vgpr 27
		.amdhsa_next_free_sgpr 13
		.amdhsa_accum_offset 28
		.amdhsa_reserve_vcc 1
		.amdhsa_reserve_flat_scratch 0
		.amdhsa_float_round_mode_32 0
		.amdhsa_float_round_mode_16_64 0
		.amdhsa_float_denorm_mode_32 3
		.amdhsa_float_denorm_mode_16_64 3
		.amdhsa_dx10_clamp 1
		.amdhsa_ieee_mode 1
		.amdhsa_fp16_overflow 0
		.amdhsa_tg_split 0
		.amdhsa_exception_fp_ieee_invalid_op 0
		.amdhsa_exception_fp_denorm_src 0
		.amdhsa_exception_fp_ieee_div_zero 0
		.amdhsa_exception_fp_ieee_overflow 0
		.amdhsa_exception_fp_ieee_underflow 0
		.amdhsa_exception_fp_ieee_inexact 0
		.amdhsa_exception_int_div_zero 0
	.end_amdhsa_kernel
	.section	.text._ZN5aiter24topk_softplus_kernel_optI12hip_bfloat16fLi256ELb1ELi1EEEvPKT_PKT0_PfPimiif,"axG",@progbits,_ZN5aiter24topk_softplus_kernel_optI12hip_bfloat16fLi256ELb1ELi1EEEvPKT_PKT0_PfPimiif,comdat
.Lfunc_end209:
	.size	_ZN5aiter24topk_softplus_kernel_optI12hip_bfloat16fLi256ELb1ELi1EEEvPKT_PKT0_PfPimiif, .Lfunc_end209-_ZN5aiter24topk_softplus_kernel_optI12hip_bfloat16fLi256ELb1ELi1EEEvPKT_PKT0_PfPimiif
                                        ; -- End function
	.section	.AMDGPU.csdata,"",@progbits
; Kernel info:
; codeLenInByte = 1244
; NumSgprs: 17
; NumVgprs: 27
; NumAgprs: 0
; TotalNumVgprs: 27
; ScratchSize: 0
; MemoryBound: 0
; FloatMode: 240
; IeeeMode: 1
; LDSByteSize: 0 bytes/workgroup (compile time only)
; SGPRBlocks: 2
; VGPRBlocks: 3
; NumSGPRsForWavesPerEU: 17
; NumVGPRsForWavesPerEU: 27
; AccumOffset: 28
; Occupancy: 8
; WaveLimiterHint : 0
; COMPUTE_PGM_RSRC2:SCRATCH_EN: 0
; COMPUTE_PGM_RSRC2:USER_SGPR: 6
; COMPUTE_PGM_RSRC2:TRAP_HANDLER: 0
; COMPUTE_PGM_RSRC2:TGID_X_EN: 1
; COMPUTE_PGM_RSRC2:TGID_Y_EN: 0
; COMPUTE_PGM_RSRC2:TGID_Z_EN: 0
; COMPUTE_PGM_RSRC2:TIDIG_COMP_CNT: 0
; COMPUTE_PGM_RSRC3_GFX90A:ACCUM_OFFSET: 6
; COMPUTE_PGM_RSRC3_GFX90A:TG_SPLIT: 0
	.section	.text._ZN5aiter24topk_softplus_kernel_optI12hip_bfloat16fLi256ELb0ELi1EEEvPKT_PKT0_PfPimiif,"axG",@progbits,_ZN5aiter24topk_softplus_kernel_optI12hip_bfloat16fLi256ELb0ELi1EEEvPKT_PKT0_PfPimiif,comdat
	.protected	_ZN5aiter24topk_softplus_kernel_optI12hip_bfloat16fLi256ELb0ELi1EEEvPKT_PKT0_PfPimiif ; -- Begin function _ZN5aiter24topk_softplus_kernel_optI12hip_bfloat16fLi256ELb0ELi1EEEvPKT_PKT0_PfPimiif
	.globl	_ZN5aiter24topk_softplus_kernel_optI12hip_bfloat16fLi256ELb0ELi1EEEvPKT_PKT0_PfPimiif
	.p2align	8
	.type	_ZN5aiter24topk_softplus_kernel_optI12hip_bfloat16fLi256ELb0ELi1EEEvPKT_PKT0_PfPimiif,@function
_ZN5aiter24topk_softplus_kernel_optI12hip_bfloat16fLi256ELb0ELi1EEEvPKT_PKT0_PfPimiif: ; @_ZN5aiter24topk_softplus_kernel_optI12hip_bfloat16fLi256ELb0ELi1EEEvPKT_PKT0_PfPimiif
; %bb.0:
	s_load_dwordx4 s[0:3], s[4:5], 0x0
	s_lshl_b32 s8, s6, 8
	s_ashr_i32 s9, s8, 31
	s_lshl_b64 s[8:9], s[8:9], 1
	v_lshlrev_b32_e32 v4, 1, v0
	s_waitcnt lgkmcnt(0)
	s_add_u32 s10, s0, s8
	s_addc_u32 s11, s1, s9
	global_load_ushort v2, v4, s[10:11]
	s_mov_b32 s0, 0xc2fc0000
	v_mov_b32_e32 v1, 0x42800000
	v_mov_b32_e32 v3, 0x1f800000
	s_cmp_lg_u64 s[2:3], 0
	s_cselect_b64 s[8:9], -1, 0
	v_lshlrev_b32_e32 v13, 2, v0
	s_waitcnt vmcnt(0)
	v_lshlrev_b32_e32 v2, 16, v2
	v_mul_f32_e32 v5, 0xbfb8aa3b, v2
	v_cmp_gt_f32_e32 vcc, s0, v5
	v_cndmask_b32_e32 v5, 0, v1, vcc
	v_fmac_f32_e32 v5, 0xbfb8aa3b, v2
	v_exp_f32_e32 v2, v5
	v_cndmask_b32_e32 v6, 1.0, v3, vcc
	v_mov_b32_e32 v5, s11
	v_add_co_u32_e32 v4, vcc, s10, v4
	v_fma_f32 v2, v2, v6, 1.0
	v_rcp_f32_e32 v2, v2
	v_addc_co_u32_e32 v5, vcc, 0, v5, vcc
	s_and_b64 vcc, exec, s[8:9]
	v_mov_b32_e32 v10, v2
	s_cbranch_vccz .LBB210_2
; %bb.1:
	global_load_dword v6, v13, s[2:3]
	s_waitcnt vmcnt(0)
	v_add_f32_e32 v10, v2, v6
.LBB210_2:
	global_load_ushort v6, v[4:5], off offset:128
	s_waitcnt vmcnt(0)
	v_lshlrev_b32_e32 v6, 16, v6
	v_mul_f32_e32 v7, 0xbfb8aa3b, v6
	v_cmp_gt_f32_e32 vcc, s0, v7
	v_cndmask_b32_e32 v1, 0, v1, vcc
	v_fmac_f32_e32 v1, 0xbfb8aa3b, v6
	v_exp_f32_e32 v1, v1
	v_cndmask_b32_e32 v3, 1.0, v3, vcc
	s_andn2_b64 vcc, exec, s[8:9]
	v_fma_f32 v1, v1, v3, 1.0
	v_rcp_f32_e32 v1, v1
	v_cndmask_b32_e64 v3, 0, 1, s[8:9]
	v_cmp_ne_u32_e64 s[0:1], 1, v3
	v_mov_b32_e32 v12, v1
	s_cbranch_vccnz .LBB210_4
; %bb.3:
	global_load_dword v3, v13, s[2:3] offset:256
	s_waitcnt vmcnt(0)
	v_add_f32_e32 v12, v1, v3
.LBB210_4:
	global_load_ushort v6, v[4:5], off offset:256
	s_mov_b32 s7, 0xc2fc0000
	v_mov_b32_e32 v3, 0x42800000
	s_waitcnt vmcnt(0)
	v_lshlrev_b32_e32 v6, 16, v6
	v_mul_f32_e32 v7, 0xbfb8aa3b, v6
	v_cmp_gt_f32_e32 vcc, s7, v7
	v_cndmask_b32_e32 v7, 0, v3, vcc
	v_fmac_f32_e32 v7, 0xbfb8aa3b, v6
	v_exp_f32_e32 v6, v7
	v_mov_b32_e32 v7, 0x1f800000
	v_cndmask_b32_e32 v8, 1.0, v7, vcc
	s_and_b64 vcc, exec, s[0:1]
	v_fma_f32 v6, v6, v8, 1.0
	v_rcp_f32_e32 v8, v6
	v_mov_b32_e32 v6, v8
	s_cbranch_vccnz .LBB210_6
; %bb.5:
	global_load_dword v6, v13, s[2:3] offset:512
	s_waitcnt vmcnt(0)
	v_add_f32_e32 v6, v8, v6
.LBB210_6:
	global_load_ushort v4, v[4:5], off offset:384
	s_waitcnt vmcnt(0)
	v_lshlrev_b32_e32 v4, 16, v4
	v_mul_f32_e32 v5, 0xbfb8aa3b, v4
	v_cmp_gt_f32_e32 vcc, s7, v5
	v_cndmask_b32_e32 v3, 0, v3, vcc
	v_fmac_f32_e32 v3, 0xbfb8aa3b, v4
	v_exp_f32_e32 v3, v3
	v_cndmask_b32_e32 v4, 1.0, v7, vcc
	s_and_b64 vcc, exec, s[0:1]
	v_fma_f32 v3, v3, v4, 1.0
	v_rcp_f32_e32 v3, v3
	v_mov_b32_e32 v5, v3
	s_cbranch_vccnz .LBB210_8
; %bb.7:
	global_load_dword v4, v13, s[2:3] offset:768
	s_waitcnt vmcnt(0)
	v_add_f32_e32 v5, v3, v4
.LBB210_8:
	v_add_u32_e32 v4, 64, v0
	v_cmp_lt_f32_e32 vcc, v10, v12
	v_add_u32_e32 v16, 0x80, v0
	v_add_u32_e32 v7, 0xc0, v0
	v_cndmask_b32_e32 v11, v1, v2, vcc
	v_cndmask_b32_e32 v2, v2, v1, vcc
	;; [unrolled: 1-line block ×6, first 2 shown]
	v_cmp_lt_f32_e32 vcc, v6, v5
	v_mov_b32_e32 v12, v6
	s_and_saveexec_b64 s[0:1], vcc
	s_xor_b64 s[0:1], exec, s[0:1]
; %bb.9:
	v_mov_b32_e32 v12, v16
	v_mov_b32_e32 v14, v6
	;; [unrolled: 1-line block ×4, first 2 shown]
	v_swap_b32 v8, v3
	v_swap_b32 v16, v7
	v_mov_b32_e32 v12, v5
	v_mov_b32_e32 v5, v14
; %bb.10:
	s_or_b64 exec, exec, s[0:1]
	v_cmp_lt_f32_e32 vcc, v15, v6
	v_cndmask_b32_e32 v14, v8, v2, vcc
	v_cndmask_b32_e32 v2, v2, v8, vcc
	;; [unrolled: 1-line block ×6, first 2 shown]
	v_cmp_lt_f32_e32 vcc, v9, v5
	v_mov_b32_e32 v15, v9
	s_and_saveexec_b64 s[0:1], vcc
; %bb.11:
	v_mov_b32_e32 v15, v1
	v_mov_b32_e32 v16, v9
	;; [unrolled: 1-line block ×4, first 2 shown]
	v_swap_b32 v11, v3
	v_swap_b32 v1, v7
	v_mov_b32_e32 v15, v5
	v_mov_b32_e32 v5, v16
; %bb.12:
	s_or_b64 exec, exec, s[0:1]
	s_load_dword s2, s[4:5], 0x28
	s_load_dwordx4 s[8:11], s[4:5], 0x10
	s_waitcnt lgkmcnt(0)
	s_cmp_lt_i32 s2, 1
	s_cbranch_scc1 .LBB210_18
; %bb.13:
	v_cmp_lt_f32_e32 vcc, v9, v12
	v_cndmask_b32_e32 v8, v10, v1, vcc
	v_cndmask_b32_e32 v1, v1, v10, vcc
	;; [unrolled: 1-line block ×6, first 2 shown]
	v_mbcnt_lo_u32_b32 v14, -1, 0
	v_mbcnt_hi_u32_b32 v14, -1, v14
	v_bfrev_b32_e32 v18, 0.5
	v_mov_b32_e32 v16, 0
	v_mov_b32_e32 v15, 0
	;; [unrolled: 1-line block ×3, first 2 shown]
	v_lshl_or_b32 v18, v14, 2, v18
	v_mov_b32_e32 v19, v0
	s_mov_b32 s3, s2
	v_mov_b32_e32 v14, 0
.LBB210_14:                             ; =>This Inner Loop Header: Depth=1
	v_cmp_eq_u32_e32 vcc, 1, v16
	v_cndmask_b32_e32 v20, v6, v9, vcc
	v_cmp_eq_u32_e64 s[0:1], 2, v16
	v_cndmask_b32_e64 v20, v20, v10, s[0:1]
	v_cndmask_b32_e32 v21, v4, v1, vcc
	v_cndmask_b32_e32 v22, v2, v11, vcc
	v_cmp_eq_u32_e32 vcc, 3, v16
	v_cndmask_b32_e32 v20, v20, v5, vcc
	v_cndmask_b32_e64 v21, v21, v8, s[0:1]
	v_cndmask_b32_e64 v22, v22, v12, s[0:1]
	v_cmp_gt_u32_e64 s[0:1], 4, v16
	v_cndmask_b32_e64 v20, v17, v20, s[0:1]
	;;#ASMSTART
	v_max_f32 v24, v20, v20 quad_perm:[1,0,3,2] row_mask:0xf bank_mask:0xf bound_ctrl:1
	;;#ASMEND
	;;#ASMSTART
	v_max_f32 v25, v24, v24 quad_perm:[2,3,0,1] row_mask:0xf bank_mask:0xf bound_ctrl:1
	;;#ASMEND
	;;#ASMSTART
	v_max_f32 v24, v25, v25 row_half_mirror row_mask:0xf bank_mask:0xf bound_ctrl:1
	;;#ASMEND
	;;#ASMSTART
	v_max_f32 v25, v24, v24 row_mirror row_mask:0xf bank_mask:0xf bound_ctrl:1
	;;#ASMEND
	;;#ASMSTART
	v_max_f32 v24, v25, v25 row_ror:4 row_mask:0xf bank_mask:0xf bound_ctrl:1
	;;#ASMEND
	;;#ASMSTART
	v_max_f32 v25, v24, v24 row_ror:8 row_mask:0xf bank_mask:0xf bound_ctrl:1
	;;#ASMEND
	;;#ASMSTART
	v_max_f32 v24, v25, v25 row_bcast:15 row_mask:0xf bank_mask:0xf bound_ctrl:1
	;;#ASMEND
	;;#ASMSTART
	v_max_f32 v25, v24, v24 row_bcast:31 row_mask:0xf bank_mask:0xf bound_ctrl:1
	;;#ASMEND
	ds_bpermute_b32 v24, v18, v25
	v_cndmask_b32_e32 v21, v21, v7, vcc
	v_cndmask_b32_e32 v22, v22, v3, vcc
	v_cndmask_b32_e64 v23, 0, v21, s[0:1]
	s_waitcnt lgkmcnt(0)
	v_cmp_eq_f32_e32 vcc, v20, v24
	s_ff1_i32_b64 s7, vcc
	s_cmp_lg_u64 vcc, 0
	s_cselect_b32 s7, s7, 0
	v_readlane_b32 s7, v23, s7
	v_cmp_eq_u32_e32 vcc, s7, v21
	s_and_b64 vcc, s[0:1], vcc
	s_and_b32 s12, s7, 63
	v_cndmask_b32_e32 v21, 0, v22, vcc
	v_addc_co_u32_e32 v16, vcc, 0, v16, vcc
	v_readlane_b32 s0, v21, s12
	s_add_i32 s3, s3, -1
	v_mov_b32_e32 v20, s7
	v_mov_b32_e32 v21, s0
	v_cmp_eq_u32_e32 vcc, 0, v19
	s_cmp_eq_u32 s3, 0
	v_add_u32_e32 v19, -1, v19
	v_cndmask_b32_e32 v15, v15, v21, vcc
	v_cndmask_b32_e32 v14, v14, v20, vcc
	s_cbranch_scc0 .LBB210_14
; %bb.15:
	v_cmp_gt_i32_e32 vcc, s2, v0
	s_and_saveexec_b64 s[0:1], vcc
	s_cbranch_execz .LBB210_17
.LBB210_16:
	s_load_dword s2, s[4:5], 0x30
	s_load_dwordx2 s[0:1], s[4:5], 0x20
	s_ashr_i32 s3, s6, 31
	s_waitcnt lgkmcnt(0)
	v_mul_f32_e32 v0, s2, v15
	s_mul_i32 s1, s6, s1
	s_mul_hi_u32 s2, s6, s0
	s_add_i32 s1, s2, s1
	s_mul_i32 s3, s3, s0
	s_add_i32 s1, s1, s3
	s_mul_i32 s0, s6, s0
	s_lshl_b64 s[0:1], s[0:1], 2
	s_add_u32 s2, s8, s0
	s_addc_u32 s3, s9, s1
	s_add_u32 s0, s10, s0
	s_addc_u32 s1, s11, s1
	global_store_dword v13, v0, s[2:3]
	global_store_dword v13, v14, s[0:1]
.LBB210_17:
	s_endpgm
.LBB210_18:
	v_mov_b32_e32 v14, 0
	v_mov_b32_e32 v15, 0
	v_cmp_gt_i32_e32 vcc, s2, v0
	s_and_saveexec_b64 s[0:1], vcc
	s_cbranch_execnz .LBB210_16
	s_branch .LBB210_17
	.section	.rodata,"a",@progbits
	.p2align	6, 0x0
	.amdhsa_kernel _ZN5aiter24topk_softplus_kernel_optI12hip_bfloat16fLi256ELb0ELi1EEEvPKT_PKT0_PfPimiif
		.amdhsa_group_segment_fixed_size 0
		.amdhsa_private_segment_fixed_size 0
		.amdhsa_kernarg_size 52
		.amdhsa_user_sgpr_count 6
		.amdhsa_user_sgpr_private_segment_buffer 1
		.amdhsa_user_sgpr_dispatch_ptr 0
		.amdhsa_user_sgpr_queue_ptr 0
		.amdhsa_user_sgpr_kernarg_segment_ptr 1
		.amdhsa_user_sgpr_dispatch_id 0
		.amdhsa_user_sgpr_flat_scratch_init 0
		.amdhsa_user_sgpr_kernarg_preload_length 0
		.amdhsa_user_sgpr_kernarg_preload_offset 0
		.amdhsa_user_sgpr_private_segment_size 0
		.amdhsa_uses_dynamic_stack 0
		.amdhsa_system_sgpr_private_segment_wavefront_offset 0
		.amdhsa_system_sgpr_workgroup_id_x 1
		.amdhsa_system_sgpr_workgroup_id_y 0
		.amdhsa_system_sgpr_workgroup_id_z 0
		.amdhsa_system_sgpr_workgroup_info 0
		.amdhsa_system_vgpr_workitem_id 0
		.amdhsa_next_free_vgpr 26
		.amdhsa_next_free_sgpr 13
		.amdhsa_accum_offset 28
		.amdhsa_reserve_vcc 1
		.amdhsa_reserve_flat_scratch 0
		.amdhsa_float_round_mode_32 0
		.amdhsa_float_round_mode_16_64 0
		.amdhsa_float_denorm_mode_32 3
		.amdhsa_float_denorm_mode_16_64 3
		.amdhsa_dx10_clamp 1
		.amdhsa_ieee_mode 1
		.amdhsa_fp16_overflow 0
		.amdhsa_tg_split 0
		.amdhsa_exception_fp_ieee_invalid_op 0
		.amdhsa_exception_fp_denorm_src 0
		.amdhsa_exception_fp_ieee_div_zero 0
		.amdhsa_exception_fp_ieee_overflow 0
		.amdhsa_exception_fp_ieee_underflow 0
		.amdhsa_exception_fp_ieee_inexact 0
		.amdhsa_exception_int_div_zero 0
	.end_amdhsa_kernel
	.section	.text._ZN5aiter24topk_softplus_kernel_optI12hip_bfloat16fLi256ELb0ELi1EEEvPKT_PKT0_PfPimiif,"axG",@progbits,_ZN5aiter24topk_softplus_kernel_optI12hip_bfloat16fLi256ELb0ELi1EEEvPKT_PKT0_PfPimiif,comdat
.Lfunc_end210:
	.size	_ZN5aiter24topk_softplus_kernel_optI12hip_bfloat16fLi256ELb0ELi1EEEvPKT_PKT0_PfPimiif, .Lfunc_end210-_ZN5aiter24topk_softplus_kernel_optI12hip_bfloat16fLi256ELb0ELi1EEEvPKT_PKT0_PfPimiif
                                        ; -- End function
	.section	.AMDGPU.csdata,"",@progbits
; Kernel info:
; codeLenInByte = 1144
; NumSgprs: 17
; NumVgprs: 26
; NumAgprs: 0
; TotalNumVgprs: 26
; ScratchSize: 0
; MemoryBound: 0
; FloatMode: 240
; IeeeMode: 1
; LDSByteSize: 0 bytes/workgroup (compile time only)
; SGPRBlocks: 2
; VGPRBlocks: 3
; NumSGPRsForWavesPerEU: 17
; NumVGPRsForWavesPerEU: 26
; AccumOffset: 28
; Occupancy: 8
; WaveLimiterHint : 0
; COMPUTE_PGM_RSRC2:SCRATCH_EN: 0
; COMPUTE_PGM_RSRC2:USER_SGPR: 6
; COMPUTE_PGM_RSRC2:TRAP_HANDLER: 0
; COMPUTE_PGM_RSRC2:TGID_X_EN: 1
; COMPUTE_PGM_RSRC2:TGID_Y_EN: 0
; COMPUTE_PGM_RSRC2:TGID_Z_EN: 0
; COMPUTE_PGM_RSRC2:TIDIG_COMP_CNT: 0
; COMPUTE_PGM_RSRC3_GFX90A:ACCUM_OFFSET: 6
; COMPUTE_PGM_RSRC3_GFX90A:TG_SPLIT: 0
	.section	.text._ZN5aiter24topk_softplus_kernel_optI12hip_bfloat16fLi384ELb1ELi1EEEvPKT_PKT0_PfPimiif,"axG",@progbits,_ZN5aiter24topk_softplus_kernel_optI12hip_bfloat16fLi384ELb1ELi1EEEvPKT_PKT0_PfPimiif,comdat
	.protected	_ZN5aiter24topk_softplus_kernel_optI12hip_bfloat16fLi384ELb1ELi1EEEvPKT_PKT0_PfPimiif ; -- Begin function _ZN5aiter24topk_softplus_kernel_optI12hip_bfloat16fLi384ELb1ELi1EEEvPKT_PKT0_PfPimiif
	.globl	_ZN5aiter24topk_softplus_kernel_optI12hip_bfloat16fLi384ELb1ELi1EEEvPKT_PKT0_PfPimiif
	.p2align	8
	.type	_ZN5aiter24topk_softplus_kernel_optI12hip_bfloat16fLi384ELb1ELi1EEEvPKT_PKT0_PfPimiif,@function
_ZN5aiter24topk_softplus_kernel_optI12hip_bfloat16fLi384ELb1ELi1EEEvPKT_PKT0_PfPimiif: ; @_ZN5aiter24topk_softplus_kernel_optI12hip_bfloat16fLi384ELb1ELi1EEEvPKT_PKT0_PfPimiif
; %bb.0:
	s_load_dwordx4 s[0:3], s[4:5], 0x0
	s_mul_i32 s8, s6, 0x180
	s_ashr_i32 s9, s8, 31
	s_lshl_b64 s[8:9], s[8:9], 1
	v_lshlrev_b32_e32 v2, 1, v0
	s_waitcnt lgkmcnt(0)
	s_add_u32 s10, s0, s8
	s_addc_u32 s11, s1, s9
	global_load_ushort v1, v2, s[10:11]
	s_mov_b32 s0, 0xc2fc0000
	v_mov_b32_e32 v5, 0x42800000
	v_mov_b32_e32 v6, 0x1f800000
	s_cmp_lg_u64 s[2:3], 0
	s_cselect_b64 s[8:9], -1, 0
	v_lshlrev_b32_e32 v19, 2, v0
	s_waitcnt vmcnt(0)
	v_lshlrev_b32_e32 v1, 16, v1
	v_mul_f32_e32 v3, 0xbfb8aa3b, v1
	v_cmp_gt_f32_e32 vcc, s0, v3
	v_cndmask_b32_e32 v3, 0, v5, vcc
	v_fmac_f32_e32 v3, 0xbfb8aa3b, v1
	v_exp_f32_e32 v1, v3
	v_cndmask_b32_e32 v4, 1.0, v6, vcc
	v_mov_b32_e32 v3, s11
	v_add_co_u32_e32 v2, vcc, s10, v2
	v_fma_f32 v1, v1, v4, 1.0
	v_rcp_f32_e32 v1, v1
	v_addc_co_u32_e32 v3, vcc, 0, v3, vcc
	s_and_b64 vcc, exec, s[8:9]
	v_mov_b32_e32 v4, v1
	s_cbranch_vccz .LBB211_2
; %bb.1:
	global_load_dword v4, v19, s[2:3]
	s_waitcnt vmcnt(0)
	v_add_f32_e32 v4, v1, v4
.LBB211_2:
	global_load_ushort v7, v[2:3], off offset:128
	s_waitcnt vmcnt(0)
	v_lshlrev_b32_e32 v7, 16, v7
	v_mul_f32_e32 v8, 0xbfb8aa3b, v7
	v_cmp_gt_f32_e32 vcc, s0, v8
	v_cndmask_b32_e32 v5, 0, v5, vcc
	v_fmac_f32_e32 v5, 0xbfb8aa3b, v7
	v_exp_f32_e32 v5, v5
	v_cndmask_b32_e32 v6, 1.0, v6, vcc
	s_andn2_b64 vcc, exec, s[8:9]
	v_fma_f32 v5, v5, v6, 1.0
	v_rcp_f32_e32 v5, v5
	v_cndmask_b32_e64 v6, 0, 1, s[8:9]
	v_cmp_ne_u32_e64 s[0:1], 1, v6
	v_mov_b32_e32 v6, v5
	s_cbranch_vccnz .LBB211_4
; %bb.3:
	global_load_dword v6, v19, s[2:3] offset:256
	s_waitcnt vmcnt(0)
	v_add_f32_e32 v6, v5, v6
.LBB211_4:
	global_load_ushort v7, v[2:3], off offset:256
	s_mov_b32 s7, 0xc2fc0000
	v_mov_b32_e32 v9, 0x42800000
	v_mov_b32_e32 v10, 0x1f800000
	s_waitcnt vmcnt(0)
	v_lshlrev_b32_e32 v7, 16, v7
	v_mul_f32_e32 v8, 0xbfb8aa3b, v7
	v_cmp_gt_f32_e32 vcc, s7, v8
	v_cndmask_b32_e32 v8, 0, v9, vcc
	v_fmac_f32_e32 v8, 0xbfb8aa3b, v7
	v_exp_f32_e32 v7, v8
	v_cndmask_b32_e32 v8, 1.0, v10, vcc
	s_and_b64 vcc, exec, s[0:1]
	v_fma_f32 v7, v7, v8, 1.0
	v_rcp_f32_e32 v7, v7
	v_mov_b32_e32 v8, v7
	s_cbranch_vccnz .LBB211_6
; %bb.5:
	global_load_dword v8, v19, s[2:3] offset:512
	s_waitcnt vmcnt(0)
	v_add_f32_e32 v8, v7, v8
.LBB211_6:
	global_load_ushort v11, v[2:3], off offset:384
	s_waitcnt vmcnt(0)
	v_lshlrev_b32_e32 v11, 16, v11
	v_mul_f32_e32 v12, 0xbfb8aa3b, v11
	v_cmp_gt_f32_e32 vcc, s7, v12
	v_cndmask_b32_e32 v9, 0, v9, vcc
	v_fmac_f32_e32 v9, 0xbfb8aa3b, v11
	v_exp_f32_e32 v9, v9
	v_cndmask_b32_e32 v10, 1.0, v10, vcc
	s_and_b64 vcc, exec, s[0:1]
	v_fma_f32 v9, v9, v10, 1.0
	v_rcp_f32_e32 v9, v9
	v_mov_b32_e32 v10, v9
	s_cbranch_vccnz .LBB211_8
; %bb.7:
	global_load_dword v10, v19, s[2:3] offset:768
	s_waitcnt vmcnt(0)
	v_add_f32_e32 v10, v9, v10
.LBB211_8:
	global_load_ushort v11, v[2:3], off offset:512
	v_mov_b32_e32 v13, 0x42800000
	v_mov_b32_e32 v14, 0x1f800000
	s_waitcnt vmcnt(0)
	v_lshlrev_b32_e32 v11, 16, v11
	v_mul_f32_e32 v12, 0xbfb8aa3b, v11
	v_cmp_gt_f32_e32 vcc, s7, v12
	v_cndmask_b32_e32 v12, 0, v13, vcc
	v_fmac_f32_e32 v12, 0xbfb8aa3b, v11
	v_exp_f32_e32 v11, v12
	v_cndmask_b32_e32 v12, 1.0, v14, vcc
	s_and_b64 vcc, exec, s[0:1]
	v_fma_f32 v11, v11, v12, 1.0
	v_rcp_f32_e32 v11, v11
	v_mov_b32_e32 v12, v11
	s_cbranch_vccnz .LBB211_10
; %bb.9:
	global_load_dword v12, v19, s[2:3] offset:1024
	s_waitcnt vmcnt(0)
	v_add_f32_e32 v12, v11, v12
.LBB211_10:
	global_load_ushort v2, v[2:3], off offset:640
	s_waitcnt vmcnt(0)
	v_lshlrev_b32_e32 v2, 16, v2
	v_mul_f32_e32 v3, 0xbfb8aa3b, v2
	v_cmp_gt_f32_e32 vcc, s7, v3
	v_cndmask_b32_e32 v3, 0, v13, vcc
	v_fmac_f32_e32 v3, 0xbfb8aa3b, v2
	v_exp_f32_e32 v2, v3
	v_cndmask_b32_e32 v3, 1.0, v14, vcc
	s_and_b64 vcc, exec, s[0:1]
	v_fma_f32 v2, v2, v3, 1.0
	v_rcp_f32_e32 v2, v2
	v_mov_b32_e32 v3, v2
	s_cbranch_vccnz .LBB211_12
; %bb.11:
	global_load_dword v3, v19, s[2:3] offset:1280
	s_waitcnt vmcnt(0)
	v_add_f32_e32 v3, v2, v3
.LBB211_12:
	v_add_u32_e32 v13, 64, v0
	v_cmp_lt_f32_e32 vcc, v4, v6
	v_add_u32_e32 v14, 0x80, v0
	v_add_u32_e32 v15, 0xc0, v0
	v_cndmask_b32_e32 v18, v5, v1, vcc
	v_cndmask_b32_e32 v1, v1, v5, vcc
	;; [unrolled: 1-line block ×6, first 2 shown]
	v_cmp_lt_f32_e32 vcc, v8, v10
	v_add_u32_e32 v16, 0x100, v0
	v_add_u32_e32 v17, 0x140, v0
	v_cndmask_b32_e32 v6, v9, v7, vcc
	v_cndmask_b32_e32 v7, v7, v9, vcc
	v_cndmask_b32_e32 v9, v15, v14, vcc
	v_cndmask_b32_e32 v14, v14, v15, vcc
	v_cndmask_b32_e32 v15, v10, v8, vcc
	v_cndmask_b32_e32 v8, v8, v10, vcc
	v_cmp_lt_f32_e32 vcc, v12, v3
	v_cndmask_b32_e32 v10, v2, v11, vcc
	v_cndmask_b32_e32 v2, v11, v2, vcc
	v_cndmask_b32_e32 v11, v17, v16, vcc
	v_cndmask_b32_e32 v16, v16, v17, vcc
	v_cndmask_b32_e32 v17, v3, v12, vcc
	v_cndmask_b32_e32 v3, v12, v3, vcc
	v_cmp_lt_f32_e32 vcc, v4, v8
	;; [unrolled: 7-line block ×7, first 2 shown]
	v_cndmask_b32_e32 v12, v23, v11, vcc
	v_cmp_lt_f32_e64 s[0:1], v25, v27
	v_cndmask_b32_e32 v5, v18, v21, vcc
	v_cndmask_b32_e32 v8, v21, v18, vcc
	;; [unrolled: 1-line block ×3, first 2 shown]
	v_cndmask_b32_e64 v18, v3, v1, s[0:1]
	v_cndmask_b32_e64 v14, v26, v13, s[0:1]
	;; [unrolled: 1-line block ×3, first 2 shown]
	v_cmp_lt_f32_e64 s[2:3], v16, v12
	v_cndmask_b32_e32 v10, v22, v24, vcc
	v_cndmask_b32_e32 v9, v11, v23, vcc
	v_cndmask_b32_e64 v1, v1, v3, s[0:1]
	v_cndmask_b32_e64 v3, v13, v26, s[0:1]
	;; [unrolled: 1-line block ×3, first 2 shown]
	s_and_saveexec_b64 s[0:1], s[2:3]
	s_xor_b64 s[0:1], exec, s[0:1]
; %bb.13:
	v_mov_b32_e32 v13, v20
	v_mov_b32_e32 v21, v15
	;; [unrolled: 1-line block ×3, first 2 shown]
	v_swap_b32 v16, v12
	v_swap_b32 v20, v8
	;; [unrolled: 1-line block ×3, first 2 shown]
; %bb.14:
	s_or_b64 exec, exec, s[0:1]
	s_load_dword s7, s[4:5], 0x28
	s_load_dwordx4 s[16:19], s[4:5], 0x10
	v_mov_b32_e32 v22, 0
	s_waitcnt lgkmcnt(0)
	s_cmp_lt_i32 s7, 1
	s_cbranch_scc1 .LBB211_20
; %bb.15:
	v_cmp_lt_f32_e32 vcc, v17, v16
	v_cndmask_b32_e32 v13, v15, v14, vcc
	v_cndmask_b32_e32 v14, v14, v15, vcc
	;; [unrolled: 1-line block ×6, first 2 shown]
	v_mbcnt_lo_u32_b32 v20, -1, 0
	v_mbcnt_hi_u32_b32 v20, -1, v20
	v_bfrev_b32_e32 v21, 0.5
	v_mov_b32_e32 v22, 0
	v_mov_b32_e32 v23, 0
	v_mov_b32_e32 v24, 0xff800000
	v_lshl_or_b32 v25, v20, 2, v21
	v_mov_b32_e32 v26, v0
	s_mov_b32 s20, s7
	v_mov_b32_e32 v20, 0
	v_mov_b32_e32 v21, 0
.LBB211_16:                             ; =>This Inner Loop Header: Depth=1
	v_cmp_eq_u32_e32 vcc, 1, v23
	v_cndmask_b32_e32 v27, v6, v11, vcc
	v_cmp_eq_u32_e64 s[0:1], 2, v23
	v_cndmask_b32_e64 v27, v27, v16, s[0:1]
	v_cmp_eq_u32_e64 s[2:3], 3, v23
	v_cndmask_b32_e64 v27, v27, v15, s[2:3]
	;; [unrolled: 2-line block ×4, first 2 shown]
	v_cmp_gt_u32_e64 s[12:13], 6, v23
	v_cndmask_b32_e64 v27, v24, v27, s[12:13]
	;;#ASMSTART
	v_max_f32 v28, v27, v27 quad_perm:[1,0,3,2] row_mask:0xf bank_mask:0xf bound_ctrl:1
	;;#ASMEND
	;;#ASMSTART
	v_max_f32 v29, v28, v28 quad_perm:[2,3,0,1] row_mask:0xf bank_mask:0xf bound_ctrl:1
	;;#ASMEND
	;;#ASMSTART
	v_max_f32 v28, v29, v29 row_half_mirror row_mask:0xf bank_mask:0xf bound_ctrl:1
	;;#ASMEND
	;;#ASMSTART
	v_max_f32 v29, v28, v28 row_mirror row_mask:0xf bank_mask:0xf bound_ctrl:1
	;;#ASMEND
	;;#ASMSTART
	v_max_f32 v28, v29, v29 row_ror:4 row_mask:0xf bank_mask:0xf bound_ctrl:1
	;;#ASMEND
	;;#ASMSTART
	v_max_f32 v29, v28, v28 row_ror:8 row_mask:0xf bank_mask:0xf bound_ctrl:1
	;;#ASMEND
	;;#ASMSTART
	v_max_f32 v28, v29, v29 row_bcast:15 row_mask:0xf bank_mask:0xf bound_ctrl:1
	;;#ASMEND
	;;#ASMSTART
	v_max_f32 v29, v28, v28 row_bcast:31 row_mask:0xf bank_mask:0xf bound_ctrl:1
	;;#ASMEND
	ds_bpermute_b32 v28, v25, v29
	s_waitcnt lgkmcnt(0)
	v_cmp_eq_f32_e64 s[14:15], v27, v28
	v_cndmask_b32_e32 v27, v4, v3, vcc
	v_cndmask_b32_e64 v27, v27, v14, s[0:1]
	v_cndmask_b32_e64 v27, v27, v13, s[2:3]
	;; [unrolled: 1-line block ×4, first 2 shown]
	s_ff1_i32_b64 s21, s[14:15]
	s_cmp_lg_u64 s[14:15], 0
	s_cselect_b32 s14, s21, 0
	v_cndmask_b32_e64 v28, 0, v27, s[12:13]
	v_readlane_b32 s21, v28, s14
	v_cmp_eq_u32_e64 s[14:15], s21, v27
	v_cndmask_b32_e32 v27, v2, v1, vcc
	v_cndmask_b32_e64 v27, v27, v18, s[0:1]
	v_cndmask_b32_e64 v27, v27, v17, s[2:3]
	;; [unrolled: 1-line block ×4, first 2 shown]
	s_and_b64 vcc, s[12:13], s[14:15]
	s_and_b32 s0, s21, 63
	v_cndmask_b32_e32 v27, 0, v27, vcc
	v_readlane_b32 s2, v27, s0
	v_mov_b32_e32 v27, s2
	v_cmp_eq_u32_e64 s[0:1], 0, v26
	v_cndmask_b32_e64 v21, v21, v27, s[0:1]
	v_mov_b32_e32 v27, s21
	s_add_i32 s20, s20, -1
	v_cndmask_b32_e64 v20, v20, v27, s[0:1]
	v_addc_co_u32_e32 v23, vcc, 0, v23, vcc
	s_cmp_eq_u32 s20, 0
	v_add_f32_e32 v22, s2, v22
	v_add_u32_e32 v26, -1, v26
	s_cbranch_scc0 .LBB211_16
; %bb.17:
	v_cmp_gt_i32_e32 vcc, s7, v0
	s_and_saveexec_b64 s[0:1], vcc
	s_cbranch_execz .LBB211_19
.LBB211_18:
	s_load_dword s2, s[4:5], 0x30
	v_max_f32_e32 v0, v22, v22
	v_max_f32_e32 v0, 0x1e3ce508, v0
	s_waitcnt lgkmcnt(0)
	v_div_scale_f32 v1, s[0:1], v0, v0, s2
	v_rcp_f32_e32 v2, v1
	v_div_scale_f32 v3, vcc, s2, v0, s2
	s_load_dwordx2 s[0:1], s[4:5], 0x20
	v_fma_f32 v4, -v1, v2, 1.0
	v_fmac_f32_e32 v2, v4, v2
	v_mul_f32_e32 v4, v3, v2
	v_fma_f32 v5, -v1, v4, v3
	v_fmac_f32_e32 v4, v5, v2
	v_fma_f32 v1, -v1, v4, v3
	v_div_fmas_f32 v1, v1, v2, v4
	v_div_fixup_f32 v0, v1, v0, s2
	s_ashr_i32 s2, s6, 31
	s_waitcnt lgkmcnt(0)
	s_mul_i32 s1, s6, s1
	s_mul_hi_u32 s3, s6, s0
	s_add_i32 s1, s3, s1
	s_mul_i32 s2, s2, s0
	s_add_i32 s1, s1, s2
	s_mul_i32 s0, s6, s0
	s_lshl_b64 s[0:1], s[0:1], 2
	s_add_u32 s2, s16, s0
	s_addc_u32 s3, s17, s1
	s_add_u32 s0, s18, s0
	v_mul_f32_e32 v0, v21, v0
	s_addc_u32 s1, s19, s1
	global_store_dword v19, v0, s[2:3]
	global_store_dword v19, v20, s[0:1]
.LBB211_19:
	s_endpgm
.LBB211_20:
	v_mov_b32_e32 v20, 0
	v_mov_b32_e32 v21, 0
	v_cmp_gt_i32_e32 vcc, s7, v0
	s_and_saveexec_b64 s[0:1], vcc
	s_cbranch_execnz .LBB211_18
	s_branch .LBB211_19
	.section	.rodata,"a",@progbits
	.p2align	6, 0x0
	.amdhsa_kernel _ZN5aiter24topk_softplus_kernel_optI12hip_bfloat16fLi384ELb1ELi1EEEvPKT_PKT0_PfPimiif
		.amdhsa_group_segment_fixed_size 0
		.amdhsa_private_segment_fixed_size 0
		.amdhsa_kernarg_size 52
		.amdhsa_user_sgpr_count 6
		.amdhsa_user_sgpr_private_segment_buffer 1
		.amdhsa_user_sgpr_dispatch_ptr 0
		.amdhsa_user_sgpr_queue_ptr 0
		.amdhsa_user_sgpr_kernarg_segment_ptr 1
		.amdhsa_user_sgpr_dispatch_id 0
		.amdhsa_user_sgpr_flat_scratch_init 0
		.amdhsa_user_sgpr_kernarg_preload_length 0
		.amdhsa_user_sgpr_kernarg_preload_offset 0
		.amdhsa_user_sgpr_private_segment_size 0
		.amdhsa_uses_dynamic_stack 0
		.amdhsa_system_sgpr_private_segment_wavefront_offset 0
		.amdhsa_system_sgpr_workgroup_id_x 1
		.amdhsa_system_sgpr_workgroup_id_y 0
		.amdhsa_system_sgpr_workgroup_id_z 0
		.amdhsa_system_sgpr_workgroup_info 0
		.amdhsa_system_vgpr_workitem_id 0
		.amdhsa_next_free_vgpr 30
		.amdhsa_next_free_sgpr 22
		.amdhsa_accum_offset 32
		.amdhsa_reserve_vcc 1
		.amdhsa_reserve_flat_scratch 0
		.amdhsa_float_round_mode_32 0
		.amdhsa_float_round_mode_16_64 0
		.amdhsa_float_denorm_mode_32 3
		.amdhsa_float_denorm_mode_16_64 3
		.amdhsa_dx10_clamp 1
		.amdhsa_ieee_mode 1
		.amdhsa_fp16_overflow 0
		.amdhsa_tg_split 0
		.amdhsa_exception_fp_ieee_invalid_op 0
		.amdhsa_exception_fp_denorm_src 0
		.amdhsa_exception_fp_ieee_div_zero 0
		.amdhsa_exception_fp_ieee_overflow 0
		.amdhsa_exception_fp_ieee_underflow 0
		.amdhsa_exception_fp_ieee_inexact 0
		.amdhsa_exception_int_div_zero 0
	.end_amdhsa_kernel
	.section	.text._ZN5aiter24topk_softplus_kernel_optI12hip_bfloat16fLi384ELb1ELi1EEEvPKT_PKT0_PfPimiif,"axG",@progbits,_ZN5aiter24topk_softplus_kernel_optI12hip_bfloat16fLi384ELb1ELi1EEEvPKT_PKT0_PfPimiif,comdat
.Lfunc_end211:
	.size	_ZN5aiter24topk_softplus_kernel_optI12hip_bfloat16fLi384ELb1ELi1EEEvPKT_PKT0_PfPimiif, .Lfunc_end211-_ZN5aiter24topk_softplus_kernel_optI12hip_bfloat16fLi384ELb1ELi1EEEvPKT_PKT0_PfPimiif
                                        ; -- End function
	.section	.AMDGPU.csdata,"",@progbits
; Kernel info:
; codeLenInByte = 1752
; NumSgprs: 26
; NumVgprs: 30
; NumAgprs: 0
; TotalNumVgprs: 30
; ScratchSize: 0
; MemoryBound: 0
; FloatMode: 240
; IeeeMode: 1
; LDSByteSize: 0 bytes/workgroup (compile time only)
; SGPRBlocks: 3
; VGPRBlocks: 3
; NumSGPRsForWavesPerEU: 26
; NumVGPRsForWavesPerEU: 30
; AccumOffset: 32
; Occupancy: 8
; WaveLimiterHint : 0
; COMPUTE_PGM_RSRC2:SCRATCH_EN: 0
; COMPUTE_PGM_RSRC2:USER_SGPR: 6
; COMPUTE_PGM_RSRC2:TRAP_HANDLER: 0
; COMPUTE_PGM_RSRC2:TGID_X_EN: 1
; COMPUTE_PGM_RSRC2:TGID_Y_EN: 0
; COMPUTE_PGM_RSRC2:TGID_Z_EN: 0
; COMPUTE_PGM_RSRC2:TIDIG_COMP_CNT: 0
; COMPUTE_PGM_RSRC3_GFX90A:ACCUM_OFFSET: 7
; COMPUTE_PGM_RSRC3_GFX90A:TG_SPLIT: 0
	.section	.text._ZN5aiter24topk_softplus_kernel_optI12hip_bfloat16fLi384ELb0ELi1EEEvPKT_PKT0_PfPimiif,"axG",@progbits,_ZN5aiter24topk_softplus_kernel_optI12hip_bfloat16fLi384ELb0ELi1EEEvPKT_PKT0_PfPimiif,comdat
	.protected	_ZN5aiter24topk_softplus_kernel_optI12hip_bfloat16fLi384ELb0ELi1EEEvPKT_PKT0_PfPimiif ; -- Begin function _ZN5aiter24topk_softplus_kernel_optI12hip_bfloat16fLi384ELb0ELi1EEEvPKT_PKT0_PfPimiif
	.globl	_ZN5aiter24topk_softplus_kernel_optI12hip_bfloat16fLi384ELb0ELi1EEEvPKT_PKT0_PfPimiif
	.p2align	8
	.type	_ZN5aiter24topk_softplus_kernel_optI12hip_bfloat16fLi384ELb0ELi1EEEvPKT_PKT0_PfPimiif,@function
_ZN5aiter24topk_softplus_kernel_optI12hip_bfloat16fLi384ELb0ELi1EEEvPKT_PKT0_PfPimiif: ; @_ZN5aiter24topk_softplus_kernel_optI12hip_bfloat16fLi384ELb0ELi1EEEvPKT_PKT0_PfPimiif
; %bb.0:
	s_load_dwordx4 s[0:3], s[4:5], 0x0
	s_mul_i32 s8, s6, 0x180
	s_ashr_i32 s9, s8, 31
	s_lshl_b64 s[8:9], s[8:9], 1
	v_lshlrev_b32_e32 v2, 1, v0
	s_waitcnt lgkmcnt(0)
	s_add_u32 s10, s0, s8
	s_addc_u32 s11, s1, s9
	global_load_ushort v1, v2, s[10:11]
	s_mov_b32 s0, 0xc2fc0000
	v_mov_b32_e32 v5, 0x42800000
	v_mov_b32_e32 v6, 0x1f800000
	s_cmp_lg_u64 s[2:3], 0
	s_cselect_b64 s[8:9], -1, 0
	v_lshlrev_b32_e32 v19, 2, v0
	s_waitcnt vmcnt(0)
	v_lshlrev_b32_e32 v1, 16, v1
	v_mul_f32_e32 v3, 0xbfb8aa3b, v1
	v_cmp_gt_f32_e32 vcc, s0, v3
	v_cndmask_b32_e32 v3, 0, v5, vcc
	v_fmac_f32_e32 v3, 0xbfb8aa3b, v1
	v_exp_f32_e32 v1, v3
	v_cndmask_b32_e32 v4, 1.0, v6, vcc
	v_mov_b32_e32 v3, s11
	v_add_co_u32_e32 v2, vcc, s10, v2
	v_fma_f32 v1, v1, v4, 1.0
	v_rcp_f32_e32 v1, v1
	v_addc_co_u32_e32 v3, vcc, 0, v3, vcc
	s_and_b64 vcc, exec, s[8:9]
	v_mov_b32_e32 v4, v1
	s_cbranch_vccz .LBB212_2
; %bb.1:
	global_load_dword v4, v19, s[2:3]
	s_waitcnt vmcnt(0)
	v_add_f32_e32 v4, v1, v4
.LBB212_2:
	global_load_ushort v7, v[2:3], off offset:128
	s_waitcnt vmcnt(0)
	v_lshlrev_b32_e32 v7, 16, v7
	v_mul_f32_e32 v8, 0xbfb8aa3b, v7
	v_cmp_gt_f32_e32 vcc, s0, v8
	v_cndmask_b32_e32 v5, 0, v5, vcc
	v_fmac_f32_e32 v5, 0xbfb8aa3b, v7
	v_exp_f32_e32 v5, v5
	v_cndmask_b32_e32 v6, 1.0, v6, vcc
	s_andn2_b64 vcc, exec, s[8:9]
	v_fma_f32 v5, v5, v6, 1.0
	v_rcp_f32_e32 v5, v5
	v_cndmask_b32_e64 v6, 0, 1, s[8:9]
	v_cmp_ne_u32_e64 s[0:1], 1, v6
	v_mov_b32_e32 v6, v5
	s_cbranch_vccnz .LBB212_4
; %bb.3:
	global_load_dword v6, v19, s[2:3] offset:256
	s_waitcnt vmcnt(0)
	v_add_f32_e32 v6, v5, v6
.LBB212_4:
	global_load_ushort v7, v[2:3], off offset:256
	s_mov_b32 s7, 0xc2fc0000
	v_mov_b32_e32 v9, 0x42800000
	v_mov_b32_e32 v10, 0x1f800000
	s_waitcnt vmcnt(0)
	v_lshlrev_b32_e32 v7, 16, v7
	v_mul_f32_e32 v8, 0xbfb8aa3b, v7
	v_cmp_gt_f32_e32 vcc, s7, v8
	v_cndmask_b32_e32 v8, 0, v9, vcc
	v_fmac_f32_e32 v8, 0xbfb8aa3b, v7
	v_exp_f32_e32 v7, v8
	v_cndmask_b32_e32 v8, 1.0, v10, vcc
	s_and_b64 vcc, exec, s[0:1]
	v_fma_f32 v7, v7, v8, 1.0
	v_rcp_f32_e32 v7, v7
	v_mov_b32_e32 v8, v7
	s_cbranch_vccnz .LBB212_6
; %bb.5:
	global_load_dword v8, v19, s[2:3] offset:512
	s_waitcnt vmcnt(0)
	v_add_f32_e32 v8, v7, v8
.LBB212_6:
	global_load_ushort v11, v[2:3], off offset:384
	s_waitcnt vmcnt(0)
	v_lshlrev_b32_e32 v11, 16, v11
	v_mul_f32_e32 v12, 0xbfb8aa3b, v11
	v_cmp_gt_f32_e32 vcc, s7, v12
	v_cndmask_b32_e32 v9, 0, v9, vcc
	v_fmac_f32_e32 v9, 0xbfb8aa3b, v11
	v_exp_f32_e32 v9, v9
	v_cndmask_b32_e32 v10, 1.0, v10, vcc
	s_and_b64 vcc, exec, s[0:1]
	v_fma_f32 v9, v9, v10, 1.0
	v_rcp_f32_e32 v9, v9
	v_mov_b32_e32 v10, v9
	s_cbranch_vccnz .LBB212_8
; %bb.7:
	global_load_dword v10, v19, s[2:3] offset:768
	s_waitcnt vmcnt(0)
	v_add_f32_e32 v10, v9, v10
.LBB212_8:
	global_load_ushort v11, v[2:3], off offset:512
	v_mov_b32_e32 v13, 0x42800000
	v_mov_b32_e32 v14, 0x1f800000
	s_waitcnt vmcnt(0)
	v_lshlrev_b32_e32 v11, 16, v11
	v_mul_f32_e32 v12, 0xbfb8aa3b, v11
	v_cmp_gt_f32_e32 vcc, s7, v12
	v_cndmask_b32_e32 v12, 0, v13, vcc
	v_fmac_f32_e32 v12, 0xbfb8aa3b, v11
	v_exp_f32_e32 v11, v12
	v_cndmask_b32_e32 v12, 1.0, v14, vcc
	s_and_b64 vcc, exec, s[0:1]
	v_fma_f32 v11, v11, v12, 1.0
	v_rcp_f32_e32 v11, v11
	v_mov_b32_e32 v12, v11
	s_cbranch_vccnz .LBB212_10
; %bb.9:
	global_load_dword v12, v19, s[2:3] offset:1024
	s_waitcnt vmcnt(0)
	v_add_f32_e32 v12, v11, v12
.LBB212_10:
	global_load_ushort v2, v[2:3], off offset:640
	s_waitcnt vmcnt(0)
	v_lshlrev_b32_e32 v2, 16, v2
	v_mul_f32_e32 v3, 0xbfb8aa3b, v2
	v_cmp_gt_f32_e32 vcc, s7, v3
	v_cndmask_b32_e32 v3, 0, v13, vcc
	v_fmac_f32_e32 v3, 0xbfb8aa3b, v2
	v_exp_f32_e32 v2, v3
	v_cndmask_b32_e32 v3, 1.0, v14, vcc
	s_and_b64 vcc, exec, s[0:1]
	v_fma_f32 v2, v2, v3, 1.0
	v_rcp_f32_e32 v2, v2
	v_mov_b32_e32 v3, v2
	s_cbranch_vccnz .LBB212_12
; %bb.11:
	global_load_dword v3, v19, s[2:3] offset:1280
	s_waitcnt vmcnt(0)
	v_add_f32_e32 v3, v2, v3
.LBB212_12:
	v_add_u32_e32 v13, 64, v0
	v_cmp_lt_f32_e32 vcc, v4, v6
	v_add_u32_e32 v14, 0x80, v0
	v_add_u32_e32 v15, 0xc0, v0
	v_cndmask_b32_e32 v18, v5, v1, vcc
	v_cndmask_b32_e32 v1, v1, v5, vcc
	;; [unrolled: 1-line block ×6, first 2 shown]
	v_cmp_lt_f32_e32 vcc, v8, v10
	v_add_u32_e32 v16, 0x100, v0
	v_add_u32_e32 v17, 0x140, v0
	v_cndmask_b32_e32 v6, v9, v7, vcc
	v_cndmask_b32_e32 v7, v7, v9, vcc
	v_cndmask_b32_e32 v9, v15, v14, vcc
	v_cndmask_b32_e32 v14, v14, v15, vcc
	v_cndmask_b32_e32 v15, v10, v8, vcc
	v_cndmask_b32_e32 v8, v8, v10, vcc
	v_cmp_lt_f32_e32 vcc, v12, v3
	v_cndmask_b32_e32 v10, v2, v11, vcc
	v_cndmask_b32_e32 v2, v11, v2, vcc
	v_cndmask_b32_e32 v11, v17, v16, vcc
	v_cndmask_b32_e32 v16, v16, v17, vcc
	v_cndmask_b32_e32 v17, v3, v12, vcc
	v_cndmask_b32_e32 v3, v12, v3, vcc
	v_cmp_lt_f32_e32 vcc, v4, v8
	;; [unrolled: 7-line block ×7, first 2 shown]
	v_cndmask_b32_e32 v12, v23, v11, vcc
	v_cmp_lt_f32_e64 s[0:1], v25, v27
	v_cndmask_b32_e32 v5, v18, v21, vcc
	v_cndmask_b32_e32 v8, v21, v18, vcc
	;; [unrolled: 1-line block ×3, first 2 shown]
	v_cndmask_b32_e64 v18, v3, v1, s[0:1]
	v_cndmask_b32_e64 v14, v26, v13, s[0:1]
	;; [unrolled: 1-line block ×3, first 2 shown]
	v_cmp_lt_f32_e64 s[2:3], v16, v12
	v_cndmask_b32_e32 v10, v22, v24, vcc
	v_cndmask_b32_e32 v9, v11, v23, vcc
	v_cndmask_b32_e64 v1, v1, v3, s[0:1]
	v_cndmask_b32_e64 v3, v13, v26, s[0:1]
	;; [unrolled: 1-line block ×3, first 2 shown]
	s_and_saveexec_b64 s[0:1], s[2:3]
	s_xor_b64 s[0:1], exec, s[0:1]
; %bb.13:
	v_mov_b32_e32 v13, v20
	v_mov_b32_e32 v21, v15
	;; [unrolled: 1-line block ×3, first 2 shown]
	v_swap_b32 v16, v12
	v_swap_b32 v20, v8
	v_swap_b32 v15, v10
; %bb.14:
	s_or_b64 exec, exec, s[0:1]
	s_load_dword s7, s[4:5], 0x28
	s_load_dwordx4 s[16:19], s[4:5], 0x10
	s_waitcnt lgkmcnt(0)
	s_cmp_lt_i32 s7, 1
	s_cbranch_scc1 .LBB212_20
; %bb.15:
	v_cmp_lt_f32_e32 vcc, v17, v16
	v_cndmask_b32_e32 v13, v15, v14, vcc
	v_cndmask_b32_e32 v14, v14, v15, vcc
	;; [unrolled: 1-line block ×6, first 2 shown]
	v_mbcnt_lo_u32_b32 v20, -1, 0
	v_mbcnt_hi_u32_b32 v20, -1, v20
	v_bfrev_b32_e32 v24, 0.5
	v_mov_b32_e32 v22, 0
	v_mov_b32_e32 v21, 0
	;; [unrolled: 1-line block ×3, first 2 shown]
	v_lshl_or_b32 v24, v20, 2, v24
	v_mov_b32_e32 v25, v0
	s_mov_b32 s20, s7
	v_mov_b32_e32 v20, 0
.LBB212_16:                             ; =>This Inner Loop Header: Depth=1
	v_cmp_eq_u32_e32 vcc, 1, v22
	v_cndmask_b32_e32 v26, v6, v11, vcc
	v_cmp_eq_u32_e64 s[0:1], 2, v22
	v_cndmask_b32_e64 v26, v26, v16, s[0:1]
	v_cmp_eq_u32_e64 s[2:3], 3, v22
	v_cndmask_b32_e64 v26, v26, v15, s[2:3]
	;; [unrolled: 2-line block ×4, first 2 shown]
	v_cmp_gt_u32_e64 s[12:13], 6, v22
	v_cndmask_b32_e64 v26, v23, v26, s[12:13]
	;;#ASMSTART
	v_max_f32 v27, v26, v26 quad_perm:[1,0,3,2] row_mask:0xf bank_mask:0xf bound_ctrl:1
	;;#ASMEND
	;;#ASMSTART
	v_max_f32 v28, v27, v27 quad_perm:[2,3,0,1] row_mask:0xf bank_mask:0xf bound_ctrl:1
	;;#ASMEND
	;;#ASMSTART
	v_max_f32 v27, v28, v28 row_half_mirror row_mask:0xf bank_mask:0xf bound_ctrl:1
	;;#ASMEND
	;;#ASMSTART
	v_max_f32 v28, v27, v27 row_mirror row_mask:0xf bank_mask:0xf bound_ctrl:1
	;;#ASMEND
	;;#ASMSTART
	v_max_f32 v27, v28, v28 row_ror:4 row_mask:0xf bank_mask:0xf bound_ctrl:1
	;;#ASMEND
	;;#ASMSTART
	v_max_f32 v28, v27, v27 row_ror:8 row_mask:0xf bank_mask:0xf bound_ctrl:1
	;;#ASMEND
	;;#ASMSTART
	v_max_f32 v27, v28, v28 row_bcast:15 row_mask:0xf bank_mask:0xf bound_ctrl:1
	;;#ASMEND
	;;#ASMSTART
	v_max_f32 v28, v27, v27 row_bcast:31 row_mask:0xf bank_mask:0xf bound_ctrl:1
	;;#ASMEND
	ds_bpermute_b32 v27, v24, v28
	s_waitcnt lgkmcnt(0)
	v_cmp_eq_f32_e64 s[14:15], v26, v27
	v_cndmask_b32_e32 v26, v4, v3, vcc
	v_cndmask_b32_e64 v26, v26, v14, s[0:1]
	v_cndmask_b32_e64 v26, v26, v13, s[2:3]
	;; [unrolled: 1-line block ×4, first 2 shown]
	s_ff1_i32_b64 s21, s[14:15]
	s_cmp_lg_u64 s[14:15], 0
	s_cselect_b32 s14, s21, 0
	v_cndmask_b32_e64 v27, 0, v26, s[12:13]
	v_readlane_b32 s21, v27, s14
	v_cmp_eq_u32_e64 s[14:15], s21, v26
	v_cndmask_b32_e32 v26, v2, v1, vcc
	v_cndmask_b32_e64 v26, v26, v18, s[0:1]
	v_cndmask_b32_e64 v26, v26, v17, s[2:3]
	;; [unrolled: 1-line block ×4, first 2 shown]
	s_and_b64 vcc, s[12:13], s[14:15]
	s_and_b32 s0, s21, 63
	v_cndmask_b32_e32 v26, 0, v26, vcc
	v_readlane_b32 s0, v26, s0
	v_mov_b32_e32 v26, s0
	v_cmp_eq_u32_e64 s[0:1], 0, v25
	v_cndmask_b32_e64 v21, v21, v26, s[0:1]
	v_mov_b32_e32 v26, s21
	s_add_i32 s20, s20, -1
	v_cndmask_b32_e64 v20, v20, v26, s[0:1]
	v_addc_co_u32_e32 v22, vcc, 0, v22, vcc
	s_cmp_eq_u32 s20, 0
	v_add_u32_e32 v25, -1, v25
	s_cbranch_scc0 .LBB212_16
; %bb.17:
	v_cmp_gt_i32_e32 vcc, s7, v0
	s_and_saveexec_b64 s[0:1], vcc
	s_cbranch_execz .LBB212_19
.LBB212_18:
	s_load_dword s2, s[4:5], 0x30
	s_load_dwordx2 s[0:1], s[4:5], 0x20
	s_ashr_i32 s3, s6, 31
	s_waitcnt lgkmcnt(0)
	v_mul_f32_e32 v0, s2, v21
	s_mul_i32 s1, s6, s1
	s_mul_hi_u32 s2, s6, s0
	s_add_i32 s1, s2, s1
	s_mul_i32 s3, s3, s0
	s_add_i32 s1, s1, s3
	s_mul_i32 s0, s6, s0
	s_lshl_b64 s[0:1], s[0:1], 2
	s_add_u32 s2, s16, s0
	s_addc_u32 s3, s17, s1
	s_add_u32 s0, s18, s0
	s_addc_u32 s1, s19, s1
	global_store_dword v19, v0, s[2:3]
	global_store_dword v19, v20, s[0:1]
.LBB212_19:
	s_endpgm
.LBB212_20:
	v_mov_b32_e32 v20, 0
	v_mov_b32_e32 v21, 0
	v_cmp_gt_i32_e32 vcc, s7, v0
	s_and_saveexec_b64 s[0:1], vcc
	s_cbranch_execnz .LBB212_18
	s_branch .LBB212_19
	.section	.rodata,"a",@progbits
	.p2align	6, 0x0
	.amdhsa_kernel _ZN5aiter24topk_softplus_kernel_optI12hip_bfloat16fLi384ELb0ELi1EEEvPKT_PKT0_PfPimiif
		.amdhsa_group_segment_fixed_size 0
		.amdhsa_private_segment_fixed_size 0
		.amdhsa_kernarg_size 52
		.amdhsa_user_sgpr_count 6
		.amdhsa_user_sgpr_private_segment_buffer 1
		.amdhsa_user_sgpr_dispatch_ptr 0
		.amdhsa_user_sgpr_queue_ptr 0
		.amdhsa_user_sgpr_kernarg_segment_ptr 1
		.amdhsa_user_sgpr_dispatch_id 0
		.amdhsa_user_sgpr_flat_scratch_init 0
		.amdhsa_user_sgpr_kernarg_preload_length 0
		.amdhsa_user_sgpr_kernarg_preload_offset 0
		.amdhsa_user_sgpr_private_segment_size 0
		.amdhsa_uses_dynamic_stack 0
		.amdhsa_system_sgpr_private_segment_wavefront_offset 0
		.amdhsa_system_sgpr_workgroup_id_x 1
		.amdhsa_system_sgpr_workgroup_id_y 0
		.amdhsa_system_sgpr_workgroup_id_z 0
		.amdhsa_system_sgpr_workgroup_info 0
		.amdhsa_system_vgpr_workitem_id 0
		.amdhsa_next_free_vgpr 29
		.amdhsa_next_free_sgpr 22
		.amdhsa_accum_offset 32
		.amdhsa_reserve_vcc 1
		.amdhsa_reserve_flat_scratch 0
		.amdhsa_float_round_mode_32 0
		.amdhsa_float_round_mode_16_64 0
		.amdhsa_float_denorm_mode_32 3
		.amdhsa_float_denorm_mode_16_64 3
		.amdhsa_dx10_clamp 1
		.amdhsa_ieee_mode 1
		.amdhsa_fp16_overflow 0
		.amdhsa_tg_split 0
		.amdhsa_exception_fp_ieee_invalid_op 0
		.amdhsa_exception_fp_denorm_src 0
		.amdhsa_exception_fp_ieee_div_zero 0
		.amdhsa_exception_fp_ieee_overflow 0
		.amdhsa_exception_fp_ieee_underflow 0
		.amdhsa_exception_fp_ieee_inexact 0
		.amdhsa_exception_int_div_zero 0
	.end_amdhsa_kernel
	.section	.text._ZN5aiter24topk_softplus_kernel_optI12hip_bfloat16fLi384ELb0ELi1EEEvPKT_PKT0_PfPimiif,"axG",@progbits,_ZN5aiter24topk_softplus_kernel_optI12hip_bfloat16fLi384ELb0ELi1EEEvPKT_PKT0_PfPimiif,comdat
.Lfunc_end212:
	.size	_ZN5aiter24topk_softplus_kernel_optI12hip_bfloat16fLi384ELb0ELi1EEEvPKT_PKT0_PfPimiif, .Lfunc_end212-_ZN5aiter24topk_softplus_kernel_optI12hip_bfloat16fLi384ELb0ELi1EEEvPKT_PKT0_PfPimiif
                                        ; -- End function
	.section	.AMDGPU.csdata,"",@progbits
; Kernel info:
; codeLenInByte = 1652
; NumSgprs: 26
; NumVgprs: 29
; NumAgprs: 0
; TotalNumVgprs: 29
; ScratchSize: 0
; MemoryBound: 0
; FloatMode: 240
; IeeeMode: 1
; LDSByteSize: 0 bytes/workgroup (compile time only)
; SGPRBlocks: 3
; VGPRBlocks: 3
; NumSGPRsForWavesPerEU: 26
; NumVGPRsForWavesPerEU: 29
; AccumOffset: 32
; Occupancy: 8
; WaveLimiterHint : 0
; COMPUTE_PGM_RSRC2:SCRATCH_EN: 0
; COMPUTE_PGM_RSRC2:USER_SGPR: 6
; COMPUTE_PGM_RSRC2:TRAP_HANDLER: 0
; COMPUTE_PGM_RSRC2:TGID_X_EN: 1
; COMPUTE_PGM_RSRC2:TGID_Y_EN: 0
; COMPUTE_PGM_RSRC2:TGID_Z_EN: 0
; COMPUTE_PGM_RSRC2:TIDIG_COMP_CNT: 0
; COMPUTE_PGM_RSRC3_GFX90A:ACCUM_OFFSET: 7
; COMPUTE_PGM_RSRC3_GFX90A:TG_SPLIT: 0
	.section	.text._ZN5aiter20topk_softplus_kernelI12hip_bfloat16fDv4_fLb1ELi1EEEvPKT_PKT0_PfPimiiif,"axG",@progbits,_ZN5aiter20topk_softplus_kernelI12hip_bfloat16fDv4_fLb1ELi1EEEvPKT_PKT0_PfPimiiif,comdat
	.protected	_ZN5aiter20topk_softplus_kernelI12hip_bfloat16fDv4_fLb1ELi1EEEvPKT_PKT0_PfPimiiif ; -- Begin function _ZN5aiter20topk_softplus_kernelI12hip_bfloat16fDv4_fLb1ELi1EEEvPKT_PKT0_PfPimiiif
	.globl	_ZN5aiter20topk_softplus_kernelI12hip_bfloat16fDv4_fLb1ELi1EEEvPKT_PKT0_PfPimiiif
	.p2align	8
	.type	_ZN5aiter20topk_softplus_kernelI12hip_bfloat16fDv4_fLb1ELi1EEEvPKT_PKT0_PfPimiiif,@function
_ZN5aiter20topk_softplus_kernelI12hip_bfloat16fDv4_fLb1ELi1EEEvPKT_PKT0_PfPimiiif: ; @_ZN5aiter20topk_softplus_kernelI12hip_bfloat16fDv4_fLb1ELi1EEEvPKT_PKT0_PfPimiiif
; %bb.0:
	s_load_dwordx2 s[16:17], s[4:5], 0x28
	s_load_dwordx8 s[8:15], s[4:5], 0x0
	v_lshlrev_b32_e32 v1, 2, v0
	v_lshl_add_u32 v12, v0, 4, 0
	s_waitcnt lgkmcnt(0)
	s_ashr_i32 s0, s16, 31
	s_lshr_b32 s0, s0, 30
	s_add_i32 s0, s16, s0
	s_mul_i32 s18, s6, s16
	s_ashr_i32 s7, s0, 2
	s_ashr_i32 s19, s18, 31
	v_cmp_gt_i32_e64 s[0:1], s7, v0
	s_and_saveexec_b64 s[20:21], s[0:1]
	s_cbranch_execz .LBB213_11
; %bb.1:
	s_load_dword s24, s[4:5], 0x44
	s_cmp_lg_u64 s[10:11], 0
	s_cselect_b64 s[2:3], -1, 0
	v_lshlrev_b32_e32 v2, 3, v0
	s_mov_b64 s[22:23], 0
	s_waitcnt lgkmcnt(0)
	s_and_b32 s24, s24, 0xffff
	s_add_u32 s25, s10, 4
	s_addc_u32 s26, s11, 0
	s_add_u32 s27, s10, 8
	s_addc_u32 s28, s11, 0
	;; [unrolled: 2-line block ×3, first 2 shown]
	s_lshl_b64 s[34:35], s[18:19], 1
	s_add_u32 s33, s8, s34
	s_addc_u32 s34, s9, s35
	v_mov_b32_e32 v3, s34
	v_add_co_u32_e32 v6, vcc, s33, v2
	v_cndmask_b32_e64 v2, 0, 1, s[2:3]
	s_mov_b32 s31, 0
	v_addc_co_u32_e32 v7, vcc, 0, v3, vcc
	s_lshl_b32 s33, s24, 3
	v_lshlrev_b32_e32 v8, 2, v0
	s_lshl_b32 s34, s24, 2
	v_lshl_add_u32 v13, v0, 4, 0
	s_lshl_b32 s35, s24, 4
	v_mov_b32_e32 v9, 0
	s_mov_b32 s36, 0xc2fc0000
	v_mov_b32_e32 v14, 0x42800000
	v_mov_b32_e32 v15, 0x1f800000
	v_cmp_ne_u32_e64 s[2:3], 1, v2
	v_mov_b32_e32 v16, v0
	s_branch .LBB213_3
.LBB213_2:                              ;   in Loop: Header=BB213_3 Depth=1
	ds_write_b128 v13, v[2:5]
	v_mov_b32_e32 v2, s31
	v_add_co_u32_e32 v6, vcc, s33, v6
	v_add_u32_e32 v16, s24, v16
	v_addc_co_u32_e32 v7, vcc, v7, v2, vcc
	v_cmp_le_i32_e32 vcc, s7, v16
	v_add_u32_e32 v8, s34, v8
	s_or_b64 s[22:23], vcc, s[22:23]
	v_add_u32_e32 v13, s35, v13
	s_andn2_b64 exec, exec, s[22:23]
	s_cbranch_execz .LBB213_11
.LBB213_3:                              ; =>This Inner Loop Header: Depth=1
	global_load_dwordx2 v[4:5], v[6:7], off
	v_lshlrev_b64 v[10:11], 2, v[8:9]
	s_waitcnt vmcnt(0)
	v_cvt_f32_u32_sdwa v2, v4 dst_sel:DWORD dst_unused:UNUSED_PAD src0_sel:WORD_0
	v_mul_f32_e32 v3, 0xbfb8aa3b, v2
	v_cmp_gt_f32_e32 vcc, s36, v3
	v_cndmask_b32_e32 v3, 0, v14, vcc
	v_fmac_f32_e32 v3, 0xbfb8aa3b, v2
	v_exp_f32_e32 v2, v3
	v_cndmask_b32_e32 v3, 1.0, v15, vcc
	s_and_b64 vcc, exec, s[2:3]
	v_fma_f32 v2, v2, v3, 1.0
	v_rcp_f32_e32 v2, v2
	s_cbranch_vccnz .LBB213_5
; %bb.4:                                ;   in Loop: Header=BB213_3 Depth=1
	v_mov_b32_e32 v3, s11
	v_add_co_u32_e32 v18, vcc, s10, v10
	v_addc_co_u32_e32 v19, vcc, v3, v11, vcc
	global_load_dword v3, v[18:19], off
	s_waitcnt vmcnt(0)
	v_add_f32_e32 v2, v2, v3
.LBB213_5:                              ;   in Loop: Header=BB213_3 Depth=1
	v_cvt_f32_u32_sdwa v3, v4 dst_sel:DWORD dst_unused:UNUSED_PAD src0_sel:WORD_1
	v_mul_f32_e32 v4, 0xbfb8aa3b, v3
	v_cmp_gt_f32_e32 vcc, s36, v4
	v_cndmask_b32_e32 v4, 0, v14, vcc
	v_fmac_f32_e32 v4, 0xbfb8aa3b, v3
	v_exp_f32_e32 v3, v4
	v_cndmask_b32_e32 v4, 1.0, v15, vcc
	s_and_b64 vcc, exec, s[2:3]
	v_fma_f32 v3, v3, v4, 1.0
	v_rcp_f32_e32 v3, v3
	s_cbranch_vccnz .LBB213_7
; %bb.6:                                ;   in Loop: Header=BB213_3 Depth=1
	v_mov_b32_e32 v4, s26
	v_add_co_u32_e32 v18, vcc, s25, v10
	v_addc_co_u32_e32 v19, vcc, v4, v11, vcc
	global_load_dword v4, v[18:19], off
	s_waitcnt vmcnt(0)
	v_add_f32_e32 v3, v3, v4
.LBB213_7:                              ;   in Loop: Header=BB213_3 Depth=1
	v_cvt_f32_u32_sdwa v4, v5 dst_sel:DWORD dst_unused:UNUSED_PAD src0_sel:WORD_0
	v_mul_f32_e32 v17, 0xbfb8aa3b, v4
	v_cmp_gt_f32_e32 vcc, s36, v17
	v_cndmask_b32_e32 v17, 0, v14, vcc
	v_fmac_f32_e32 v17, 0xbfb8aa3b, v4
	v_exp_f32_e32 v4, v17
	v_cndmask_b32_e32 v17, 1.0, v15, vcc
	s_and_b64 vcc, exec, s[2:3]
	v_fma_f32 v4, v4, v17, 1.0
	v_rcp_f32_e32 v4, v4
	s_cbranch_vccnz .LBB213_9
; %bb.8:                                ;   in Loop: Header=BB213_3 Depth=1
	v_mov_b32_e32 v17, s28
	v_add_co_u32_e32 v18, vcc, s27, v10
	v_addc_co_u32_e32 v19, vcc, v17, v11, vcc
	global_load_dword v17, v[18:19], off
	s_waitcnt vmcnt(0)
	v_add_f32_e32 v4, v4, v17
.LBB213_9:                              ;   in Loop: Header=BB213_3 Depth=1
	v_cvt_f32_u32_sdwa v5, v5 dst_sel:DWORD dst_unused:UNUSED_PAD src0_sel:WORD_1
	v_mul_f32_e32 v17, 0xbfb8aa3b, v5
	v_cmp_gt_f32_e32 vcc, s36, v17
	v_cndmask_b32_e32 v17, 0, v14, vcc
	v_fmac_f32_e32 v17, 0xbfb8aa3b, v5
	v_exp_f32_e32 v5, v17
	v_cndmask_b32_e32 v17, 1.0, v15, vcc
	s_and_b64 vcc, exec, s[2:3]
	v_fma_f32 v5, v5, v17, 1.0
	v_rcp_f32_e32 v5, v5
	s_cbranch_vccnz .LBB213_2
; %bb.10:                               ;   in Loop: Header=BB213_3 Depth=1
	v_mov_b32_e32 v17, s30
	v_add_co_u32_e32 v10, vcc, s29, v10
	v_addc_co_u32_e32 v11, vcc, v17, v11, vcc
	global_load_dword v10, v[10:11], off
	s_waitcnt vmcnt(0)
	v_add_f32_e32 v5, v5, v10
	s_branch .LBB213_2
.LBB213_11:
	s_or_b64 exec, exec, s[20:21]
	v_lshl_add_u32 v2, s7, 2, v0
	v_cmp_gt_i32_e32 vcc, s16, v2
	s_and_saveexec_b64 s[20:21], vcc
	s_cbranch_execz .LBB213_16
; %bb.12:
	s_lshl_b64 s[2:3], s[18:19], 1
	s_load_dword s19, s[4:5], 0x44
	s_add_u32 s18, s8, s2
	s_addc_u32 s23, s9, s3
	s_cmp_lg_u64 s[10:11], 0
	s_cselect_b64 s[2:3], -1, 0
	s_lshl_b32 s22, s7, 4
	s_waitcnt lgkmcnt(0)
	s_and_b32 s19, s19, 0xffff
	s_add_i32 s22, s22, 0
	v_cndmask_b32_e64 v3, 0, 1, s[2:3]
	s_mov_b64 s[8:9], 0
	v_lshl_add_u32 v4, v0, 2, s22
	s_lshl_b32 s22, s19, 2
	v_mov_b32_e32 v5, s23
	s_mov_b32 s23, 0xc2fc0000
	v_mov_b32_e32 v6, 0x42800000
	v_mov_b32_e32 v7, 0x1f800000
	v_cmp_ne_u32_e64 s[2:3], 1, v3
	s_branch .LBB213_14
.LBB213_13:                             ;   in Loop: Header=BB213_14 Depth=1
	v_add_u32_e32 v2, s19, v2
	v_cmp_le_i32_e32 vcc, s16, v2
	s_or_b64 s[8:9], vcc, s[8:9]
	v_add_u32_e32 v4, s22, v4
	s_andn2_b64 exec, exec, s[8:9]
	s_cbranch_execz .LBB213_16
.LBB213_14:                             ; =>This Inner Loop Header: Depth=1
	v_ashrrev_i32_e32 v3, 31, v2
	v_lshlrev_b64 v[8:9], 1, v[2:3]
	v_add_co_u32_e32 v8, vcc, s18, v8
	v_addc_co_u32_e32 v9, vcc, v5, v9, vcc
	global_load_ushort v8, v[8:9], off
	s_waitcnt vmcnt(0)
	v_lshlrev_b32_e32 v8, 16, v8
	v_mul_f32_e32 v9, 0xbfb8aa3b, v8
	v_cmp_gt_f32_e32 vcc, s23, v9
	v_cndmask_b32_e32 v9, 0, v6, vcc
	v_fmac_f32_e32 v9, 0xbfb8aa3b, v8
	v_exp_f32_e32 v8, v9
	v_cndmask_b32_e32 v9, 1.0, v7, vcc
	s_and_b64 vcc, exec, s[2:3]
	v_fma_f32 v8, v8, v9, 1.0
	v_rcp_f32_e32 v8, v8
	ds_write_b32 v4, v8
	s_cbranch_vccnz .LBB213_13
; %bb.15:                               ;   in Loop: Header=BB213_14 Depth=1
	v_lshlrev_b64 v[10:11], 2, v[2:3]
	v_mov_b32_e32 v3, s11
	v_add_co_u32_e32 v10, vcc, s10, v10
	v_addc_co_u32_e32 v11, vcc, v3, v11, vcc
	global_load_dword v3, v[10:11], off
	s_waitcnt vmcnt(0)
	v_add_f32_e32 v3, v8, v3
	ds_write_b32 v4, v3
	s_branch .LBB213_13
.LBB213_16:
	s_or_b64 exec, exec, s[20:21]
	s_cmp_lt_i32 s17, 1
	v_mov_b32_e32 v3, 0
	s_waitcnt lgkmcnt(0)
	s_barrier
	s_cbranch_scc1 .LBB213_25
; %bb.17:
	s_add_u32 s2, s4, 56
	s_addc_u32 s3, s5, 0
	v_mbcnt_lo_u32_b32 v2, -1, 0
	s_cmp_lg_u64 s[10:11], 0
	v_mbcnt_hi_u32_b32 v2, -1, v2
	v_bfrev_b32_e32 v4, 0.5
	s_cselect_b64 s[8:9], -1, 0
	s_mov_b32 s16, 0
	v_mov_b32_e32 v3, 0
	v_lshl_or_b32 v5, v2, 2, v4
	v_mov_b32_e32 v6, 0xff800000
	v_mov_b32_e32 v2, 0
	;; [unrolled: 1-line block ×3, first 2 shown]
	s_branch .LBB213_19
.LBB213_18:                             ;   in Loop: Header=BB213_19 Depth=1
	s_lshl_b32 s19, s18, 2
	s_add_i32 s19, s19, 0
	v_mov_b32_e32 v7, s19
	ds_write_b32 v7, v6
	v_mov_b32_e32 v7, s18
	v_cmp_eq_u32_e32 vcc, s16, v0
	s_add_i32 s16, s16, 1
	v_cndmask_b32_e32 v2, v2, v7, vcc
	v_cndmask_b32_e32 v3, v3, v9, vcc
	s_cmp_eq_u32 s16, s17
	v_add_f32_e32 v4, v4, v9
	s_cbranch_scc1 .LBB213_26
.LBB213_19:                             ; =>This Loop Header: Depth=1
                                        ;     Child Loop BB213_21 Depth 2
	v_mov_b32_e32 v7, s16
	v_mov_b32_e32 v8, 0xff800000
	s_and_saveexec_b64 s[18:19], s[0:1]
	s_cbranch_execz .LBB213_23
; %bb.20:                               ;   in Loop: Header=BB213_19 Depth=1
	s_load_dword s22, s[2:3], 0xc
	s_mov_b64 s[20:21], 0
	v_mov_b32_e32 v7, s16
	v_mov_b32_e32 v8, 0xff800000
	;; [unrolled: 1-line block ×3, first 2 shown]
	s_waitcnt lgkmcnt(0)
	s_and_b32 s22, s22, 0xffff
	s_lshl_b32 s23, s22, 2
	s_lshl_b32 s24, s22, 4
	v_mov_b32_e32 v10, v1
	v_mov_b32_e32 v11, v0
.LBB213_21:                             ;   Parent Loop BB213_19 Depth=1
                                        ; =>  This Inner Loop Header: Depth=2
	ds_read_b128 v[14:17], v9
	v_add_u32_e32 v11, s22, v11
	v_cmp_le_i32_e32 vcc, s7, v11
	s_or_b64 s[20:21], vcc, s[20:21]
	v_add_u32_e32 v13, 1, v10
	s_waitcnt lgkmcnt(0)
	v_cmp_gt_f32_e32 vcc, v14, v8
	v_cndmask_b32_e32 v8, v8, v14, vcc
	v_cndmask_b32_e32 v7, v7, v10, vcc
	v_cmp_gt_f32_e32 vcc, v15, v8
	v_cndmask_b32_e32 v8, v8, v15, vcc
	v_cndmask_b32_e32 v7, v7, v13, vcc
	v_cmp_gt_f32_e32 vcc, v16, v8
	v_add_u32_e32 v18, 2, v10
	v_cndmask_b32_e32 v8, v8, v16, vcc
	v_add_u32_e32 v19, 3, v10
	v_cndmask_b32_e32 v7, v7, v18, vcc
	v_cmp_gt_f32_e32 vcc, v17, v8
	v_add_u32_e32 v9, s24, v9
	v_add_u32_e32 v10, s23, v10
	v_cndmask_b32_e32 v8, v8, v17, vcc
	v_cndmask_b32_e32 v7, v7, v19, vcc
	s_andn2_b64 exec, exec, s[20:21]
	s_cbranch_execnz .LBB213_21
; %bb.22:                               ;   in Loop: Header=BB213_19 Depth=1
	s_or_b64 exec, exec, s[20:21]
.LBB213_23:                             ;   in Loop: Header=BB213_19 Depth=1
	s_or_b64 exec, exec, s[18:19]
	;;#ASMSTART
	v_max_f32 v9, v8, v8 quad_perm:[1,0,3,2] row_mask:0xf bank_mask:0xf bound_ctrl:1
	;;#ASMEND
	;;#ASMSTART
	v_max_f32 v10, v9, v9 quad_perm:[2,3,0,1] row_mask:0xf bank_mask:0xf bound_ctrl:1
	;;#ASMEND
	;;#ASMSTART
	v_max_f32 v9, v10, v10 row_half_mirror row_mask:0xf bank_mask:0xf bound_ctrl:1
	;;#ASMEND
	;;#ASMSTART
	v_max_f32 v10, v9, v9 row_mirror row_mask:0xf bank_mask:0xf bound_ctrl:1
	;;#ASMEND
	;;#ASMSTART
	v_max_f32 v9, v10, v10 row_ror:4 row_mask:0xf bank_mask:0xf bound_ctrl:1
	;;#ASMEND
	;;#ASMSTART
	v_max_f32 v10, v9, v9 row_ror:8 row_mask:0xf bank_mask:0xf bound_ctrl:1
	;;#ASMEND
	;;#ASMSTART
	v_max_f32 v9, v10, v10 row_bcast:15 row_mask:0xf bank_mask:0xf bound_ctrl:1
	;;#ASMEND
	;;#ASMSTART
	v_max_f32 v10, v9, v9 row_bcast:31 row_mask:0xf bank_mask:0xf bound_ctrl:1
	;;#ASMEND
	ds_bpermute_b32 v9, v5, v10
	s_waitcnt lgkmcnt(0)
	v_cmp_eq_f32_e32 vcc, v8, v9
	s_ff1_i32_b64 s18, vcc
	s_cmp_lg_u64 vcc, 0
	s_cselect_b32 s18, s18, 0
	s_and_b64 vcc, exec, s[8:9]
	v_readlane_b32 s18, v7, s18
	s_cbranch_vccz .LBB213_18
; %bb.24:                               ;   in Loop: Header=BB213_19 Depth=1
	s_ashr_i32 s19, s18, 31
	s_lshl_b64 s[20:21], s[18:19], 2
	s_add_u32 s20, s10, s20
	s_addc_u32 s21, s11, s21
	s_load_dword s19, s[20:21], 0x0
	s_waitcnt lgkmcnt(0)
	v_subrev_f32_e32 v9, s19, v9
	s_branch .LBB213_18
.LBB213_25:
	v_mov_b32_e32 v2, 0
	v_mov_b32_e32 v4, 0
.LBB213_26:
	v_cmp_gt_i32_e32 vcc, s17, v0
	s_and_saveexec_b64 s[0:1], vcc
	s_cbranch_execz .LBB213_29
; %bb.27:
	s_load_dword s2, s[4:5], 0x34
	v_max_f32_e32 v1, v4, v4
	v_max_f32_e32 v1, 0x1e3ce508, v1
	s_load_dword s3, s[4:5], 0x44
	s_waitcnt lgkmcnt(0)
	v_div_scale_f32 v4, s[0:1], v1, v1, s2
	s_load_dwordx2 s[0:1], s[4:5], 0x20
	v_rcp_f32_e32 v5, v4
	v_div_scale_f32 v6, vcc, s2, v1, s2
	s_and_b32 s3, s3, 0xffff
	v_fma_f32 v7, -v4, v5, 1.0
	v_fmac_f32_e32 v5, v7, v5
	v_mul_f32_e32 v7, v6, v5
	v_fma_f32 v8, -v4, v7, v6
	v_fmac_f32_e32 v7, v8, v5
	v_fma_f32 v4, -v4, v7, v6
	v_div_fmas_f32 v4, v4, v5, v7
	v_div_fixup_f32 v1, v4, v1, s2
	s_ashr_i32 s2, s6, 31
	s_waitcnt lgkmcnt(0)
	s_mul_i32 s1, s6, s1
	s_mul_hi_u32 s4, s6, s0
	s_add_i32 s1, s4, s1
	s_mul_i32 s2, s2, s0
	s_add_i32 s4, s1, s2
	v_mul_f32_e32 v1, v3, v1
	s_mul_i32 s2, s6, s0
	s_mov_b64 s[0:1], 0
	v_mov_b32_e32 v3, s4
	v_mov_b32_e32 v4, s13
	;; [unrolled: 1-line block ×3, first 2 shown]
.LBB213_28:                             ; =>This Inner Loop Header: Depth=1
	v_ashrrev_i32_e32 v7, 31, v0
	v_add_co_u32_e32 v6, vcc, s2, v0
	v_addc_co_u32_e32 v7, vcc, v3, v7, vcc
	v_add_u32_e32 v0, s3, v0
	v_cmp_le_i32_e32 vcc, s17, v0
	v_lshlrev_b64 v[6:7], 2, v[6:7]
	s_or_b64 s[0:1], vcc, s[0:1]
	v_add_co_u32_e32 v8, vcc, s12, v6
	v_addc_co_u32_e32 v9, vcc, v4, v7, vcc
	v_add_co_u32_e32 v6, vcc, s14, v6
	v_addc_co_u32_e32 v7, vcc, v5, v7, vcc
	global_store_dword v[8:9], v1, off
	global_store_dword v[6:7], v2, off
	s_andn2_b64 exec, exec, s[0:1]
	s_cbranch_execnz .LBB213_28
.LBB213_29:
	s_endpgm
	.section	.rodata,"a",@progbits
	.p2align	6, 0x0
	.amdhsa_kernel _ZN5aiter20topk_softplus_kernelI12hip_bfloat16fDv4_fLb1ELi1EEEvPKT_PKT0_PfPimiiif
		.amdhsa_group_segment_fixed_size 0
		.amdhsa_private_segment_fixed_size 0
		.amdhsa_kernarg_size 312
		.amdhsa_user_sgpr_count 6
		.amdhsa_user_sgpr_private_segment_buffer 1
		.amdhsa_user_sgpr_dispatch_ptr 0
		.amdhsa_user_sgpr_queue_ptr 0
		.amdhsa_user_sgpr_kernarg_segment_ptr 1
		.amdhsa_user_sgpr_dispatch_id 0
		.amdhsa_user_sgpr_flat_scratch_init 0
		.amdhsa_user_sgpr_kernarg_preload_length 0
		.amdhsa_user_sgpr_kernarg_preload_offset 0
		.amdhsa_user_sgpr_private_segment_size 0
		.amdhsa_uses_dynamic_stack 0
		.amdhsa_system_sgpr_private_segment_wavefront_offset 0
		.amdhsa_system_sgpr_workgroup_id_x 1
		.amdhsa_system_sgpr_workgroup_id_y 0
		.amdhsa_system_sgpr_workgroup_id_z 0
		.amdhsa_system_sgpr_workgroup_info 0
		.amdhsa_system_vgpr_workitem_id 0
		.amdhsa_next_free_vgpr 20
		.amdhsa_next_free_sgpr 37
		.amdhsa_accum_offset 20
		.amdhsa_reserve_vcc 1
		.amdhsa_reserve_flat_scratch 0
		.amdhsa_float_round_mode_32 0
		.amdhsa_float_round_mode_16_64 0
		.amdhsa_float_denorm_mode_32 3
		.amdhsa_float_denorm_mode_16_64 3
		.amdhsa_dx10_clamp 1
		.amdhsa_ieee_mode 1
		.amdhsa_fp16_overflow 0
		.amdhsa_tg_split 0
		.amdhsa_exception_fp_ieee_invalid_op 0
		.amdhsa_exception_fp_denorm_src 0
		.amdhsa_exception_fp_ieee_div_zero 0
		.amdhsa_exception_fp_ieee_overflow 0
		.amdhsa_exception_fp_ieee_underflow 0
		.amdhsa_exception_fp_ieee_inexact 0
		.amdhsa_exception_int_div_zero 0
	.end_amdhsa_kernel
	.section	.text._ZN5aiter20topk_softplus_kernelI12hip_bfloat16fDv4_fLb1ELi1EEEvPKT_PKT0_PfPimiiif,"axG",@progbits,_ZN5aiter20topk_softplus_kernelI12hip_bfloat16fDv4_fLb1ELi1EEEvPKT_PKT0_PfPimiiif,comdat
.Lfunc_end213:
	.size	_ZN5aiter20topk_softplus_kernelI12hip_bfloat16fDv4_fLb1ELi1EEEvPKT_PKT0_PfPimiiif, .Lfunc_end213-_ZN5aiter20topk_softplus_kernelI12hip_bfloat16fDv4_fLb1ELi1EEEvPKT_PKT0_PfPimiiif
                                        ; -- End function
	.section	.AMDGPU.csdata,"",@progbits
; Kernel info:
; codeLenInByte = 1708
; NumSgprs: 41
; NumVgprs: 20
; NumAgprs: 0
; TotalNumVgprs: 20
; ScratchSize: 0
; MemoryBound: 0
; FloatMode: 240
; IeeeMode: 1
; LDSByteSize: 0 bytes/workgroup (compile time only)
; SGPRBlocks: 5
; VGPRBlocks: 2
; NumSGPRsForWavesPerEU: 41
; NumVGPRsForWavesPerEU: 20
; AccumOffset: 20
; Occupancy: 8
; WaveLimiterHint : 0
; COMPUTE_PGM_RSRC2:SCRATCH_EN: 0
; COMPUTE_PGM_RSRC2:USER_SGPR: 6
; COMPUTE_PGM_RSRC2:TRAP_HANDLER: 0
; COMPUTE_PGM_RSRC2:TGID_X_EN: 1
; COMPUTE_PGM_RSRC2:TGID_Y_EN: 0
; COMPUTE_PGM_RSRC2:TGID_Z_EN: 0
; COMPUTE_PGM_RSRC2:TIDIG_COMP_CNT: 0
; COMPUTE_PGM_RSRC3_GFX90A:ACCUM_OFFSET: 4
; COMPUTE_PGM_RSRC3_GFX90A:TG_SPLIT: 0
	.section	.text._ZN5aiter20topk_softplus_kernelI12hip_bfloat16fDv4_fLb0ELi1EEEvPKT_PKT0_PfPimiiif,"axG",@progbits,_ZN5aiter20topk_softplus_kernelI12hip_bfloat16fDv4_fLb0ELi1EEEvPKT_PKT0_PfPimiiif,comdat
	.protected	_ZN5aiter20topk_softplus_kernelI12hip_bfloat16fDv4_fLb0ELi1EEEvPKT_PKT0_PfPimiiif ; -- Begin function _ZN5aiter20topk_softplus_kernelI12hip_bfloat16fDv4_fLb0ELi1EEEvPKT_PKT0_PfPimiiif
	.globl	_ZN5aiter20topk_softplus_kernelI12hip_bfloat16fDv4_fLb0ELi1EEEvPKT_PKT0_PfPimiiif
	.p2align	8
	.type	_ZN5aiter20topk_softplus_kernelI12hip_bfloat16fDv4_fLb0ELi1EEEvPKT_PKT0_PfPimiiif,@function
_ZN5aiter20topk_softplus_kernelI12hip_bfloat16fDv4_fLb0ELi1EEEvPKT_PKT0_PfPimiiif: ; @_ZN5aiter20topk_softplus_kernelI12hip_bfloat16fDv4_fLb0ELi1EEEvPKT_PKT0_PfPimiiif
; %bb.0:
	s_load_dwordx2 s[16:17], s[4:5], 0x28
	s_load_dwordx8 s[8:15], s[4:5], 0x0
	v_lshlrev_b32_e32 v1, 2, v0
	v_lshl_add_u32 v12, v0, 4, 0
	s_waitcnt lgkmcnt(0)
	s_ashr_i32 s0, s16, 31
	s_lshr_b32 s0, s0, 30
	s_add_i32 s0, s16, s0
	s_mul_i32 s18, s6, s16
	s_ashr_i32 s7, s0, 2
	s_ashr_i32 s19, s18, 31
	v_cmp_gt_i32_e64 s[0:1], s7, v0
	s_and_saveexec_b64 s[20:21], s[0:1]
	s_cbranch_execz .LBB214_11
; %bb.1:
	s_load_dword s24, s[4:5], 0x44
	s_cmp_lg_u64 s[10:11], 0
	s_cselect_b64 s[2:3], -1, 0
	v_lshlrev_b32_e32 v2, 3, v0
	s_mov_b64 s[22:23], 0
	s_waitcnt lgkmcnt(0)
	s_and_b32 s24, s24, 0xffff
	s_add_u32 s25, s10, 4
	s_addc_u32 s26, s11, 0
	s_add_u32 s27, s10, 8
	s_addc_u32 s28, s11, 0
	;; [unrolled: 2-line block ×3, first 2 shown]
	s_lshl_b64 s[34:35], s[18:19], 1
	s_add_u32 s33, s8, s34
	s_addc_u32 s34, s9, s35
	v_mov_b32_e32 v3, s34
	v_add_co_u32_e32 v6, vcc, s33, v2
	v_cndmask_b32_e64 v2, 0, 1, s[2:3]
	s_mov_b32 s31, 0
	v_addc_co_u32_e32 v7, vcc, 0, v3, vcc
	s_lshl_b32 s33, s24, 3
	v_lshlrev_b32_e32 v8, 2, v0
	s_lshl_b32 s34, s24, 2
	v_lshl_add_u32 v13, v0, 4, 0
	s_lshl_b32 s35, s24, 4
	v_mov_b32_e32 v9, 0
	s_mov_b32 s36, 0xc2fc0000
	v_mov_b32_e32 v14, 0x42800000
	v_mov_b32_e32 v15, 0x1f800000
	v_cmp_ne_u32_e64 s[2:3], 1, v2
	v_mov_b32_e32 v16, v0
	s_branch .LBB214_3
.LBB214_2:                              ;   in Loop: Header=BB214_3 Depth=1
	ds_write_b128 v13, v[2:5]
	v_mov_b32_e32 v2, s31
	v_add_co_u32_e32 v6, vcc, s33, v6
	v_add_u32_e32 v16, s24, v16
	v_addc_co_u32_e32 v7, vcc, v7, v2, vcc
	v_cmp_le_i32_e32 vcc, s7, v16
	v_add_u32_e32 v8, s34, v8
	s_or_b64 s[22:23], vcc, s[22:23]
	v_add_u32_e32 v13, s35, v13
	s_andn2_b64 exec, exec, s[22:23]
	s_cbranch_execz .LBB214_11
.LBB214_3:                              ; =>This Inner Loop Header: Depth=1
	global_load_dwordx2 v[4:5], v[6:7], off
	v_lshlrev_b64 v[10:11], 2, v[8:9]
	s_waitcnt vmcnt(0)
	v_cvt_f32_u32_sdwa v2, v4 dst_sel:DWORD dst_unused:UNUSED_PAD src0_sel:WORD_0
	v_mul_f32_e32 v3, 0xbfb8aa3b, v2
	v_cmp_gt_f32_e32 vcc, s36, v3
	v_cndmask_b32_e32 v3, 0, v14, vcc
	v_fmac_f32_e32 v3, 0xbfb8aa3b, v2
	v_exp_f32_e32 v2, v3
	v_cndmask_b32_e32 v3, 1.0, v15, vcc
	s_and_b64 vcc, exec, s[2:3]
	v_fma_f32 v2, v2, v3, 1.0
	v_rcp_f32_e32 v2, v2
	s_cbranch_vccnz .LBB214_5
; %bb.4:                                ;   in Loop: Header=BB214_3 Depth=1
	v_mov_b32_e32 v3, s11
	v_add_co_u32_e32 v18, vcc, s10, v10
	v_addc_co_u32_e32 v19, vcc, v3, v11, vcc
	global_load_dword v3, v[18:19], off
	s_waitcnt vmcnt(0)
	v_add_f32_e32 v2, v2, v3
.LBB214_5:                              ;   in Loop: Header=BB214_3 Depth=1
	v_cvt_f32_u32_sdwa v3, v4 dst_sel:DWORD dst_unused:UNUSED_PAD src0_sel:WORD_1
	v_mul_f32_e32 v4, 0xbfb8aa3b, v3
	v_cmp_gt_f32_e32 vcc, s36, v4
	v_cndmask_b32_e32 v4, 0, v14, vcc
	v_fmac_f32_e32 v4, 0xbfb8aa3b, v3
	v_exp_f32_e32 v3, v4
	v_cndmask_b32_e32 v4, 1.0, v15, vcc
	s_and_b64 vcc, exec, s[2:3]
	v_fma_f32 v3, v3, v4, 1.0
	v_rcp_f32_e32 v3, v3
	s_cbranch_vccnz .LBB214_7
; %bb.6:                                ;   in Loop: Header=BB214_3 Depth=1
	v_mov_b32_e32 v4, s26
	v_add_co_u32_e32 v18, vcc, s25, v10
	v_addc_co_u32_e32 v19, vcc, v4, v11, vcc
	global_load_dword v4, v[18:19], off
	s_waitcnt vmcnt(0)
	v_add_f32_e32 v3, v3, v4
.LBB214_7:                              ;   in Loop: Header=BB214_3 Depth=1
	v_cvt_f32_u32_sdwa v4, v5 dst_sel:DWORD dst_unused:UNUSED_PAD src0_sel:WORD_0
	v_mul_f32_e32 v17, 0xbfb8aa3b, v4
	v_cmp_gt_f32_e32 vcc, s36, v17
	v_cndmask_b32_e32 v17, 0, v14, vcc
	v_fmac_f32_e32 v17, 0xbfb8aa3b, v4
	v_exp_f32_e32 v4, v17
	v_cndmask_b32_e32 v17, 1.0, v15, vcc
	s_and_b64 vcc, exec, s[2:3]
	v_fma_f32 v4, v4, v17, 1.0
	v_rcp_f32_e32 v4, v4
	s_cbranch_vccnz .LBB214_9
; %bb.8:                                ;   in Loop: Header=BB214_3 Depth=1
	v_mov_b32_e32 v17, s28
	v_add_co_u32_e32 v18, vcc, s27, v10
	v_addc_co_u32_e32 v19, vcc, v17, v11, vcc
	global_load_dword v17, v[18:19], off
	s_waitcnt vmcnt(0)
	v_add_f32_e32 v4, v4, v17
.LBB214_9:                              ;   in Loop: Header=BB214_3 Depth=1
	v_cvt_f32_u32_sdwa v5, v5 dst_sel:DWORD dst_unused:UNUSED_PAD src0_sel:WORD_1
	v_mul_f32_e32 v17, 0xbfb8aa3b, v5
	v_cmp_gt_f32_e32 vcc, s36, v17
	v_cndmask_b32_e32 v17, 0, v14, vcc
	v_fmac_f32_e32 v17, 0xbfb8aa3b, v5
	v_exp_f32_e32 v5, v17
	v_cndmask_b32_e32 v17, 1.0, v15, vcc
	s_and_b64 vcc, exec, s[2:3]
	v_fma_f32 v5, v5, v17, 1.0
	v_rcp_f32_e32 v5, v5
	s_cbranch_vccnz .LBB214_2
; %bb.10:                               ;   in Loop: Header=BB214_3 Depth=1
	v_mov_b32_e32 v17, s30
	v_add_co_u32_e32 v10, vcc, s29, v10
	v_addc_co_u32_e32 v11, vcc, v17, v11, vcc
	global_load_dword v10, v[10:11], off
	s_waitcnt vmcnt(0)
	v_add_f32_e32 v5, v5, v10
	s_branch .LBB214_2
.LBB214_11:
	s_or_b64 exec, exec, s[20:21]
	v_lshl_add_u32 v2, s7, 2, v0
	v_cmp_gt_i32_e32 vcc, s16, v2
	s_and_saveexec_b64 s[20:21], vcc
	s_cbranch_execz .LBB214_16
; %bb.12:
	s_lshl_b64 s[2:3], s[18:19], 1
	s_load_dword s19, s[4:5], 0x44
	s_add_u32 s18, s8, s2
	s_addc_u32 s23, s9, s3
	s_cmp_lg_u64 s[10:11], 0
	s_cselect_b64 s[2:3], -1, 0
	s_lshl_b32 s22, s7, 4
	s_waitcnt lgkmcnt(0)
	s_and_b32 s19, s19, 0xffff
	s_add_i32 s22, s22, 0
	v_cndmask_b32_e64 v3, 0, 1, s[2:3]
	s_mov_b64 s[8:9], 0
	v_lshl_add_u32 v4, v0, 2, s22
	s_lshl_b32 s22, s19, 2
	v_mov_b32_e32 v5, s23
	s_mov_b32 s23, 0xc2fc0000
	v_mov_b32_e32 v6, 0x42800000
	v_mov_b32_e32 v7, 0x1f800000
	v_cmp_ne_u32_e64 s[2:3], 1, v3
	s_branch .LBB214_14
.LBB214_13:                             ;   in Loop: Header=BB214_14 Depth=1
	v_add_u32_e32 v2, s19, v2
	v_cmp_le_i32_e32 vcc, s16, v2
	s_or_b64 s[8:9], vcc, s[8:9]
	v_add_u32_e32 v4, s22, v4
	s_andn2_b64 exec, exec, s[8:9]
	s_cbranch_execz .LBB214_16
.LBB214_14:                             ; =>This Inner Loop Header: Depth=1
	v_ashrrev_i32_e32 v3, 31, v2
	v_lshlrev_b64 v[8:9], 1, v[2:3]
	v_add_co_u32_e32 v8, vcc, s18, v8
	v_addc_co_u32_e32 v9, vcc, v5, v9, vcc
	global_load_ushort v8, v[8:9], off
	s_waitcnt vmcnt(0)
	v_lshlrev_b32_e32 v8, 16, v8
	v_mul_f32_e32 v9, 0xbfb8aa3b, v8
	v_cmp_gt_f32_e32 vcc, s23, v9
	v_cndmask_b32_e32 v9, 0, v6, vcc
	v_fmac_f32_e32 v9, 0xbfb8aa3b, v8
	v_exp_f32_e32 v8, v9
	v_cndmask_b32_e32 v9, 1.0, v7, vcc
	s_and_b64 vcc, exec, s[2:3]
	v_fma_f32 v8, v8, v9, 1.0
	v_rcp_f32_e32 v8, v8
	ds_write_b32 v4, v8
	s_cbranch_vccnz .LBB214_13
; %bb.15:                               ;   in Loop: Header=BB214_14 Depth=1
	v_lshlrev_b64 v[10:11], 2, v[2:3]
	v_mov_b32_e32 v3, s11
	v_add_co_u32_e32 v10, vcc, s10, v10
	v_addc_co_u32_e32 v11, vcc, v3, v11, vcc
	global_load_dword v3, v[10:11], off
	s_waitcnt vmcnt(0)
	v_add_f32_e32 v3, v8, v3
	ds_write_b32 v4, v3
	s_branch .LBB214_13
.LBB214_16:
	s_or_b64 exec, exec, s[20:21]
	s_cmp_lt_i32 s17, 1
	s_waitcnt lgkmcnt(0)
	s_barrier
	s_cbranch_scc1 .LBB214_25
; %bb.17:
	s_add_u32 s2, s4, 56
	s_addc_u32 s3, s5, 0
	v_mbcnt_lo_u32_b32 v4, -1, 0
	s_cmp_lg_u64 s[10:11], 0
	v_mbcnt_hi_u32_b32 v4, -1, v4
	v_bfrev_b32_e32 v5, 0.5
	s_cselect_b64 s[8:9], -1, 0
	s_mov_b32 s16, 0
	v_mov_b32_e32 v2, 0
	v_mov_b32_e32 v3, 0
	v_lshl_or_b32 v4, v4, 2, v5
	v_mov_b32_e32 v5, 0xff800000
	s_branch .LBB214_19
.LBB214_18:                             ;   in Loop: Header=BB214_19 Depth=1
	s_lshl_b32 s19, s18, 2
	s_add_i32 s19, s19, 0
	v_mov_b32_e32 v6, s19
	ds_write_b32 v6, v5
	v_mov_b32_e32 v6, s18
	v_cmp_eq_u32_e32 vcc, s16, v0
	s_add_i32 s16, s16, 1
	v_cndmask_b32_e32 v2, v2, v6, vcc
	s_cmp_eq_u32 s16, s17
	v_cndmask_b32_e32 v3, v3, v8, vcc
	s_cbranch_scc1 .LBB214_26
.LBB214_19:                             ; =>This Loop Header: Depth=1
                                        ;     Child Loop BB214_21 Depth 2
	v_mov_b32_e32 v6, s16
	v_mov_b32_e32 v7, 0xff800000
	s_and_saveexec_b64 s[18:19], s[0:1]
	s_cbranch_execz .LBB214_23
; %bb.20:                               ;   in Loop: Header=BB214_19 Depth=1
	s_load_dword s22, s[2:3], 0xc
	s_mov_b64 s[20:21], 0
	v_mov_b32_e32 v6, s16
	v_mov_b32_e32 v7, 0xff800000
	;; [unrolled: 1-line block ×3, first 2 shown]
	s_waitcnt lgkmcnt(0)
	s_and_b32 s22, s22, 0xffff
	s_lshl_b32 s23, s22, 2
	s_lshl_b32 s24, s22, 4
	v_mov_b32_e32 v9, v1
	v_mov_b32_e32 v10, v0
.LBB214_21:                             ;   Parent Loop BB214_19 Depth=1
                                        ; =>  This Inner Loop Header: Depth=2
	ds_read_b128 v[14:17], v8
	v_add_u32_e32 v10, s22, v10
	v_cmp_le_i32_e32 vcc, s7, v10
	s_or_b64 s[20:21], vcc, s[20:21]
	v_add_u32_e32 v11, 1, v9
	s_waitcnt lgkmcnt(0)
	v_cmp_gt_f32_e32 vcc, v14, v7
	v_cndmask_b32_e32 v7, v7, v14, vcc
	v_cndmask_b32_e32 v6, v6, v9, vcc
	v_cmp_gt_f32_e32 vcc, v15, v7
	v_cndmask_b32_e32 v7, v7, v15, vcc
	v_cndmask_b32_e32 v6, v6, v11, vcc
	v_cmp_gt_f32_e32 vcc, v16, v7
	v_add_u32_e32 v13, 2, v9
	v_cndmask_b32_e32 v7, v7, v16, vcc
	v_add_u32_e32 v18, 3, v9
	v_cndmask_b32_e32 v6, v6, v13, vcc
	v_cmp_gt_f32_e32 vcc, v17, v7
	v_add_u32_e32 v8, s24, v8
	v_add_u32_e32 v9, s23, v9
	v_cndmask_b32_e32 v7, v7, v17, vcc
	v_cndmask_b32_e32 v6, v6, v18, vcc
	s_andn2_b64 exec, exec, s[20:21]
	s_cbranch_execnz .LBB214_21
; %bb.22:                               ;   in Loop: Header=BB214_19 Depth=1
	s_or_b64 exec, exec, s[20:21]
.LBB214_23:                             ;   in Loop: Header=BB214_19 Depth=1
	s_or_b64 exec, exec, s[18:19]
	;;#ASMSTART
	v_max_f32 v8, v7, v7 quad_perm:[1,0,3,2] row_mask:0xf bank_mask:0xf bound_ctrl:1
	;;#ASMEND
	;;#ASMSTART
	v_max_f32 v9, v8, v8 quad_perm:[2,3,0,1] row_mask:0xf bank_mask:0xf bound_ctrl:1
	;;#ASMEND
	;;#ASMSTART
	v_max_f32 v8, v9, v9 row_half_mirror row_mask:0xf bank_mask:0xf bound_ctrl:1
	;;#ASMEND
	;;#ASMSTART
	v_max_f32 v9, v8, v8 row_mirror row_mask:0xf bank_mask:0xf bound_ctrl:1
	;;#ASMEND
	;;#ASMSTART
	v_max_f32 v8, v9, v9 row_ror:4 row_mask:0xf bank_mask:0xf bound_ctrl:1
	;;#ASMEND
	;;#ASMSTART
	v_max_f32 v9, v8, v8 row_ror:8 row_mask:0xf bank_mask:0xf bound_ctrl:1
	;;#ASMEND
	;;#ASMSTART
	v_max_f32 v8, v9, v9 row_bcast:15 row_mask:0xf bank_mask:0xf bound_ctrl:1
	;;#ASMEND
	;;#ASMSTART
	v_max_f32 v9, v8, v8 row_bcast:31 row_mask:0xf bank_mask:0xf bound_ctrl:1
	;;#ASMEND
	ds_bpermute_b32 v8, v4, v9
	s_waitcnt lgkmcnt(0)
	v_cmp_eq_f32_e32 vcc, v7, v8
	s_ff1_i32_b64 s18, vcc
	s_cmp_lg_u64 vcc, 0
	s_cselect_b32 s18, s18, 0
	s_and_b64 vcc, exec, s[8:9]
	v_readlane_b32 s18, v6, s18
	s_cbranch_vccz .LBB214_18
; %bb.24:                               ;   in Loop: Header=BB214_19 Depth=1
	s_ashr_i32 s19, s18, 31
	s_lshl_b64 s[20:21], s[18:19], 2
	s_add_u32 s20, s10, s20
	s_addc_u32 s21, s11, s21
	s_load_dword s19, s[20:21], 0x0
	s_waitcnt lgkmcnt(0)
	v_subrev_f32_e32 v8, s19, v8
	s_branch .LBB214_18
.LBB214_25:
	v_mov_b32_e32 v3, 0
	v_mov_b32_e32 v2, 0
.LBB214_26:
	v_cmp_gt_i32_e32 vcc, s17, v0
	s_and_saveexec_b64 s[0:1], vcc
	s_cbranch_execz .LBB214_29
; %bb.27:
	s_load_dword s2, s[4:5], 0x34
	s_load_dwordx2 s[0:1], s[4:5], 0x20
	s_ashr_i32 s3, s6, 31
	s_load_dword s4, s[4:5], 0x44
	v_mov_b32_e32 v4, s13
	s_waitcnt lgkmcnt(0)
	v_mul_f32_e32 v1, s2, v3
	s_mul_i32 s1, s6, s1
	s_mul_hi_u32 s2, s6, s0
	s_add_i32 s1, s2, s1
	s_mul_i32 s3, s3, s0
	s_add_i32 s5, s1, s3
	s_mul_i32 s2, s6, s0
	s_and_b32 s3, s4, 0xffff
	s_mov_b64 s[0:1], 0
	v_mov_b32_e32 v3, s5
	v_mov_b32_e32 v5, s15
.LBB214_28:                             ; =>This Inner Loop Header: Depth=1
	v_ashrrev_i32_e32 v7, 31, v0
	v_add_co_u32_e32 v6, vcc, s2, v0
	v_addc_co_u32_e32 v7, vcc, v3, v7, vcc
	v_add_u32_e32 v0, s3, v0
	v_cmp_le_i32_e32 vcc, s17, v0
	v_lshlrev_b64 v[6:7], 2, v[6:7]
	s_or_b64 s[0:1], vcc, s[0:1]
	v_add_co_u32_e32 v8, vcc, s12, v6
	v_addc_co_u32_e32 v9, vcc, v4, v7, vcc
	v_add_co_u32_e32 v6, vcc, s14, v6
	v_addc_co_u32_e32 v7, vcc, v5, v7, vcc
	global_store_dword v[8:9], v1, off
	global_store_dword v[6:7], v2, off
	s_andn2_b64 exec, exec, s[0:1]
	s_cbranch_execnz .LBB214_28
.LBB214_29:
	s_endpgm
	.section	.rodata,"a",@progbits
	.p2align	6, 0x0
	.amdhsa_kernel _ZN5aiter20topk_softplus_kernelI12hip_bfloat16fDv4_fLb0ELi1EEEvPKT_PKT0_PfPimiiif
		.amdhsa_group_segment_fixed_size 0
		.amdhsa_private_segment_fixed_size 0
		.amdhsa_kernarg_size 312
		.amdhsa_user_sgpr_count 6
		.amdhsa_user_sgpr_private_segment_buffer 1
		.amdhsa_user_sgpr_dispatch_ptr 0
		.amdhsa_user_sgpr_queue_ptr 0
		.amdhsa_user_sgpr_kernarg_segment_ptr 1
		.amdhsa_user_sgpr_dispatch_id 0
		.amdhsa_user_sgpr_flat_scratch_init 0
		.amdhsa_user_sgpr_kernarg_preload_length 0
		.amdhsa_user_sgpr_kernarg_preload_offset 0
		.amdhsa_user_sgpr_private_segment_size 0
		.amdhsa_uses_dynamic_stack 0
		.amdhsa_system_sgpr_private_segment_wavefront_offset 0
		.amdhsa_system_sgpr_workgroup_id_x 1
		.amdhsa_system_sgpr_workgroup_id_y 0
		.amdhsa_system_sgpr_workgroup_id_z 0
		.amdhsa_system_sgpr_workgroup_info 0
		.amdhsa_system_vgpr_workitem_id 0
		.amdhsa_next_free_vgpr 20
		.amdhsa_next_free_sgpr 37
		.amdhsa_accum_offset 20
		.amdhsa_reserve_vcc 1
		.amdhsa_reserve_flat_scratch 0
		.amdhsa_float_round_mode_32 0
		.amdhsa_float_round_mode_16_64 0
		.amdhsa_float_denorm_mode_32 3
		.amdhsa_float_denorm_mode_16_64 3
		.amdhsa_dx10_clamp 1
		.amdhsa_ieee_mode 1
		.amdhsa_fp16_overflow 0
		.amdhsa_tg_split 0
		.amdhsa_exception_fp_ieee_invalid_op 0
		.amdhsa_exception_fp_denorm_src 0
		.amdhsa_exception_fp_ieee_div_zero 0
		.amdhsa_exception_fp_ieee_overflow 0
		.amdhsa_exception_fp_ieee_underflow 0
		.amdhsa_exception_fp_ieee_inexact 0
		.amdhsa_exception_int_div_zero 0
	.end_amdhsa_kernel
	.section	.text._ZN5aiter20topk_softplus_kernelI12hip_bfloat16fDv4_fLb0ELi1EEEvPKT_PKT0_PfPimiiif,"axG",@progbits,_ZN5aiter20topk_softplus_kernelI12hip_bfloat16fDv4_fLb0ELi1EEEvPKT_PKT0_PfPimiiif,comdat
.Lfunc_end214:
	.size	_ZN5aiter20topk_softplus_kernelI12hip_bfloat16fDv4_fLb0ELi1EEEvPKT_PKT0_PfPimiiif, .Lfunc_end214-_ZN5aiter20topk_softplus_kernelI12hip_bfloat16fDv4_fLb0ELi1EEEvPKT_PKT0_PfPimiiif
                                        ; -- End function
	.section	.AMDGPU.csdata,"",@progbits
; Kernel info:
; codeLenInByte = 1608
; NumSgprs: 41
; NumVgprs: 20
; NumAgprs: 0
; TotalNumVgprs: 20
; ScratchSize: 0
; MemoryBound: 0
; FloatMode: 240
; IeeeMode: 1
; LDSByteSize: 0 bytes/workgroup (compile time only)
; SGPRBlocks: 5
; VGPRBlocks: 2
; NumSGPRsForWavesPerEU: 41
; NumVGPRsForWavesPerEU: 20
; AccumOffset: 20
; Occupancy: 8
; WaveLimiterHint : 0
; COMPUTE_PGM_RSRC2:SCRATCH_EN: 0
; COMPUTE_PGM_RSRC2:USER_SGPR: 6
; COMPUTE_PGM_RSRC2:TRAP_HANDLER: 0
; COMPUTE_PGM_RSRC2:TGID_X_EN: 1
; COMPUTE_PGM_RSRC2:TGID_Y_EN: 0
; COMPUTE_PGM_RSRC2:TGID_Z_EN: 0
; COMPUTE_PGM_RSRC2:TIDIG_COMP_CNT: 0
; COMPUTE_PGM_RSRC3_GFX90A:ACCUM_OFFSET: 4
; COMPUTE_PGM_RSRC3_GFX90A:TG_SPLIT: 0
	.section	.text._ZN5aiter20topk_softplus_kernelI12hip_bfloat16fDv2_fLb1ELi1EEEvPKT_PKT0_PfPimiiif,"axG",@progbits,_ZN5aiter20topk_softplus_kernelI12hip_bfloat16fDv2_fLb1ELi1EEEvPKT_PKT0_PfPimiiif,comdat
	.protected	_ZN5aiter20topk_softplus_kernelI12hip_bfloat16fDv2_fLb1ELi1EEEvPKT_PKT0_PfPimiiif ; -- Begin function _ZN5aiter20topk_softplus_kernelI12hip_bfloat16fDv2_fLb1ELi1EEEvPKT_PKT0_PfPimiiif
	.globl	_ZN5aiter20topk_softplus_kernelI12hip_bfloat16fDv2_fLb1ELi1EEEvPKT_PKT0_PfPimiiif
	.p2align	8
	.type	_ZN5aiter20topk_softplus_kernelI12hip_bfloat16fDv2_fLb1ELi1EEEvPKT_PKT0_PfPimiiif,@function
_ZN5aiter20topk_softplus_kernelI12hip_bfloat16fDv2_fLb1ELi1EEEvPKT_PKT0_PfPimiiif: ; @_ZN5aiter20topk_softplus_kernelI12hip_bfloat16fDv2_fLb1ELi1EEEvPKT_PKT0_PfPimiiif
; %bb.0:
	s_load_dwordx2 s[16:17], s[4:5], 0x28
	s_load_dwordx8 s[8:15], s[4:5], 0x0
	s_waitcnt lgkmcnt(0)
	s_lshr_b32 s0, s16, 31
	s_add_i32 s0, s16, s0
	s_mul_i32 s18, s6, s16
	s_ashr_i32 s7, s0, 1
	s_ashr_i32 s19, s18, 31
	v_cmp_gt_i32_e64 s[0:1], s7, v0
	s_and_saveexec_b64 s[20:21], s[0:1]
	s_cbranch_execz .LBB215_7
; %bb.1:
	s_load_dword s24, s[4:5], 0x44
	s_cmp_lg_u64 s[10:11], 0
	s_cselect_b64 s[2:3], -1, 0
	s_lshl_b64 s[26:27], s[18:19], 1
	v_lshlrev_b32_e32 v1, 2, v0
	s_waitcnt lgkmcnt(0)
	s_and_b32 s24, s24, 0xffff
	s_add_u32 s25, s8, s26
	s_addc_u32 s26, s9, s27
	v_mov_b32_e32 v3, s26
	v_add_co_u32_e32 v2, vcc, s25, v1
	v_addc_co_u32_e32 v3, vcc, 0, v3, vcc
	v_lshlrev_b32_e32 v1, 3, v0
	v_mov_b32_e32 v4, s11
	v_add_co_u32_e32 v5, vcc, s10, v1
	v_addc_co_u32_e32 v6, vcc, 0, v4, vcc
	v_add_co_u32_e32 v4, vcc, 4, v5
	s_mov_b32 s28, 0
	v_addc_co_u32_e32 v5, vcc, 0, v6, vcc
	v_cndmask_b32_e64 v6, 0, 1, s[2:3]
	s_mov_b64 s[22:23], 0
	s_lshl_b32 s25, s24, 2
	s_lshl_b32 s26, s24, 3
	v_add_u32_e32 v1, 0, v1
	s_mov_b32 s27, 0xc2fc0000
	v_mov_b32_e32 v8, 0x42800000
	v_mov_b32_e32 v9, 0x1f800000
	v_cmp_ne_u32_e64 s[2:3], 1, v6
	v_mov_b32_e32 v10, s28
	v_mov_b32_e32 v11, s28
	;; [unrolled: 1-line block ×3, first 2 shown]
	s_branch .LBB215_3
.LBB215_2:                              ;   in Loop: Header=BB215_3 Depth=1
	v_add_co_u32_e32 v2, vcc, s25, v2
	v_addc_co_u32_e32 v3, vcc, v3, v10, vcc
	v_add_co_u32_e32 v4, vcc, s26, v4
	v_add_u32_e32 v12, s24, v12
	v_addc_co_u32_e32 v5, vcc, v5, v11, vcc
	v_cmp_le_i32_e32 vcc, s7, v12
	ds_write_b64 v1, v[6:7]
	s_or_b64 s[22:23], vcc, s[22:23]
	v_add_u32_e32 v1, s26, v1
	s_andn2_b64 exec, exec, s[22:23]
	s_cbranch_execz .LBB215_7
.LBB215_3:                              ; =>This Inner Loop Header: Depth=1
	global_load_dword v7, v[2:3], off
	s_waitcnt vmcnt(0)
	v_cvt_f32_u32_sdwa v6, v7 dst_sel:DWORD dst_unused:UNUSED_PAD src0_sel:WORD_0
	v_mul_f32_e32 v13, 0xbfb8aa3b, v6
	v_cmp_gt_f32_e32 vcc, s27, v13
	v_cndmask_b32_e32 v13, 0, v8, vcc
	v_fmac_f32_e32 v13, 0xbfb8aa3b, v6
	v_exp_f32_e32 v6, v13
	v_cndmask_b32_e32 v13, 1.0, v9, vcc
	s_and_b64 vcc, exec, s[2:3]
	v_fma_f32 v6, v6, v13, 1.0
	v_rcp_f32_e32 v6, v6
	s_cbranch_vccnz .LBB215_5
; %bb.4:                                ;   in Loop: Header=BB215_3 Depth=1
	global_load_dword v13, v[4:5], off offset:-4
	s_waitcnt vmcnt(0)
	v_add_f32_e32 v6, v6, v13
.LBB215_5:                              ;   in Loop: Header=BB215_3 Depth=1
	v_cvt_f32_u32_sdwa v7, v7 dst_sel:DWORD dst_unused:UNUSED_PAD src0_sel:WORD_1
	v_mul_f32_e32 v13, 0xbfb8aa3b, v7
	v_cmp_gt_f32_e32 vcc, s27, v13
	v_cndmask_b32_e32 v13, 0, v8, vcc
	v_fmac_f32_e32 v13, 0xbfb8aa3b, v7
	v_exp_f32_e32 v7, v13
	v_cndmask_b32_e32 v13, 1.0, v9, vcc
	s_and_b64 vcc, exec, s[2:3]
	v_fma_f32 v7, v7, v13, 1.0
	v_rcp_f32_e32 v7, v7
	s_cbranch_vccnz .LBB215_2
; %bb.6:                                ;   in Loop: Header=BB215_3 Depth=1
	global_load_dword v13, v[4:5], off
	s_waitcnt vmcnt(0)
	v_add_f32_e32 v7, v7, v13
	s_branch .LBB215_2
.LBB215_7:
	s_or_b64 exec, exec, s[20:21]
	v_lshl_add_u32 v2, s7, 1, v0
	v_cmp_gt_i32_e32 vcc, s16, v2
	s_and_saveexec_b64 s[20:21], vcc
	s_cbranch_execz .LBB215_12
; %bb.8:
	s_lshl_b64 s[2:3], s[18:19], 1
	s_load_dword s19, s[4:5], 0x44
	s_add_u32 s18, s8, s2
	s_addc_u32 s23, s9, s3
	s_cmp_lg_u64 s[10:11], 0
	s_cselect_b64 s[2:3], -1, 0
	s_lshl_b32 s22, s7, 3
	s_waitcnt lgkmcnt(0)
	s_and_b32 s19, s19, 0xffff
	s_add_i32 s22, s22, 0
	v_cndmask_b32_e64 v3, 0, 1, s[2:3]
	s_mov_b64 s[8:9], 0
	v_lshl_add_u32 v1, v0, 2, s22
	s_lshl_b32 s22, s19, 2
	v_mov_b32_e32 v4, s23
	s_mov_b32 s23, 0xc2fc0000
	v_mov_b32_e32 v5, 0x42800000
	v_mov_b32_e32 v6, 0x1f800000
	v_cmp_ne_u32_e64 s[2:3], 1, v3
	s_branch .LBB215_10
.LBB215_9:                              ;   in Loop: Header=BB215_10 Depth=1
	v_add_u32_e32 v2, s19, v2
	v_cmp_le_i32_e32 vcc, s16, v2
	s_or_b64 s[8:9], vcc, s[8:9]
	v_add_u32_e32 v1, s22, v1
	s_andn2_b64 exec, exec, s[8:9]
	s_cbranch_execz .LBB215_12
.LBB215_10:                             ; =>This Inner Loop Header: Depth=1
	v_ashrrev_i32_e32 v3, 31, v2
	v_lshlrev_b64 v[8:9], 1, v[2:3]
	v_add_co_u32_e32 v8, vcc, s18, v8
	v_addc_co_u32_e32 v9, vcc, v4, v9, vcc
	global_load_ushort v7, v[8:9], off
	s_waitcnt vmcnt(0)
	v_lshlrev_b32_e32 v7, 16, v7
	v_mul_f32_e32 v8, 0xbfb8aa3b, v7
	v_cmp_gt_f32_e32 vcc, s23, v8
	v_cndmask_b32_e32 v8, 0, v5, vcc
	v_fmac_f32_e32 v8, 0xbfb8aa3b, v7
	v_exp_f32_e32 v7, v8
	v_cndmask_b32_e32 v8, 1.0, v6, vcc
	s_and_b64 vcc, exec, s[2:3]
	v_fma_f32 v7, v7, v8, 1.0
	v_rcp_f32_e32 v7, v7
	ds_write_b32 v1, v7
	s_cbranch_vccnz .LBB215_9
; %bb.11:                               ;   in Loop: Header=BB215_10 Depth=1
	v_lshlrev_b64 v[8:9], 2, v[2:3]
	v_mov_b32_e32 v3, s11
	v_add_co_u32_e32 v8, vcc, s10, v8
	v_addc_co_u32_e32 v9, vcc, v3, v9, vcc
	global_load_dword v3, v[8:9], off
	s_waitcnt vmcnt(0)
	v_add_f32_e32 v3, v7, v3
	ds_write_b32 v1, v3
	s_branch .LBB215_9
.LBB215_12:
	s_or_b64 exec, exec, s[20:21]
	s_cmp_lt_i32 s17, 1
	v_mov_b32_e32 v2, 0
	s_waitcnt lgkmcnt(0)
	s_barrier
	s_cbranch_scc1 .LBB215_21
; %bb.13:
	s_add_u32 s2, s4, 56
	s_addc_u32 s3, s5, 0
	v_mbcnt_lo_u32_b32 v1, -1, 0
	s_cmp_lg_u64 s[10:11], 0
	v_mbcnt_hi_u32_b32 v1, -1, v1
	v_bfrev_b32_e32 v3, 0.5
	s_cselect_b64 s[8:9], -1, 0
	v_lshlrev_b32_e32 v4, 1, v0
	v_lshl_add_u32 v5, v0, 3, 0
	s_mov_b32 s16, 0
	v_mov_b32_e32 v2, 0
	v_lshl_or_b32 v6, v1, 2, v3
	v_mov_b32_e32 v7, 0xff800000
	v_mov_b32_e32 v1, 0
	v_mov_b32_e32 v3, 0
	s_branch .LBB215_15
.LBB215_14:                             ;   in Loop: Header=BB215_15 Depth=1
	s_lshl_b32 s19, s18, 2
	s_add_i32 s19, s19, 0
	v_mov_b32_e32 v8, s19
	ds_write_b32 v8, v7
	v_mov_b32_e32 v8, s18
	v_cmp_eq_u32_e32 vcc, s16, v0
	s_add_i32 s16, s16, 1
	v_cndmask_b32_e32 v1, v1, v8, vcc
	v_cndmask_b32_e32 v2, v2, v10, vcc
	s_cmp_eq_u32 s16, s17
	v_add_f32_e32 v3, v3, v10
	s_cbranch_scc1 .LBB215_22
.LBB215_15:                             ; =>This Loop Header: Depth=1
                                        ;     Child Loop BB215_17 Depth 2
	v_mov_b32_e32 v8, s16
	v_mov_b32_e32 v9, 0xff800000
	s_and_saveexec_b64 s[18:19], s[0:1]
	s_cbranch_execz .LBB215_19
; %bb.16:                               ;   in Loop: Header=BB215_15 Depth=1
	s_load_dword s22, s[2:3], 0xc
	s_mov_b64 s[20:21], 0
	v_mov_b32_e32 v8, s16
	v_mov_b32_e32 v9, 0xff800000
	;; [unrolled: 1-line block ×3, first 2 shown]
	s_waitcnt lgkmcnt(0)
	s_and_b32 s22, s22, 0xffff
	s_lshl_b32 s23, s22, 1
	s_lshl_b32 s24, s22, 3
	v_mov_b32_e32 v11, v4
	v_mov_b32_e32 v12, v0
.LBB215_17:                             ;   Parent Loop BB215_15 Depth=1
                                        ; =>  This Inner Loop Header: Depth=2
	ds_read_b64 v[14:15], v10
	v_add_u32_e32 v12, s22, v12
	v_cmp_le_i32_e32 vcc, s7, v12
	s_or_b64 s[20:21], vcc, s[20:21]
	v_add_u32_e32 v13, 1, v11
	s_waitcnt lgkmcnt(0)
	v_cmp_gt_f32_e32 vcc, v14, v9
	v_cndmask_b32_e32 v9, v9, v14, vcc
	v_cndmask_b32_e32 v8, v8, v11, vcc
	v_cmp_gt_f32_e32 vcc, v15, v9
	v_add_u32_e32 v10, s24, v10
	v_cndmask_b32_e32 v9, v9, v15, vcc
	v_add_u32_e32 v11, s23, v11
	v_cndmask_b32_e32 v8, v8, v13, vcc
	s_andn2_b64 exec, exec, s[20:21]
	s_cbranch_execnz .LBB215_17
; %bb.18:                               ;   in Loop: Header=BB215_15 Depth=1
	s_or_b64 exec, exec, s[20:21]
.LBB215_19:                             ;   in Loop: Header=BB215_15 Depth=1
	s_or_b64 exec, exec, s[18:19]
	;;#ASMSTART
	v_max_f32 v10, v9, v9 quad_perm:[1,0,3,2] row_mask:0xf bank_mask:0xf bound_ctrl:1
	;;#ASMEND
	;;#ASMSTART
	v_max_f32 v11, v10, v10 quad_perm:[2,3,0,1] row_mask:0xf bank_mask:0xf bound_ctrl:1
	;;#ASMEND
	;;#ASMSTART
	v_max_f32 v10, v11, v11 row_half_mirror row_mask:0xf bank_mask:0xf bound_ctrl:1
	;;#ASMEND
	;;#ASMSTART
	v_max_f32 v11, v10, v10 row_mirror row_mask:0xf bank_mask:0xf bound_ctrl:1
	;;#ASMEND
	;;#ASMSTART
	v_max_f32 v10, v11, v11 row_ror:4 row_mask:0xf bank_mask:0xf bound_ctrl:1
	;;#ASMEND
	;;#ASMSTART
	v_max_f32 v11, v10, v10 row_ror:8 row_mask:0xf bank_mask:0xf bound_ctrl:1
	;;#ASMEND
	;;#ASMSTART
	v_max_f32 v10, v11, v11 row_bcast:15 row_mask:0xf bank_mask:0xf bound_ctrl:1
	;;#ASMEND
	;;#ASMSTART
	v_max_f32 v11, v10, v10 row_bcast:31 row_mask:0xf bank_mask:0xf bound_ctrl:1
	;;#ASMEND
	ds_bpermute_b32 v10, v6, v11
	s_waitcnt lgkmcnt(0)
	v_cmp_eq_f32_e32 vcc, v9, v10
	s_ff1_i32_b64 s18, vcc
	s_cmp_lg_u64 vcc, 0
	s_cselect_b32 s18, s18, 0
	s_and_b64 vcc, exec, s[8:9]
	v_readlane_b32 s18, v8, s18
	s_cbranch_vccz .LBB215_14
; %bb.20:                               ;   in Loop: Header=BB215_15 Depth=1
	s_ashr_i32 s19, s18, 31
	s_lshl_b64 s[20:21], s[18:19], 2
	s_add_u32 s20, s10, s20
	s_addc_u32 s21, s11, s21
	s_load_dword s19, s[20:21], 0x0
	s_waitcnt lgkmcnt(0)
	v_subrev_f32_e32 v10, s19, v10
	s_branch .LBB215_14
.LBB215_21:
	v_mov_b32_e32 v1, 0
	v_mov_b32_e32 v3, 0
.LBB215_22:
	v_cmp_gt_i32_e32 vcc, s17, v0
	s_and_saveexec_b64 s[0:1], vcc
	s_cbranch_execz .LBB215_25
; %bb.23:
	s_load_dword s2, s[4:5], 0x34
	v_max_f32_e32 v3, v3, v3
	v_max_f32_e32 v3, 0x1e3ce508, v3
	s_load_dword s3, s[4:5], 0x44
	s_waitcnt lgkmcnt(0)
	v_div_scale_f32 v4, s[0:1], v3, v3, s2
	s_load_dwordx2 s[0:1], s[4:5], 0x20
	v_rcp_f32_e32 v5, v4
	v_div_scale_f32 v6, vcc, s2, v3, s2
	s_and_b32 s3, s3, 0xffff
	v_fma_f32 v7, -v4, v5, 1.0
	v_fmac_f32_e32 v5, v7, v5
	v_mul_f32_e32 v7, v6, v5
	v_fma_f32 v8, -v4, v7, v6
	v_fmac_f32_e32 v7, v8, v5
	v_fma_f32 v4, -v4, v7, v6
	v_div_fmas_f32 v4, v4, v5, v7
	v_div_fixup_f32 v3, v4, v3, s2
	s_ashr_i32 s2, s6, 31
	s_waitcnt lgkmcnt(0)
	s_mul_i32 s1, s6, s1
	s_mul_hi_u32 s4, s6, s0
	s_add_i32 s1, s4, s1
	s_mul_i32 s2, s2, s0
	s_add_i32 s4, s1, s2
	v_mul_f32_e32 v2, v2, v3
	s_mul_i32 s2, s6, s0
	s_mov_b64 s[0:1], 0
	v_mov_b32_e32 v3, s4
	v_mov_b32_e32 v4, s13
	;; [unrolled: 1-line block ×3, first 2 shown]
.LBB215_24:                             ; =>This Inner Loop Header: Depth=1
	v_ashrrev_i32_e32 v7, 31, v0
	v_add_co_u32_e32 v6, vcc, s2, v0
	v_addc_co_u32_e32 v7, vcc, v3, v7, vcc
	v_add_u32_e32 v0, s3, v0
	v_cmp_le_i32_e32 vcc, s17, v0
	v_lshlrev_b64 v[6:7], 2, v[6:7]
	s_or_b64 s[0:1], vcc, s[0:1]
	v_add_co_u32_e32 v8, vcc, s12, v6
	v_addc_co_u32_e32 v9, vcc, v4, v7, vcc
	v_add_co_u32_e32 v6, vcc, s14, v6
	v_addc_co_u32_e32 v7, vcc, v5, v7, vcc
	global_store_dword v[8:9], v2, off
	global_store_dword v[6:7], v1, off
	s_andn2_b64 exec, exec, s[0:1]
	s_cbranch_execnz .LBB215_24
.LBB215_25:
	s_endpgm
	.section	.rodata,"a",@progbits
	.p2align	6, 0x0
	.amdhsa_kernel _ZN5aiter20topk_softplus_kernelI12hip_bfloat16fDv2_fLb1ELi1EEEvPKT_PKT0_PfPimiiif
		.amdhsa_group_segment_fixed_size 0
		.amdhsa_private_segment_fixed_size 0
		.amdhsa_kernarg_size 312
		.amdhsa_user_sgpr_count 6
		.amdhsa_user_sgpr_private_segment_buffer 1
		.amdhsa_user_sgpr_dispatch_ptr 0
		.amdhsa_user_sgpr_queue_ptr 0
		.amdhsa_user_sgpr_kernarg_segment_ptr 1
		.amdhsa_user_sgpr_dispatch_id 0
		.amdhsa_user_sgpr_flat_scratch_init 0
		.amdhsa_user_sgpr_kernarg_preload_length 0
		.amdhsa_user_sgpr_kernarg_preload_offset 0
		.amdhsa_user_sgpr_private_segment_size 0
		.amdhsa_uses_dynamic_stack 0
		.amdhsa_system_sgpr_private_segment_wavefront_offset 0
		.amdhsa_system_sgpr_workgroup_id_x 1
		.amdhsa_system_sgpr_workgroup_id_y 0
		.amdhsa_system_sgpr_workgroup_id_z 0
		.amdhsa_system_sgpr_workgroup_info 0
		.amdhsa_system_vgpr_workitem_id 0
		.amdhsa_next_free_vgpr 16
		.amdhsa_next_free_sgpr 29
		.amdhsa_accum_offset 16
		.amdhsa_reserve_vcc 1
		.amdhsa_reserve_flat_scratch 0
		.amdhsa_float_round_mode_32 0
		.amdhsa_float_round_mode_16_64 0
		.amdhsa_float_denorm_mode_32 3
		.amdhsa_float_denorm_mode_16_64 3
		.amdhsa_dx10_clamp 1
		.amdhsa_ieee_mode 1
		.amdhsa_fp16_overflow 0
		.amdhsa_tg_split 0
		.amdhsa_exception_fp_ieee_invalid_op 0
		.amdhsa_exception_fp_denorm_src 0
		.amdhsa_exception_fp_ieee_div_zero 0
		.amdhsa_exception_fp_ieee_overflow 0
		.amdhsa_exception_fp_ieee_underflow 0
		.amdhsa_exception_fp_ieee_inexact 0
		.amdhsa_exception_int_div_zero 0
	.end_amdhsa_kernel
	.section	.text._ZN5aiter20topk_softplus_kernelI12hip_bfloat16fDv2_fLb1ELi1EEEvPKT_PKT0_PfPimiiif,"axG",@progbits,_ZN5aiter20topk_softplus_kernelI12hip_bfloat16fDv2_fLb1ELi1EEEvPKT_PKT0_PfPimiiif,comdat
.Lfunc_end215:
	.size	_ZN5aiter20topk_softplus_kernelI12hip_bfloat16fDv2_fLb1ELi1EEEvPKT_PKT0_PfPimiiif, .Lfunc_end215-_ZN5aiter20topk_softplus_kernelI12hip_bfloat16fDv2_fLb1ELi1EEEvPKT_PKT0_PfPimiiif
                                        ; -- End function
	.section	.AMDGPU.csdata,"",@progbits
; Kernel info:
; codeLenInByte = 1456
; NumSgprs: 33
; NumVgprs: 16
; NumAgprs: 0
; TotalNumVgprs: 16
; ScratchSize: 0
; MemoryBound: 0
; FloatMode: 240
; IeeeMode: 1
; LDSByteSize: 0 bytes/workgroup (compile time only)
; SGPRBlocks: 4
; VGPRBlocks: 1
; NumSGPRsForWavesPerEU: 33
; NumVGPRsForWavesPerEU: 16
; AccumOffset: 16
; Occupancy: 8
; WaveLimiterHint : 0
; COMPUTE_PGM_RSRC2:SCRATCH_EN: 0
; COMPUTE_PGM_RSRC2:USER_SGPR: 6
; COMPUTE_PGM_RSRC2:TRAP_HANDLER: 0
; COMPUTE_PGM_RSRC2:TGID_X_EN: 1
; COMPUTE_PGM_RSRC2:TGID_Y_EN: 0
; COMPUTE_PGM_RSRC2:TGID_Z_EN: 0
; COMPUTE_PGM_RSRC2:TIDIG_COMP_CNT: 0
; COMPUTE_PGM_RSRC3_GFX90A:ACCUM_OFFSET: 3
; COMPUTE_PGM_RSRC3_GFX90A:TG_SPLIT: 0
	.section	.text._ZN5aiter20topk_softplus_kernelI12hip_bfloat16fDv2_fLb0ELi1EEEvPKT_PKT0_PfPimiiif,"axG",@progbits,_ZN5aiter20topk_softplus_kernelI12hip_bfloat16fDv2_fLb0ELi1EEEvPKT_PKT0_PfPimiiif,comdat
	.protected	_ZN5aiter20topk_softplus_kernelI12hip_bfloat16fDv2_fLb0ELi1EEEvPKT_PKT0_PfPimiiif ; -- Begin function _ZN5aiter20topk_softplus_kernelI12hip_bfloat16fDv2_fLb0ELi1EEEvPKT_PKT0_PfPimiiif
	.globl	_ZN5aiter20topk_softplus_kernelI12hip_bfloat16fDv2_fLb0ELi1EEEvPKT_PKT0_PfPimiiif
	.p2align	8
	.type	_ZN5aiter20topk_softplus_kernelI12hip_bfloat16fDv2_fLb0ELi1EEEvPKT_PKT0_PfPimiiif,@function
_ZN5aiter20topk_softplus_kernelI12hip_bfloat16fDv2_fLb0ELi1EEEvPKT_PKT0_PfPimiiif: ; @_ZN5aiter20topk_softplus_kernelI12hip_bfloat16fDv2_fLb0ELi1EEEvPKT_PKT0_PfPimiiif
; %bb.0:
	s_load_dwordx2 s[16:17], s[4:5], 0x28
	s_load_dwordx8 s[8:15], s[4:5], 0x0
	s_waitcnt lgkmcnt(0)
	s_lshr_b32 s0, s16, 31
	s_add_i32 s0, s16, s0
	s_mul_i32 s18, s6, s16
	s_ashr_i32 s7, s0, 1
	s_ashr_i32 s19, s18, 31
	v_cmp_gt_i32_e64 s[0:1], s7, v0
	s_and_saveexec_b64 s[20:21], s[0:1]
	s_cbranch_execz .LBB216_7
; %bb.1:
	s_load_dword s24, s[4:5], 0x44
	s_cmp_lg_u64 s[10:11], 0
	s_cselect_b64 s[2:3], -1, 0
	s_lshl_b64 s[26:27], s[18:19], 1
	v_lshlrev_b32_e32 v1, 2, v0
	s_waitcnt lgkmcnt(0)
	s_and_b32 s24, s24, 0xffff
	s_add_u32 s25, s8, s26
	s_addc_u32 s26, s9, s27
	v_mov_b32_e32 v3, s26
	v_add_co_u32_e32 v2, vcc, s25, v1
	v_addc_co_u32_e32 v3, vcc, 0, v3, vcc
	v_lshlrev_b32_e32 v1, 3, v0
	v_mov_b32_e32 v4, s11
	v_add_co_u32_e32 v5, vcc, s10, v1
	v_addc_co_u32_e32 v6, vcc, 0, v4, vcc
	v_add_co_u32_e32 v4, vcc, 4, v5
	s_mov_b32 s28, 0
	v_addc_co_u32_e32 v5, vcc, 0, v6, vcc
	v_cndmask_b32_e64 v6, 0, 1, s[2:3]
	s_mov_b64 s[22:23], 0
	s_lshl_b32 s25, s24, 2
	s_lshl_b32 s26, s24, 3
	v_add_u32_e32 v1, 0, v1
	s_mov_b32 s27, 0xc2fc0000
	v_mov_b32_e32 v8, 0x42800000
	v_mov_b32_e32 v9, 0x1f800000
	v_cmp_ne_u32_e64 s[2:3], 1, v6
	v_mov_b32_e32 v10, s28
	v_mov_b32_e32 v11, s28
	;; [unrolled: 1-line block ×3, first 2 shown]
	s_branch .LBB216_3
.LBB216_2:                              ;   in Loop: Header=BB216_3 Depth=1
	v_add_co_u32_e32 v2, vcc, s25, v2
	v_addc_co_u32_e32 v3, vcc, v3, v10, vcc
	v_add_co_u32_e32 v4, vcc, s26, v4
	v_add_u32_e32 v12, s24, v12
	v_addc_co_u32_e32 v5, vcc, v5, v11, vcc
	v_cmp_le_i32_e32 vcc, s7, v12
	ds_write_b64 v1, v[6:7]
	s_or_b64 s[22:23], vcc, s[22:23]
	v_add_u32_e32 v1, s26, v1
	s_andn2_b64 exec, exec, s[22:23]
	s_cbranch_execz .LBB216_7
.LBB216_3:                              ; =>This Inner Loop Header: Depth=1
	global_load_dword v7, v[2:3], off
	s_waitcnt vmcnt(0)
	v_cvt_f32_u32_sdwa v6, v7 dst_sel:DWORD dst_unused:UNUSED_PAD src0_sel:WORD_0
	v_mul_f32_e32 v13, 0xbfb8aa3b, v6
	v_cmp_gt_f32_e32 vcc, s27, v13
	v_cndmask_b32_e32 v13, 0, v8, vcc
	v_fmac_f32_e32 v13, 0xbfb8aa3b, v6
	v_exp_f32_e32 v6, v13
	v_cndmask_b32_e32 v13, 1.0, v9, vcc
	s_and_b64 vcc, exec, s[2:3]
	v_fma_f32 v6, v6, v13, 1.0
	v_rcp_f32_e32 v6, v6
	s_cbranch_vccnz .LBB216_5
; %bb.4:                                ;   in Loop: Header=BB216_3 Depth=1
	global_load_dword v13, v[4:5], off offset:-4
	s_waitcnt vmcnt(0)
	v_add_f32_e32 v6, v6, v13
.LBB216_5:                              ;   in Loop: Header=BB216_3 Depth=1
	v_cvt_f32_u32_sdwa v7, v7 dst_sel:DWORD dst_unused:UNUSED_PAD src0_sel:WORD_1
	v_mul_f32_e32 v13, 0xbfb8aa3b, v7
	v_cmp_gt_f32_e32 vcc, s27, v13
	v_cndmask_b32_e32 v13, 0, v8, vcc
	v_fmac_f32_e32 v13, 0xbfb8aa3b, v7
	v_exp_f32_e32 v7, v13
	v_cndmask_b32_e32 v13, 1.0, v9, vcc
	s_and_b64 vcc, exec, s[2:3]
	v_fma_f32 v7, v7, v13, 1.0
	v_rcp_f32_e32 v7, v7
	s_cbranch_vccnz .LBB216_2
; %bb.6:                                ;   in Loop: Header=BB216_3 Depth=1
	global_load_dword v13, v[4:5], off
	s_waitcnt vmcnt(0)
	v_add_f32_e32 v7, v7, v13
	s_branch .LBB216_2
.LBB216_7:
	s_or_b64 exec, exec, s[20:21]
	v_lshl_add_u32 v2, s7, 1, v0
	v_cmp_gt_i32_e32 vcc, s16, v2
	s_and_saveexec_b64 s[20:21], vcc
	s_cbranch_execz .LBB216_12
; %bb.8:
	s_lshl_b64 s[2:3], s[18:19], 1
	s_load_dword s19, s[4:5], 0x44
	s_add_u32 s18, s8, s2
	s_addc_u32 s23, s9, s3
	s_cmp_lg_u64 s[10:11], 0
	s_cselect_b64 s[2:3], -1, 0
	s_lshl_b32 s22, s7, 3
	s_waitcnt lgkmcnt(0)
	s_and_b32 s19, s19, 0xffff
	s_add_i32 s22, s22, 0
	v_cndmask_b32_e64 v3, 0, 1, s[2:3]
	s_mov_b64 s[8:9], 0
	v_lshl_add_u32 v1, v0, 2, s22
	s_lshl_b32 s22, s19, 2
	v_mov_b32_e32 v4, s23
	s_mov_b32 s23, 0xc2fc0000
	v_mov_b32_e32 v5, 0x42800000
	v_mov_b32_e32 v6, 0x1f800000
	v_cmp_ne_u32_e64 s[2:3], 1, v3
	s_branch .LBB216_10
.LBB216_9:                              ;   in Loop: Header=BB216_10 Depth=1
	v_add_u32_e32 v2, s19, v2
	v_cmp_le_i32_e32 vcc, s16, v2
	s_or_b64 s[8:9], vcc, s[8:9]
	v_add_u32_e32 v1, s22, v1
	s_andn2_b64 exec, exec, s[8:9]
	s_cbranch_execz .LBB216_12
.LBB216_10:                             ; =>This Inner Loop Header: Depth=1
	v_ashrrev_i32_e32 v3, 31, v2
	v_lshlrev_b64 v[8:9], 1, v[2:3]
	v_add_co_u32_e32 v8, vcc, s18, v8
	v_addc_co_u32_e32 v9, vcc, v4, v9, vcc
	global_load_ushort v7, v[8:9], off
	s_waitcnt vmcnt(0)
	v_lshlrev_b32_e32 v7, 16, v7
	v_mul_f32_e32 v8, 0xbfb8aa3b, v7
	v_cmp_gt_f32_e32 vcc, s23, v8
	v_cndmask_b32_e32 v8, 0, v5, vcc
	v_fmac_f32_e32 v8, 0xbfb8aa3b, v7
	v_exp_f32_e32 v7, v8
	v_cndmask_b32_e32 v8, 1.0, v6, vcc
	s_and_b64 vcc, exec, s[2:3]
	v_fma_f32 v7, v7, v8, 1.0
	v_rcp_f32_e32 v7, v7
	ds_write_b32 v1, v7
	s_cbranch_vccnz .LBB216_9
; %bb.11:                               ;   in Loop: Header=BB216_10 Depth=1
	v_lshlrev_b64 v[8:9], 2, v[2:3]
	v_mov_b32_e32 v3, s11
	v_add_co_u32_e32 v8, vcc, s10, v8
	v_addc_co_u32_e32 v9, vcc, v3, v9, vcc
	global_load_dword v3, v[8:9], off
	s_waitcnt vmcnt(0)
	v_add_f32_e32 v3, v7, v3
	ds_write_b32 v1, v3
	s_branch .LBB216_9
.LBB216_12:
	s_or_b64 exec, exec, s[20:21]
	s_cmp_lt_i32 s17, 1
	s_waitcnt lgkmcnt(0)
	s_barrier
	s_cbranch_scc1 .LBB216_21
; %bb.13:
	s_add_u32 s2, s4, 56
	s_addc_u32 s3, s5, 0
	v_mbcnt_lo_u32_b32 v5, -1, 0
	s_cmp_lg_u64 s[10:11], 0
	v_mbcnt_hi_u32_b32 v5, -1, v5
	v_bfrev_b32_e32 v6, 0.5
	s_cselect_b64 s[8:9], -1, 0
	v_lshlrev_b32_e32 v3, 1, v0
	s_mov_b32 s16, 0
	v_mov_b32_e32 v1, 0
	v_lshl_add_u32 v4, v0, 3, 0
	v_mov_b32_e32 v2, 0
	v_lshl_or_b32 v5, v5, 2, v6
	v_mov_b32_e32 v6, 0xff800000
	s_branch .LBB216_15
.LBB216_14:                             ;   in Loop: Header=BB216_15 Depth=1
	s_lshl_b32 s19, s18, 2
	s_add_i32 s19, s19, 0
	v_mov_b32_e32 v7, s19
	ds_write_b32 v7, v6
	v_mov_b32_e32 v7, s18
	v_cmp_eq_u32_e32 vcc, s16, v0
	s_add_i32 s16, s16, 1
	v_cndmask_b32_e32 v1, v1, v7, vcc
	s_cmp_eq_u32 s16, s17
	v_cndmask_b32_e32 v2, v2, v9, vcc
	s_cbranch_scc1 .LBB216_22
.LBB216_15:                             ; =>This Loop Header: Depth=1
                                        ;     Child Loop BB216_17 Depth 2
	v_mov_b32_e32 v7, s16
	v_mov_b32_e32 v8, 0xff800000
	s_and_saveexec_b64 s[18:19], s[0:1]
	s_cbranch_execz .LBB216_19
; %bb.16:                               ;   in Loop: Header=BB216_15 Depth=1
	s_load_dword s22, s[2:3], 0xc
	s_mov_b64 s[20:21], 0
	v_mov_b32_e32 v7, s16
	v_mov_b32_e32 v8, 0xff800000
	;; [unrolled: 1-line block ×3, first 2 shown]
	s_waitcnt lgkmcnt(0)
	s_and_b32 s22, s22, 0xffff
	s_lshl_b32 s23, s22, 1
	s_lshl_b32 s24, s22, 3
	v_mov_b32_e32 v10, v3
	v_mov_b32_e32 v11, v0
.LBB216_17:                             ;   Parent Loop BB216_15 Depth=1
                                        ; =>  This Inner Loop Header: Depth=2
	ds_read_b64 v[12:13], v9
	v_add_u32_e32 v11, s22, v11
	v_cmp_le_i32_e32 vcc, s7, v11
	s_or_b64 s[20:21], vcc, s[20:21]
	v_add_u32_e32 v14, 1, v10
	s_waitcnt lgkmcnt(0)
	v_cmp_gt_f32_e32 vcc, v12, v8
	v_cndmask_b32_e32 v8, v8, v12, vcc
	v_cndmask_b32_e32 v7, v7, v10, vcc
	v_cmp_gt_f32_e32 vcc, v13, v8
	v_add_u32_e32 v9, s24, v9
	v_cndmask_b32_e32 v8, v8, v13, vcc
	v_add_u32_e32 v10, s23, v10
	v_cndmask_b32_e32 v7, v7, v14, vcc
	s_andn2_b64 exec, exec, s[20:21]
	s_cbranch_execnz .LBB216_17
; %bb.18:                               ;   in Loop: Header=BB216_15 Depth=1
	s_or_b64 exec, exec, s[20:21]
.LBB216_19:                             ;   in Loop: Header=BB216_15 Depth=1
	s_or_b64 exec, exec, s[18:19]
	;;#ASMSTART
	v_max_f32 v9, v8, v8 quad_perm:[1,0,3,2] row_mask:0xf bank_mask:0xf bound_ctrl:1
	;;#ASMEND
	;;#ASMSTART
	v_max_f32 v10, v9, v9 quad_perm:[2,3,0,1] row_mask:0xf bank_mask:0xf bound_ctrl:1
	;;#ASMEND
	;;#ASMSTART
	v_max_f32 v9, v10, v10 row_half_mirror row_mask:0xf bank_mask:0xf bound_ctrl:1
	;;#ASMEND
	;;#ASMSTART
	v_max_f32 v10, v9, v9 row_mirror row_mask:0xf bank_mask:0xf bound_ctrl:1
	;;#ASMEND
	;;#ASMSTART
	v_max_f32 v9, v10, v10 row_ror:4 row_mask:0xf bank_mask:0xf bound_ctrl:1
	;;#ASMEND
	;;#ASMSTART
	v_max_f32 v10, v9, v9 row_ror:8 row_mask:0xf bank_mask:0xf bound_ctrl:1
	;;#ASMEND
	;;#ASMSTART
	v_max_f32 v9, v10, v10 row_bcast:15 row_mask:0xf bank_mask:0xf bound_ctrl:1
	;;#ASMEND
	;;#ASMSTART
	v_max_f32 v10, v9, v9 row_bcast:31 row_mask:0xf bank_mask:0xf bound_ctrl:1
	;;#ASMEND
	ds_bpermute_b32 v9, v5, v10
	s_waitcnt lgkmcnt(0)
	v_cmp_eq_f32_e32 vcc, v8, v9
	s_ff1_i32_b64 s18, vcc
	s_cmp_lg_u64 vcc, 0
	s_cselect_b32 s18, s18, 0
	s_and_b64 vcc, exec, s[8:9]
	v_readlane_b32 s18, v7, s18
	s_cbranch_vccz .LBB216_14
; %bb.20:                               ;   in Loop: Header=BB216_15 Depth=1
	s_ashr_i32 s19, s18, 31
	s_lshl_b64 s[20:21], s[18:19], 2
	s_add_u32 s20, s10, s20
	s_addc_u32 s21, s11, s21
	s_load_dword s19, s[20:21], 0x0
	s_waitcnt lgkmcnt(0)
	v_subrev_f32_e32 v9, s19, v9
	s_branch .LBB216_14
.LBB216_21:
	v_mov_b32_e32 v2, 0
	v_mov_b32_e32 v1, 0
.LBB216_22:
	v_cmp_gt_i32_e32 vcc, s17, v0
	s_and_saveexec_b64 s[0:1], vcc
	s_cbranch_execz .LBB216_25
; %bb.23:
	s_load_dword s2, s[4:5], 0x34
	s_load_dwordx2 s[0:1], s[4:5], 0x20
	s_ashr_i32 s3, s6, 31
	s_load_dword s4, s[4:5], 0x44
	v_mov_b32_e32 v4, s13
	s_waitcnt lgkmcnt(0)
	v_mul_f32_e32 v2, s2, v2
	s_mul_i32 s1, s6, s1
	s_mul_hi_u32 s2, s6, s0
	s_add_i32 s1, s2, s1
	s_mul_i32 s3, s3, s0
	s_add_i32 s5, s1, s3
	s_mul_i32 s2, s6, s0
	s_and_b32 s3, s4, 0xffff
	s_mov_b64 s[0:1], 0
	v_mov_b32_e32 v3, s5
	v_mov_b32_e32 v5, s15
.LBB216_24:                             ; =>This Inner Loop Header: Depth=1
	v_ashrrev_i32_e32 v7, 31, v0
	v_add_co_u32_e32 v6, vcc, s2, v0
	v_addc_co_u32_e32 v7, vcc, v3, v7, vcc
	v_add_u32_e32 v0, s3, v0
	v_cmp_le_i32_e32 vcc, s17, v0
	v_lshlrev_b64 v[6:7], 2, v[6:7]
	s_or_b64 s[0:1], vcc, s[0:1]
	v_add_co_u32_e32 v8, vcc, s12, v6
	v_addc_co_u32_e32 v9, vcc, v4, v7, vcc
	v_add_co_u32_e32 v6, vcc, s14, v6
	v_addc_co_u32_e32 v7, vcc, v5, v7, vcc
	global_store_dword v[8:9], v2, off
	global_store_dword v[6:7], v1, off
	s_andn2_b64 exec, exec, s[0:1]
	s_cbranch_execnz .LBB216_24
.LBB216_25:
	s_endpgm
	.section	.rodata,"a",@progbits
	.p2align	6, 0x0
	.amdhsa_kernel _ZN5aiter20topk_softplus_kernelI12hip_bfloat16fDv2_fLb0ELi1EEEvPKT_PKT0_PfPimiiif
		.amdhsa_group_segment_fixed_size 0
		.amdhsa_private_segment_fixed_size 0
		.amdhsa_kernarg_size 312
		.amdhsa_user_sgpr_count 6
		.amdhsa_user_sgpr_private_segment_buffer 1
		.amdhsa_user_sgpr_dispatch_ptr 0
		.amdhsa_user_sgpr_queue_ptr 0
		.amdhsa_user_sgpr_kernarg_segment_ptr 1
		.amdhsa_user_sgpr_dispatch_id 0
		.amdhsa_user_sgpr_flat_scratch_init 0
		.amdhsa_user_sgpr_kernarg_preload_length 0
		.amdhsa_user_sgpr_kernarg_preload_offset 0
		.amdhsa_user_sgpr_private_segment_size 0
		.amdhsa_uses_dynamic_stack 0
		.amdhsa_system_sgpr_private_segment_wavefront_offset 0
		.amdhsa_system_sgpr_workgroup_id_x 1
		.amdhsa_system_sgpr_workgroup_id_y 0
		.amdhsa_system_sgpr_workgroup_id_z 0
		.amdhsa_system_sgpr_workgroup_info 0
		.amdhsa_system_vgpr_workitem_id 0
		.amdhsa_next_free_vgpr 15
		.amdhsa_next_free_sgpr 29
		.amdhsa_accum_offset 16
		.amdhsa_reserve_vcc 1
		.amdhsa_reserve_flat_scratch 0
		.amdhsa_float_round_mode_32 0
		.amdhsa_float_round_mode_16_64 0
		.amdhsa_float_denorm_mode_32 3
		.amdhsa_float_denorm_mode_16_64 3
		.amdhsa_dx10_clamp 1
		.amdhsa_ieee_mode 1
		.amdhsa_fp16_overflow 0
		.amdhsa_tg_split 0
		.amdhsa_exception_fp_ieee_invalid_op 0
		.amdhsa_exception_fp_denorm_src 0
		.amdhsa_exception_fp_ieee_div_zero 0
		.amdhsa_exception_fp_ieee_overflow 0
		.amdhsa_exception_fp_ieee_underflow 0
		.amdhsa_exception_fp_ieee_inexact 0
		.amdhsa_exception_int_div_zero 0
	.end_amdhsa_kernel
	.section	.text._ZN5aiter20topk_softplus_kernelI12hip_bfloat16fDv2_fLb0ELi1EEEvPKT_PKT0_PfPimiiif,"axG",@progbits,_ZN5aiter20topk_softplus_kernelI12hip_bfloat16fDv2_fLb0ELi1EEEvPKT_PKT0_PfPimiiif,comdat
.Lfunc_end216:
	.size	_ZN5aiter20topk_softplus_kernelI12hip_bfloat16fDv2_fLb0ELi1EEEvPKT_PKT0_PfPimiiif, .Lfunc_end216-_ZN5aiter20topk_softplus_kernelI12hip_bfloat16fDv2_fLb0ELi1EEEvPKT_PKT0_PfPimiiif
                                        ; -- End function
	.section	.AMDGPU.csdata,"",@progbits
; Kernel info:
; codeLenInByte = 1356
; NumSgprs: 33
; NumVgprs: 15
; NumAgprs: 0
; TotalNumVgprs: 15
; ScratchSize: 0
; MemoryBound: 0
; FloatMode: 240
; IeeeMode: 1
; LDSByteSize: 0 bytes/workgroup (compile time only)
; SGPRBlocks: 4
; VGPRBlocks: 1
; NumSGPRsForWavesPerEU: 33
; NumVGPRsForWavesPerEU: 15
; AccumOffset: 16
; Occupancy: 8
; WaveLimiterHint : 0
; COMPUTE_PGM_RSRC2:SCRATCH_EN: 0
; COMPUTE_PGM_RSRC2:USER_SGPR: 6
; COMPUTE_PGM_RSRC2:TRAP_HANDLER: 0
; COMPUTE_PGM_RSRC2:TGID_X_EN: 1
; COMPUTE_PGM_RSRC2:TGID_Y_EN: 0
; COMPUTE_PGM_RSRC2:TGID_Z_EN: 0
; COMPUTE_PGM_RSRC2:TIDIG_COMP_CNT: 0
; COMPUTE_PGM_RSRC3_GFX90A:ACCUM_OFFSET: 3
; COMPUTE_PGM_RSRC3_GFX90A:TG_SPLIT: 0
	.section	.text._ZN5aiter20topk_softplus_kernelI12hip_bfloat16fDv1_fLb1ELi1EEEvPKT_PKT0_PfPimiiif,"axG",@progbits,_ZN5aiter20topk_softplus_kernelI12hip_bfloat16fDv1_fLb1ELi1EEEvPKT_PKT0_PfPimiiif,comdat
	.protected	_ZN5aiter20topk_softplus_kernelI12hip_bfloat16fDv1_fLb1ELi1EEEvPKT_PKT0_PfPimiiif ; -- Begin function _ZN5aiter20topk_softplus_kernelI12hip_bfloat16fDv1_fLb1ELi1EEEvPKT_PKT0_PfPimiiif
	.globl	_ZN5aiter20topk_softplus_kernelI12hip_bfloat16fDv1_fLb1ELi1EEEvPKT_PKT0_PfPimiiif
	.p2align	8
	.type	_ZN5aiter20topk_softplus_kernelI12hip_bfloat16fDv1_fLb1ELi1EEEvPKT_PKT0_PfPimiiif,@function
_ZN5aiter20topk_softplus_kernelI12hip_bfloat16fDv1_fLb1ELi1EEEvPKT_PKT0_PfPimiiif: ; @_ZN5aiter20topk_softplus_kernelI12hip_bfloat16fDv1_fLb1ELi1EEEvPKT_PKT0_PfPimiiif
; %bb.0:
	s_load_dwordx2 s[16:17], s[4:5], 0x28
	s_load_dwordx8 s[8:15], s[4:5], 0x0
	v_lshl_add_u32 v1, v0, 2, 0
	s_waitcnt lgkmcnt(0)
	s_mul_i32 s2, s6, s16
	s_ashr_i32 s3, s2, 31
	s_lshl_b64 s[2:3], s[2:3], 1
	s_add_u32 s7, s8, s2
	v_cmp_gt_i32_e64 s[0:1], s16, v0
	s_addc_u32 s20, s9, s3
	s_and_saveexec_b64 s[8:9], s[0:1]
	s_cbranch_execz .LBB217_5
; %bb.1:
	s_load_dword s21, s[4:5], 0x44
	s_cmp_lg_u64 s[10:11], 0
	s_cselect_b64 s[2:3], -1, 0
	v_cndmask_b32_e64 v2, 0, 1, s[2:3]
	s_mov_b64 s[18:19], 0
	s_waitcnt lgkmcnt(0)
	s_and_b32 s21, s21, 0xffff
	v_lshl_add_u32 v4, v0, 2, 0
	s_lshl_b32 s22, s21, 2
	v_mov_b32_e32 v5, s20
	s_mov_b32 s23, 0xc2fc0000
	v_mov_b32_e32 v6, 0x42800000
	v_mov_b32_e32 v7, 0x1f800000
	v_cmp_ne_u32_e64 s[2:3], 1, v2
	v_mov_b32_e32 v2, v0
	s_branch .LBB217_3
.LBB217_2:                              ;   in Loop: Header=BB217_3 Depth=1
	v_add_u32_e32 v2, s21, v2
	v_cmp_le_i32_e32 vcc, s16, v2
	ds_write_b32 v4, v8
	s_or_b64 s[18:19], vcc, s[18:19]
	v_add_u32_e32 v4, s22, v4
	s_andn2_b64 exec, exec, s[18:19]
	s_cbranch_execz .LBB217_5
.LBB217_3:                              ; =>This Inner Loop Header: Depth=1
	v_ashrrev_i32_e32 v3, 31, v2
	v_lshlrev_b64 v[8:9], 1, v[2:3]
	v_add_co_u32_e32 v8, vcc, s7, v8
	v_addc_co_u32_e32 v9, vcc, v5, v9, vcc
	global_load_ushort v8, v[8:9], off
	s_waitcnt vmcnt(0)
	v_cvt_f32_u32_e32 v8, v8
	v_mul_f32_e32 v9, 0xbfb8aa3b, v8
	v_cmp_gt_f32_e32 vcc, s23, v9
	v_cndmask_b32_e32 v9, 0, v6, vcc
	v_fmac_f32_e32 v9, 0xbfb8aa3b, v8
	v_exp_f32_e32 v8, v9
	v_cndmask_b32_e32 v9, 1.0, v7, vcc
	s_and_b64 vcc, exec, s[2:3]
	v_fma_f32 v8, v8, v9, 1.0
	v_rcp_f32_e32 v8, v8
	s_cbranch_vccnz .LBB217_2
; %bb.4:                                ;   in Loop: Header=BB217_3 Depth=1
	v_lshlrev_b64 v[10:11], 2, v[2:3]
	v_mov_b32_e32 v3, s11
	v_add_co_u32_e32 v10, vcc, s10, v10
	v_addc_co_u32_e32 v11, vcc, v3, v11, vcc
	global_load_dword v3, v[10:11], off
	s_waitcnt vmcnt(0)
	v_add_f32_e32 v8, v8, v3
	s_branch .LBB217_2
.LBB217_5:
	s_or_b64 exec, exec, s[8:9]
	v_add_u32_e32 v2, s16, v0
	v_cmp_gt_i32_e32 vcc, s16, v2
	s_and_saveexec_b64 s[8:9], vcc
	s_cbranch_execz .LBB217_10
; %bb.6:
	s_load_dword s21, s[4:5], 0x44
	s_cmp_lg_u64 s[10:11], 0
	s_cselect_b64 s[2:3], -1, 0
	v_cndmask_b32_e64 v3, 0, 1, s[2:3]
	s_mov_b64 s[18:19], 0
	s_waitcnt lgkmcnt(0)
	s_and_b32 s21, s21, 0xffff
	v_lshl_add_u32 v4, v2, 2, 0
	s_lshl_b32 s22, s21, 2
	v_mov_b32_e32 v5, s20
	s_mov_b32 s20, 0xc2fc0000
	v_mov_b32_e32 v6, 0x42800000
	v_mov_b32_e32 v7, 0x1f800000
	v_cmp_ne_u32_e64 s[2:3], 1, v3
	s_branch .LBB217_8
.LBB217_7:                              ;   in Loop: Header=BB217_8 Depth=1
	v_add_u32_e32 v2, s21, v2
	v_cmp_le_i32_e32 vcc, s16, v2
	s_or_b64 s[18:19], vcc, s[18:19]
	v_add_u32_e32 v4, s22, v4
	s_andn2_b64 exec, exec, s[18:19]
	s_cbranch_execz .LBB217_10
.LBB217_8:                              ; =>This Inner Loop Header: Depth=1
	v_ashrrev_i32_e32 v3, 31, v2
	v_lshlrev_b64 v[8:9], 1, v[2:3]
	v_add_co_u32_e32 v8, vcc, s7, v8
	v_addc_co_u32_e32 v9, vcc, v5, v9, vcc
	global_load_ushort v8, v[8:9], off
	s_waitcnt vmcnt(0)
	v_lshlrev_b32_e32 v8, 16, v8
	v_mul_f32_e32 v9, 0xbfb8aa3b, v8
	v_cmp_gt_f32_e32 vcc, s20, v9
	v_cndmask_b32_e32 v9, 0, v6, vcc
	v_fmac_f32_e32 v9, 0xbfb8aa3b, v8
	v_exp_f32_e32 v8, v9
	v_cndmask_b32_e32 v9, 1.0, v7, vcc
	s_and_b64 vcc, exec, s[2:3]
	v_fma_f32 v8, v8, v9, 1.0
	v_rcp_f32_e32 v8, v8
	ds_write_b32 v4, v8
	s_cbranch_vccnz .LBB217_7
; %bb.9:                                ;   in Loop: Header=BB217_8 Depth=1
	v_lshlrev_b64 v[10:11], 2, v[2:3]
	v_mov_b32_e32 v3, s11
	v_add_co_u32_e32 v10, vcc, s10, v10
	v_addc_co_u32_e32 v11, vcc, v3, v11, vcc
	global_load_dword v3, v[10:11], off
	s_waitcnt vmcnt(0)
	v_add_f32_e32 v3, v8, v3
	ds_write_b32 v4, v3
	s_branch .LBB217_7
.LBB217_10:
	s_or_b64 exec, exec, s[8:9]
	s_cmp_lt_i32 s17, 1
	v_mov_b32_e32 v3, 0
	s_waitcnt lgkmcnt(0)
	s_barrier
	s_cbranch_scc1 .LBB217_19
; %bb.11:
	s_add_u32 s2, s4, 56
	s_addc_u32 s3, s5, 0
	v_mbcnt_lo_u32_b32 v2, -1, 0
	s_cmp_lg_u64 s[10:11], 0
	v_mbcnt_hi_u32_b32 v2, -1, v2
	v_bfrev_b32_e32 v4, 0.5
	s_cselect_b64 s[8:9], -1, 0
	s_mov_b32 s7, 0
	v_mov_b32_e32 v3, 0
	v_lshl_or_b32 v5, v2, 2, v4
	v_mov_b32_e32 v6, 0xff800000
	v_mov_b32_e32 v2, 0
	;; [unrolled: 1-line block ×3, first 2 shown]
	s_branch .LBB217_13
.LBB217_12:                             ;   in Loop: Header=BB217_13 Depth=1
	s_lshl_b32 s19, s18, 2
	s_add_i32 s19, s19, 0
	v_mov_b32_e32 v7, s19
	ds_write_b32 v7, v6
	v_mov_b32_e32 v7, s18
	v_cmp_eq_u32_e32 vcc, s7, v0
	s_add_i32 s7, s7, 1
	v_cndmask_b32_e32 v2, v2, v7, vcc
	v_cndmask_b32_e32 v3, v3, v9, vcc
	s_cmp_eq_u32 s7, s17
	v_add_f32_e32 v4, v4, v9
	s_cbranch_scc1 .LBB217_20
.LBB217_13:                             ; =>This Loop Header: Depth=1
                                        ;     Child Loop BB217_15 Depth 2
	v_mov_b32_e32 v7, s7
	v_mov_b32_e32 v8, 0xff800000
	s_and_saveexec_b64 s[18:19], s[0:1]
	s_cbranch_execz .LBB217_17
; %bb.14:                               ;   in Loop: Header=BB217_13 Depth=1
	s_load_dword s22, s[2:3], 0xc
	s_mov_b64 s[20:21], 0
	v_mov_b32_e32 v7, s7
	v_mov_b32_e32 v8, 0xff800000
	;; [unrolled: 1-line block ×3, first 2 shown]
	s_waitcnt lgkmcnt(0)
	s_and_b32 s22, s22, 0xffff
	s_lshl_b32 s23, s22, 2
	v_mov_b32_e32 v10, v0
.LBB217_15:                             ;   Parent Loop BB217_13 Depth=1
                                        ; =>  This Inner Loop Header: Depth=2
	ds_read_b32 v11, v9
	v_add_u32_e32 v9, s23, v9
	s_waitcnt lgkmcnt(0)
	v_cmp_gt_f32_e32 vcc, v11, v8
	v_cndmask_b32_e32 v7, v7, v10, vcc
	v_add_u32_e32 v10, s22, v10
	v_cndmask_b32_e32 v8, v8, v11, vcc
	v_cmp_le_i32_e32 vcc, s16, v10
	s_or_b64 s[20:21], vcc, s[20:21]
	s_andn2_b64 exec, exec, s[20:21]
	s_cbranch_execnz .LBB217_15
; %bb.16:                               ;   in Loop: Header=BB217_13 Depth=1
	s_or_b64 exec, exec, s[20:21]
.LBB217_17:                             ;   in Loop: Header=BB217_13 Depth=1
	s_or_b64 exec, exec, s[18:19]
	;;#ASMSTART
	v_max_f32 v9, v8, v8 quad_perm:[1,0,3,2] row_mask:0xf bank_mask:0xf bound_ctrl:1
	;;#ASMEND
	;;#ASMSTART
	v_max_f32 v10, v9, v9 quad_perm:[2,3,0,1] row_mask:0xf bank_mask:0xf bound_ctrl:1
	;;#ASMEND
	;;#ASMSTART
	v_max_f32 v9, v10, v10 row_half_mirror row_mask:0xf bank_mask:0xf bound_ctrl:1
	;;#ASMEND
	;;#ASMSTART
	v_max_f32 v10, v9, v9 row_mirror row_mask:0xf bank_mask:0xf bound_ctrl:1
	;;#ASMEND
	;;#ASMSTART
	v_max_f32 v9, v10, v10 row_ror:4 row_mask:0xf bank_mask:0xf bound_ctrl:1
	;;#ASMEND
	;;#ASMSTART
	v_max_f32 v10, v9, v9 row_ror:8 row_mask:0xf bank_mask:0xf bound_ctrl:1
	;;#ASMEND
	;;#ASMSTART
	v_max_f32 v9, v10, v10 row_bcast:15 row_mask:0xf bank_mask:0xf bound_ctrl:1
	;;#ASMEND
	;;#ASMSTART
	v_max_f32 v10, v9, v9 row_bcast:31 row_mask:0xf bank_mask:0xf bound_ctrl:1
	;;#ASMEND
	ds_bpermute_b32 v9, v5, v10
	s_waitcnt lgkmcnt(0)
	v_cmp_eq_f32_e32 vcc, v8, v9
	s_ff1_i32_b64 s18, vcc
	s_cmp_lg_u64 vcc, 0
	s_cselect_b32 s18, s18, 0
	s_and_b64 vcc, exec, s[8:9]
	v_readlane_b32 s18, v7, s18
	s_cbranch_vccz .LBB217_12
; %bb.18:                               ;   in Loop: Header=BB217_13 Depth=1
	s_ashr_i32 s19, s18, 31
	s_lshl_b64 s[20:21], s[18:19], 2
	s_add_u32 s20, s10, s20
	s_addc_u32 s21, s11, s21
	s_load_dword s19, s[20:21], 0x0
	s_waitcnt lgkmcnt(0)
	v_subrev_f32_e32 v9, s19, v9
	s_branch .LBB217_12
.LBB217_19:
	v_mov_b32_e32 v2, 0
	v_mov_b32_e32 v4, 0
.LBB217_20:
	v_cmp_gt_i32_e32 vcc, s17, v0
	s_and_saveexec_b64 s[0:1], vcc
	s_cbranch_execz .LBB217_23
; %bb.21:
	s_load_dword s2, s[4:5], 0x34
	v_max_f32_e32 v1, v4, v4
	v_max_f32_e32 v1, 0x1e3ce508, v1
	s_load_dword s3, s[4:5], 0x44
	s_waitcnt lgkmcnt(0)
	v_div_scale_f32 v4, s[0:1], v1, v1, s2
	s_load_dwordx2 s[0:1], s[4:5], 0x20
	v_rcp_f32_e32 v5, v4
	v_div_scale_f32 v6, vcc, s2, v1, s2
	s_and_b32 s3, s3, 0xffff
	v_fma_f32 v7, -v4, v5, 1.0
	v_fmac_f32_e32 v5, v7, v5
	v_mul_f32_e32 v7, v6, v5
	v_fma_f32 v8, -v4, v7, v6
	v_fmac_f32_e32 v7, v8, v5
	v_fma_f32 v4, -v4, v7, v6
	v_div_fmas_f32 v4, v4, v5, v7
	v_div_fixup_f32 v1, v4, v1, s2
	s_ashr_i32 s2, s6, 31
	s_waitcnt lgkmcnt(0)
	s_mul_i32 s1, s6, s1
	s_mul_hi_u32 s4, s6, s0
	s_add_i32 s1, s4, s1
	s_mul_i32 s2, s2, s0
	s_add_i32 s4, s1, s2
	v_mul_f32_e32 v1, v3, v1
	s_mul_i32 s2, s6, s0
	s_mov_b64 s[0:1], 0
	v_mov_b32_e32 v3, s4
	v_mov_b32_e32 v4, s13
	v_mov_b32_e32 v5, s15
.LBB217_22:                             ; =>This Inner Loop Header: Depth=1
	v_ashrrev_i32_e32 v7, 31, v0
	v_add_co_u32_e32 v6, vcc, s2, v0
	v_addc_co_u32_e32 v7, vcc, v3, v7, vcc
	v_add_u32_e32 v0, s3, v0
	v_cmp_le_i32_e32 vcc, s17, v0
	v_lshlrev_b64 v[6:7], 2, v[6:7]
	s_or_b64 s[0:1], vcc, s[0:1]
	v_add_co_u32_e32 v8, vcc, s12, v6
	v_addc_co_u32_e32 v9, vcc, v4, v7, vcc
	v_add_co_u32_e32 v6, vcc, s14, v6
	v_addc_co_u32_e32 v7, vcc, v5, v7, vcc
	global_store_dword v[8:9], v1, off
	global_store_dword v[6:7], v2, off
	s_andn2_b64 exec, exec, s[0:1]
	s_cbranch_execnz .LBB217_22
.LBB217_23:
	s_endpgm
	.section	.rodata,"a",@progbits
	.p2align	6, 0x0
	.amdhsa_kernel _ZN5aiter20topk_softplus_kernelI12hip_bfloat16fDv1_fLb1ELi1EEEvPKT_PKT0_PfPimiiif
		.amdhsa_group_segment_fixed_size 0
		.amdhsa_private_segment_fixed_size 0
		.amdhsa_kernarg_size 312
		.amdhsa_user_sgpr_count 6
		.amdhsa_user_sgpr_private_segment_buffer 1
		.amdhsa_user_sgpr_dispatch_ptr 0
		.amdhsa_user_sgpr_queue_ptr 0
		.amdhsa_user_sgpr_kernarg_segment_ptr 1
		.amdhsa_user_sgpr_dispatch_id 0
		.amdhsa_user_sgpr_flat_scratch_init 0
		.amdhsa_user_sgpr_kernarg_preload_length 0
		.amdhsa_user_sgpr_kernarg_preload_offset 0
		.amdhsa_user_sgpr_private_segment_size 0
		.amdhsa_uses_dynamic_stack 0
		.amdhsa_system_sgpr_private_segment_wavefront_offset 0
		.amdhsa_system_sgpr_workgroup_id_x 1
		.amdhsa_system_sgpr_workgroup_id_y 0
		.amdhsa_system_sgpr_workgroup_id_z 0
		.amdhsa_system_sgpr_workgroup_info 0
		.amdhsa_system_vgpr_workitem_id 0
		.amdhsa_next_free_vgpr 12
		.amdhsa_next_free_sgpr 24
		.amdhsa_accum_offset 12
		.amdhsa_reserve_vcc 1
		.amdhsa_reserve_flat_scratch 0
		.amdhsa_float_round_mode_32 0
		.amdhsa_float_round_mode_16_64 0
		.amdhsa_float_denorm_mode_32 3
		.amdhsa_float_denorm_mode_16_64 3
		.amdhsa_dx10_clamp 1
		.amdhsa_ieee_mode 1
		.amdhsa_fp16_overflow 0
		.amdhsa_tg_split 0
		.amdhsa_exception_fp_ieee_invalid_op 0
		.amdhsa_exception_fp_denorm_src 0
		.amdhsa_exception_fp_ieee_div_zero 0
		.amdhsa_exception_fp_ieee_overflow 0
		.amdhsa_exception_fp_ieee_underflow 0
		.amdhsa_exception_fp_ieee_inexact 0
		.amdhsa_exception_int_div_zero 0
	.end_amdhsa_kernel
	.section	.text._ZN5aiter20topk_softplus_kernelI12hip_bfloat16fDv1_fLb1ELi1EEEvPKT_PKT0_PfPimiiif,"axG",@progbits,_ZN5aiter20topk_softplus_kernelI12hip_bfloat16fDv1_fLb1ELi1EEEvPKT_PKT0_PfPimiiif,comdat
.Lfunc_end217:
	.size	_ZN5aiter20topk_softplus_kernelI12hip_bfloat16fDv1_fLb1ELi1EEEvPKT_PKT0_PfPimiiif, .Lfunc_end217-_ZN5aiter20topk_softplus_kernelI12hip_bfloat16fDv1_fLb1ELi1EEEvPKT_PKT0_PfPimiiif
                                        ; -- End function
	.section	.AMDGPU.csdata,"",@progbits
; Kernel info:
; codeLenInByte = 1284
; NumSgprs: 28
; NumVgprs: 12
; NumAgprs: 0
; TotalNumVgprs: 12
; ScratchSize: 0
; MemoryBound: 0
; FloatMode: 240
; IeeeMode: 1
; LDSByteSize: 0 bytes/workgroup (compile time only)
; SGPRBlocks: 3
; VGPRBlocks: 1
; NumSGPRsForWavesPerEU: 28
; NumVGPRsForWavesPerEU: 12
; AccumOffset: 12
; Occupancy: 8
; WaveLimiterHint : 0
; COMPUTE_PGM_RSRC2:SCRATCH_EN: 0
; COMPUTE_PGM_RSRC2:USER_SGPR: 6
; COMPUTE_PGM_RSRC2:TRAP_HANDLER: 0
; COMPUTE_PGM_RSRC2:TGID_X_EN: 1
; COMPUTE_PGM_RSRC2:TGID_Y_EN: 0
; COMPUTE_PGM_RSRC2:TGID_Z_EN: 0
; COMPUTE_PGM_RSRC2:TIDIG_COMP_CNT: 0
; COMPUTE_PGM_RSRC3_GFX90A:ACCUM_OFFSET: 2
; COMPUTE_PGM_RSRC3_GFX90A:TG_SPLIT: 0
	.section	.text._ZN5aiter20topk_softplus_kernelI12hip_bfloat16fDv1_fLb0ELi1EEEvPKT_PKT0_PfPimiiif,"axG",@progbits,_ZN5aiter20topk_softplus_kernelI12hip_bfloat16fDv1_fLb0ELi1EEEvPKT_PKT0_PfPimiiif,comdat
	.protected	_ZN5aiter20topk_softplus_kernelI12hip_bfloat16fDv1_fLb0ELi1EEEvPKT_PKT0_PfPimiiif ; -- Begin function _ZN5aiter20topk_softplus_kernelI12hip_bfloat16fDv1_fLb0ELi1EEEvPKT_PKT0_PfPimiiif
	.globl	_ZN5aiter20topk_softplus_kernelI12hip_bfloat16fDv1_fLb0ELi1EEEvPKT_PKT0_PfPimiiif
	.p2align	8
	.type	_ZN5aiter20topk_softplus_kernelI12hip_bfloat16fDv1_fLb0ELi1EEEvPKT_PKT0_PfPimiiif,@function
_ZN5aiter20topk_softplus_kernelI12hip_bfloat16fDv1_fLb0ELi1EEEvPKT_PKT0_PfPimiiif: ; @_ZN5aiter20topk_softplus_kernelI12hip_bfloat16fDv1_fLb0ELi1EEEvPKT_PKT0_PfPimiiif
; %bb.0:
	s_load_dwordx2 s[16:17], s[4:5], 0x28
	s_load_dwordx8 s[8:15], s[4:5], 0x0
	v_lshl_add_u32 v1, v0, 2, 0
	s_waitcnt lgkmcnt(0)
	s_mul_i32 s2, s6, s16
	s_ashr_i32 s3, s2, 31
	s_lshl_b64 s[2:3], s[2:3], 1
	s_add_u32 s7, s8, s2
	v_cmp_gt_i32_e64 s[0:1], s16, v0
	s_addc_u32 s20, s9, s3
	s_and_saveexec_b64 s[8:9], s[0:1]
	s_cbranch_execz .LBB218_5
; %bb.1:
	s_load_dword s21, s[4:5], 0x44
	s_cmp_lg_u64 s[10:11], 0
	s_cselect_b64 s[2:3], -1, 0
	v_cndmask_b32_e64 v2, 0, 1, s[2:3]
	s_mov_b64 s[18:19], 0
	s_waitcnt lgkmcnt(0)
	s_and_b32 s21, s21, 0xffff
	v_lshl_add_u32 v4, v0, 2, 0
	s_lshl_b32 s22, s21, 2
	v_mov_b32_e32 v5, s20
	s_mov_b32 s23, 0xc2fc0000
	v_mov_b32_e32 v6, 0x42800000
	v_mov_b32_e32 v7, 0x1f800000
	v_cmp_ne_u32_e64 s[2:3], 1, v2
	v_mov_b32_e32 v2, v0
	s_branch .LBB218_3
.LBB218_2:                              ;   in Loop: Header=BB218_3 Depth=1
	v_add_u32_e32 v2, s21, v2
	v_cmp_le_i32_e32 vcc, s16, v2
	ds_write_b32 v4, v8
	s_or_b64 s[18:19], vcc, s[18:19]
	v_add_u32_e32 v4, s22, v4
	s_andn2_b64 exec, exec, s[18:19]
	s_cbranch_execz .LBB218_5
.LBB218_3:                              ; =>This Inner Loop Header: Depth=1
	v_ashrrev_i32_e32 v3, 31, v2
	v_lshlrev_b64 v[8:9], 1, v[2:3]
	v_add_co_u32_e32 v8, vcc, s7, v8
	v_addc_co_u32_e32 v9, vcc, v5, v9, vcc
	global_load_ushort v8, v[8:9], off
	s_waitcnt vmcnt(0)
	v_cvt_f32_u32_e32 v8, v8
	v_mul_f32_e32 v9, 0xbfb8aa3b, v8
	v_cmp_gt_f32_e32 vcc, s23, v9
	v_cndmask_b32_e32 v9, 0, v6, vcc
	v_fmac_f32_e32 v9, 0xbfb8aa3b, v8
	v_exp_f32_e32 v8, v9
	v_cndmask_b32_e32 v9, 1.0, v7, vcc
	s_and_b64 vcc, exec, s[2:3]
	v_fma_f32 v8, v8, v9, 1.0
	v_rcp_f32_e32 v8, v8
	s_cbranch_vccnz .LBB218_2
; %bb.4:                                ;   in Loop: Header=BB218_3 Depth=1
	v_lshlrev_b64 v[10:11], 2, v[2:3]
	v_mov_b32_e32 v3, s11
	v_add_co_u32_e32 v10, vcc, s10, v10
	v_addc_co_u32_e32 v11, vcc, v3, v11, vcc
	global_load_dword v3, v[10:11], off
	s_waitcnt vmcnt(0)
	v_add_f32_e32 v8, v8, v3
	s_branch .LBB218_2
.LBB218_5:
	s_or_b64 exec, exec, s[8:9]
	v_add_u32_e32 v2, s16, v0
	v_cmp_gt_i32_e32 vcc, s16, v2
	s_and_saveexec_b64 s[8:9], vcc
	s_cbranch_execz .LBB218_10
; %bb.6:
	s_load_dword s21, s[4:5], 0x44
	s_cmp_lg_u64 s[10:11], 0
	s_cselect_b64 s[2:3], -1, 0
	v_cndmask_b32_e64 v3, 0, 1, s[2:3]
	s_mov_b64 s[18:19], 0
	s_waitcnt lgkmcnt(0)
	s_and_b32 s21, s21, 0xffff
	v_lshl_add_u32 v4, v2, 2, 0
	s_lshl_b32 s22, s21, 2
	v_mov_b32_e32 v5, s20
	s_mov_b32 s20, 0xc2fc0000
	v_mov_b32_e32 v6, 0x42800000
	v_mov_b32_e32 v7, 0x1f800000
	v_cmp_ne_u32_e64 s[2:3], 1, v3
	s_branch .LBB218_8
.LBB218_7:                              ;   in Loop: Header=BB218_8 Depth=1
	v_add_u32_e32 v2, s21, v2
	v_cmp_le_i32_e32 vcc, s16, v2
	s_or_b64 s[18:19], vcc, s[18:19]
	v_add_u32_e32 v4, s22, v4
	s_andn2_b64 exec, exec, s[18:19]
	s_cbranch_execz .LBB218_10
.LBB218_8:                              ; =>This Inner Loop Header: Depth=1
	v_ashrrev_i32_e32 v3, 31, v2
	v_lshlrev_b64 v[8:9], 1, v[2:3]
	v_add_co_u32_e32 v8, vcc, s7, v8
	v_addc_co_u32_e32 v9, vcc, v5, v9, vcc
	global_load_ushort v8, v[8:9], off
	s_waitcnt vmcnt(0)
	v_lshlrev_b32_e32 v8, 16, v8
	v_mul_f32_e32 v9, 0xbfb8aa3b, v8
	v_cmp_gt_f32_e32 vcc, s20, v9
	v_cndmask_b32_e32 v9, 0, v6, vcc
	v_fmac_f32_e32 v9, 0xbfb8aa3b, v8
	v_exp_f32_e32 v8, v9
	v_cndmask_b32_e32 v9, 1.0, v7, vcc
	s_and_b64 vcc, exec, s[2:3]
	v_fma_f32 v8, v8, v9, 1.0
	v_rcp_f32_e32 v8, v8
	ds_write_b32 v4, v8
	s_cbranch_vccnz .LBB218_7
; %bb.9:                                ;   in Loop: Header=BB218_8 Depth=1
	v_lshlrev_b64 v[10:11], 2, v[2:3]
	v_mov_b32_e32 v3, s11
	v_add_co_u32_e32 v10, vcc, s10, v10
	v_addc_co_u32_e32 v11, vcc, v3, v11, vcc
	global_load_dword v3, v[10:11], off
	s_waitcnt vmcnt(0)
	v_add_f32_e32 v3, v8, v3
	ds_write_b32 v4, v3
	s_branch .LBB218_7
.LBB218_10:
	s_or_b64 exec, exec, s[8:9]
	s_cmp_lt_i32 s17, 1
	s_waitcnt lgkmcnt(0)
	s_barrier
	s_cbranch_scc1 .LBB218_19
; %bb.11:
	s_add_u32 s2, s4, 56
	s_addc_u32 s3, s5, 0
	v_mbcnt_lo_u32_b32 v4, -1, 0
	s_cmp_lg_u64 s[10:11], 0
	v_mbcnt_hi_u32_b32 v4, -1, v4
	v_bfrev_b32_e32 v5, 0.5
	s_cselect_b64 s[8:9], -1, 0
	s_mov_b32 s7, 0
	v_mov_b32_e32 v2, 0
	v_mov_b32_e32 v3, 0
	v_lshl_or_b32 v4, v4, 2, v5
	v_mov_b32_e32 v5, 0xff800000
	s_branch .LBB218_13
.LBB218_12:                             ;   in Loop: Header=BB218_13 Depth=1
	s_lshl_b32 s19, s18, 2
	s_add_i32 s19, s19, 0
	v_mov_b32_e32 v6, s19
	ds_write_b32 v6, v5
	v_mov_b32_e32 v6, s18
	v_cmp_eq_u32_e32 vcc, s7, v0
	s_add_i32 s7, s7, 1
	v_cndmask_b32_e32 v2, v2, v6, vcc
	s_cmp_eq_u32 s7, s17
	v_cndmask_b32_e32 v3, v3, v8, vcc
	s_cbranch_scc1 .LBB218_20
.LBB218_13:                             ; =>This Loop Header: Depth=1
                                        ;     Child Loop BB218_15 Depth 2
	v_mov_b32_e32 v6, s7
	v_mov_b32_e32 v7, 0xff800000
	s_and_saveexec_b64 s[18:19], s[0:1]
	s_cbranch_execz .LBB218_17
; %bb.14:                               ;   in Loop: Header=BB218_13 Depth=1
	s_load_dword s22, s[2:3], 0xc
	s_mov_b64 s[20:21], 0
	v_mov_b32_e32 v6, s7
	v_mov_b32_e32 v7, 0xff800000
	;; [unrolled: 1-line block ×3, first 2 shown]
	s_waitcnt lgkmcnt(0)
	s_and_b32 s22, s22, 0xffff
	s_lshl_b32 s23, s22, 2
	v_mov_b32_e32 v9, v0
.LBB218_15:                             ;   Parent Loop BB218_13 Depth=1
                                        ; =>  This Inner Loop Header: Depth=2
	ds_read_b32 v10, v8
	v_add_u32_e32 v8, s23, v8
	s_waitcnt lgkmcnt(0)
	v_cmp_gt_f32_e32 vcc, v10, v7
	v_cndmask_b32_e32 v6, v6, v9, vcc
	v_add_u32_e32 v9, s22, v9
	v_cndmask_b32_e32 v7, v7, v10, vcc
	v_cmp_le_i32_e32 vcc, s16, v9
	s_or_b64 s[20:21], vcc, s[20:21]
	s_andn2_b64 exec, exec, s[20:21]
	s_cbranch_execnz .LBB218_15
; %bb.16:                               ;   in Loop: Header=BB218_13 Depth=1
	s_or_b64 exec, exec, s[20:21]
.LBB218_17:                             ;   in Loop: Header=BB218_13 Depth=1
	s_or_b64 exec, exec, s[18:19]
	;;#ASMSTART
	v_max_f32 v8, v7, v7 quad_perm:[1,0,3,2] row_mask:0xf bank_mask:0xf bound_ctrl:1
	;;#ASMEND
	;;#ASMSTART
	v_max_f32 v9, v8, v8 quad_perm:[2,3,0,1] row_mask:0xf bank_mask:0xf bound_ctrl:1
	;;#ASMEND
	;;#ASMSTART
	v_max_f32 v8, v9, v9 row_half_mirror row_mask:0xf bank_mask:0xf bound_ctrl:1
	;;#ASMEND
	;;#ASMSTART
	v_max_f32 v9, v8, v8 row_mirror row_mask:0xf bank_mask:0xf bound_ctrl:1
	;;#ASMEND
	;;#ASMSTART
	v_max_f32 v8, v9, v9 row_ror:4 row_mask:0xf bank_mask:0xf bound_ctrl:1
	;;#ASMEND
	;;#ASMSTART
	v_max_f32 v9, v8, v8 row_ror:8 row_mask:0xf bank_mask:0xf bound_ctrl:1
	;;#ASMEND
	;;#ASMSTART
	v_max_f32 v8, v9, v9 row_bcast:15 row_mask:0xf bank_mask:0xf bound_ctrl:1
	;;#ASMEND
	;;#ASMSTART
	v_max_f32 v9, v8, v8 row_bcast:31 row_mask:0xf bank_mask:0xf bound_ctrl:1
	;;#ASMEND
	ds_bpermute_b32 v8, v4, v9
	s_waitcnt lgkmcnt(0)
	v_cmp_eq_f32_e32 vcc, v7, v8
	s_ff1_i32_b64 s18, vcc
	s_cmp_lg_u64 vcc, 0
	s_cselect_b32 s18, s18, 0
	s_and_b64 vcc, exec, s[8:9]
	v_readlane_b32 s18, v6, s18
	s_cbranch_vccz .LBB218_12
; %bb.18:                               ;   in Loop: Header=BB218_13 Depth=1
	s_ashr_i32 s19, s18, 31
	s_lshl_b64 s[20:21], s[18:19], 2
	s_add_u32 s20, s10, s20
	s_addc_u32 s21, s11, s21
	s_load_dword s19, s[20:21], 0x0
	s_waitcnt lgkmcnt(0)
	v_subrev_f32_e32 v8, s19, v8
	s_branch .LBB218_12
.LBB218_19:
	v_mov_b32_e32 v3, 0
	v_mov_b32_e32 v2, 0
.LBB218_20:
	v_cmp_gt_i32_e32 vcc, s17, v0
	s_and_saveexec_b64 s[0:1], vcc
	s_cbranch_execz .LBB218_23
; %bb.21:
	s_load_dword s2, s[4:5], 0x34
	s_load_dwordx2 s[0:1], s[4:5], 0x20
	s_ashr_i32 s3, s6, 31
	s_load_dword s4, s[4:5], 0x44
	v_mov_b32_e32 v4, s13
	s_waitcnt lgkmcnt(0)
	v_mul_f32_e32 v1, s2, v3
	s_mul_i32 s1, s6, s1
	s_mul_hi_u32 s2, s6, s0
	s_add_i32 s1, s2, s1
	s_mul_i32 s3, s3, s0
	s_add_i32 s5, s1, s3
	s_mul_i32 s2, s6, s0
	s_and_b32 s3, s4, 0xffff
	s_mov_b64 s[0:1], 0
	v_mov_b32_e32 v3, s5
	v_mov_b32_e32 v5, s15
.LBB218_22:                             ; =>This Inner Loop Header: Depth=1
	v_ashrrev_i32_e32 v7, 31, v0
	v_add_co_u32_e32 v6, vcc, s2, v0
	v_addc_co_u32_e32 v7, vcc, v3, v7, vcc
	v_add_u32_e32 v0, s3, v0
	v_cmp_le_i32_e32 vcc, s17, v0
	v_lshlrev_b64 v[6:7], 2, v[6:7]
	s_or_b64 s[0:1], vcc, s[0:1]
	v_add_co_u32_e32 v8, vcc, s12, v6
	v_addc_co_u32_e32 v9, vcc, v4, v7, vcc
	v_add_co_u32_e32 v6, vcc, s14, v6
	v_addc_co_u32_e32 v7, vcc, v5, v7, vcc
	global_store_dword v[8:9], v1, off
	global_store_dword v[6:7], v2, off
	s_andn2_b64 exec, exec, s[0:1]
	s_cbranch_execnz .LBB218_22
.LBB218_23:
	s_endpgm
	.section	.rodata,"a",@progbits
	.p2align	6, 0x0
	.amdhsa_kernel _ZN5aiter20topk_softplus_kernelI12hip_bfloat16fDv1_fLb0ELi1EEEvPKT_PKT0_PfPimiiif
		.amdhsa_group_segment_fixed_size 0
		.amdhsa_private_segment_fixed_size 0
		.amdhsa_kernarg_size 312
		.amdhsa_user_sgpr_count 6
		.amdhsa_user_sgpr_private_segment_buffer 1
		.amdhsa_user_sgpr_dispatch_ptr 0
		.amdhsa_user_sgpr_queue_ptr 0
		.amdhsa_user_sgpr_kernarg_segment_ptr 1
		.amdhsa_user_sgpr_dispatch_id 0
		.amdhsa_user_sgpr_flat_scratch_init 0
		.amdhsa_user_sgpr_kernarg_preload_length 0
		.amdhsa_user_sgpr_kernarg_preload_offset 0
		.amdhsa_user_sgpr_private_segment_size 0
		.amdhsa_uses_dynamic_stack 0
		.amdhsa_system_sgpr_private_segment_wavefront_offset 0
		.amdhsa_system_sgpr_workgroup_id_x 1
		.amdhsa_system_sgpr_workgroup_id_y 0
		.amdhsa_system_sgpr_workgroup_id_z 0
		.amdhsa_system_sgpr_workgroup_info 0
		.amdhsa_system_vgpr_workitem_id 0
		.amdhsa_next_free_vgpr 12
		.amdhsa_next_free_sgpr 24
		.amdhsa_accum_offset 12
		.amdhsa_reserve_vcc 1
		.amdhsa_reserve_flat_scratch 0
		.amdhsa_float_round_mode_32 0
		.amdhsa_float_round_mode_16_64 0
		.amdhsa_float_denorm_mode_32 3
		.amdhsa_float_denorm_mode_16_64 3
		.amdhsa_dx10_clamp 1
		.amdhsa_ieee_mode 1
		.amdhsa_fp16_overflow 0
		.amdhsa_tg_split 0
		.amdhsa_exception_fp_ieee_invalid_op 0
		.amdhsa_exception_fp_denorm_src 0
		.amdhsa_exception_fp_ieee_div_zero 0
		.amdhsa_exception_fp_ieee_overflow 0
		.amdhsa_exception_fp_ieee_underflow 0
		.amdhsa_exception_fp_ieee_inexact 0
		.amdhsa_exception_int_div_zero 0
	.end_amdhsa_kernel
	.section	.text._ZN5aiter20topk_softplus_kernelI12hip_bfloat16fDv1_fLb0ELi1EEEvPKT_PKT0_PfPimiiif,"axG",@progbits,_ZN5aiter20topk_softplus_kernelI12hip_bfloat16fDv1_fLb0ELi1EEEvPKT_PKT0_PfPimiiif,comdat
.Lfunc_end218:
	.size	_ZN5aiter20topk_softplus_kernelI12hip_bfloat16fDv1_fLb0ELi1EEEvPKT_PKT0_PfPimiiif, .Lfunc_end218-_ZN5aiter20topk_softplus_kernelI12hip_bfloat16fDv1_fLb0ELi1EEEvPKT_PKT0_PfPimiiif
                                        ; -- End function
	.section	.AMDGPU.csdata,"",@progbits
; Kernel info:
; codeLenInByte = 1184
; NumSgprs: 28
; NumVgprs: 12
; NumAgprs: 0
; TotalNumVgprs: 12
; ScratchSize: 0
; MemoryBound: 0
; FloatMode: 240
; IeeeMode: 1
; LDSByteSize: 0 bytes/workgroup (compile time only)
; SGPRBlocks: 3
; VGPRBlocks: 1
; NumSGPRsForWavesPerEU: 28
; NumVGPRsForWavesPerEU: 12
; AccumOffset: 12
; Occupancy: 8
; WaveLimiterHint : 0
; COMPUTE_PGM_RSRC2:SCRATCH_EN: 0
; COMPUTE_PGM_RSRC2:USER_SGPR: 6
; COMPUTE_PGM_RSRC2:TRAP_HANDLER: 0
; COMPUTE_PGM_RSRC2:TGID_X_EN: 1
; COMPUTE_PGM_RSRC2:TGID_Y_EN: 0
; COMPUTE_PGM_RSRC2:TGID_Z_EN: 0
; COMPUTE_PGM_RSRC2:TIDIG_COMP_CNT: 0
; COMPUTE_PGM_RSRC3_GFX90A:ACCUM_OFFSET: 2
; COMPUTE_PGM_RSRC3_GFX90A:TG_SPLIT: 0
	.section	.text._ZN5aiter20topk_softplus_kernelI12hip_bfloat16fDv4_fLb1ELi2EEEvPKT_PKT0_PfPimiiif,"axG",@progbits,_ZN5aiter20topk_softplus_kernelI12hip_bfloat16fDv4_fLb1ELi2EEEvPKT_PKT0_PfPimiiif,comdat
	.protected	_ZN5aiter20topk_softplus_kernelI12hip_bfloat16fDv4_fLb1ELi2EEEvPKT_PKT0_PfPimiiif ; -- Begin function _ZN5aiter20topk_softplus_kernelI12hip_bfloat16fDv4_fLb1ELi2EEEvPKT_PKT0_PfPimiiif
	.globl	_ZN5aiter20topk_softplus_kernelI12hip_bfloat16fDv4_fLb1ELi2EEEvPKT_PKT0_PfPimiiif
	.p2align	8
	.type	_ZN5aiter20topk_softplus_kernelI12hip_bfloat16fDv4_fLb1ELi2EEEvPKT_PKT0_PfPimiiif,@function
_ZN5aiter20topk_softplus_kernelI12hip_bfloat16fDv4_fLb1ELi2EEEvPKT_PKT0_PfPimiiif: ; @_ZN5aiter20topk_softplus_kernelI12hip_bfloat16fDv4_fLb1ELi2EEEvPKT_PKT0_PfPimiiif
; %bb.0:
	s_load_dwordx2 s[16:17], s[4:5], 0x28
	s_load_dwordx8 s[8:15], s[4:5], 0x0
	v_lshl_add_u32 v1, v0, 4, 0
	s_waitcnt lgkmcnt(0)
	s_ashr_i32 s0, s16, 31
	s_lshr_b32 s0, s0, 30
	s_add_i32 s0, s16, s0
	s_mul_i32 s2, s6, s16
	s_ashr_i32 s7, s0, 2
	s_ashr_i32 s3, s2, 31
	v_cmp_gt_i32_e64 s[0:1], s7, v0
	s_and_saveexec_b64 s[18:19], s[0:1]
	s_cbranch_execz .LBB219_3
; %bb.1:
	s_load_dword s22, s[4:5], 0x44
	s_lshl_b64 s[20:21], s[2:3], 1
	v_lshlrev_b32_e32 v2, 3, v0
	s_mov_b32 s25, 0
	v_lshl_add_u32 v4, v0, 4, 0
	s_waitcnt lgkmcnt(0)
	s_and_b32 s22, s22, 0xffff
	s_add_u32 s20, s8, s20
	s_addc_u32 s21, s9, s21
	v_mov_b32_e32 v3, s21
	v_add_co_u32_e32 v2, vcc, s20, v2
	v_addc_co_u32_e32 v3, vcc, 0, v3, vcc
	s_lshl_b32 s23, s22, 3
	s_lshl_b32 s24, s22, 4
	s_mov_b64 s[20:21], 0
	v_mov_b32_e32 v5, s25
	v_mov_b32_e32 v6, v0
.LBB219_2:                              ; =>This Inner Loop Header: Depth=1
	global_load_dwordx2 v[12:13], v[2:3], off
	v_add_co_u32_e32 v2, vcc, s23, v2
	v_add_u32_e32 v6, s22, v6
	v_addc_co_u32_e32 v3, vcc, v3, v5, vcc
	v_cmp_le_i32_e32 vcc, s7, v6
	s_or_b64 s[20:21], vcc, s[20:21]
	s_waitcnt vmcnt(0)
	v_cvt_f32_u32_sdwa v9, v12 dst_sel:DWORD dst_unused:UNUSED_PAD src0_sel:WORD_1
	v_cvt_f32_u32_sdwa v8, v12 dst_sel:DWORD dst_unused:UNUSED_PAD src0_sel:WORD_0
	v_cvt_f32_u32_sdwa v11, v13 dst_sel:DWORD dst_unused:UNUSED_PAD src0_sel:WORD_1
	v_cvt_f32_u32_sdwa v10, v13 dst_sel:DWORD dst_unused:UNUSED_PAD src0_sel:WORD_0
	ds_write_b128 v4, v[8:11]
	v_add_u32_e32 v4, s24, v4
	s_andn2_b64 exec, exec, s[20:21]
	s_cbranch_execnz .LBB219_2
.LBB219_3:
	s_or_b64 exec, exec, s[18:19]
	v_lshl_add_u32 v2, s7, 2, v0
	v_cmp_gt_i32_e32 vcc, s16, v2
	s_and_saveexec_b64 s[18:19], vcc
	s_cbranch_execz .LBB219_6
; %bb.4:
	s_load_dword s20, s[4:5], 0x44
	s_lshl_b64 s[2:3], s[2:3], 1
	s_add_u32 s8, s8, s2
	s_addc_u32 s21, s9, s3
	s_lshl_b32 s2, s7, 4
	s_waitcnt lgkmcnt(0)
	s_and_b32 s9, s20, 0xffff
	s_add_i32 s2, s2, 0
	v_lshl_add_u32 v4, v0, 2, s2
	s_lshl_b32 s20, s9, 2
	s_mov_b64 s[2:3], 0
	v_mov_b32_e32 v5, s21
.LBB219_5:                              ; =>This Inner Loop Header: Depth=1
	v_ashrrev_i32_e32 v3, 31, v2
	v_lshlrev_b64 v[6:7], 1, v[2:3]
	v_add_co_u32_e32 v6, vcc, s8, v6
	v_addc_co_u32_e32 v7, vcc, v5, v7, vcc
	global_load_ushort v3, v[6:7], off
	v_add_u32_e32 v2, s9, v2
	v_cmp_le_i32_e32 vcc, s16, v2
	s_or_b64 s[2:3], vcc, s[2:3]
	s_waitcnt vmcnt(0)
	v_lshlrev_b32_e32 v3, 16, v3
	ds_write_b32 v4, v3
	v_add_u32_e32 v4, s20, v4
	s_andn2_b64 exec, exec, s[2:3]
	s_cbranch_execnz .LBB219_5
.LBB219_6:
	s_or_b64 exec, exec, s[18:19]
	v_cmp_gt_i32_e32 vcc, s16, v0
	v_mov_b32_e32 v2, 0xff800000
	s_waitcnt lgkmcnt(0)
	s_barrier
	s_and_saveexec_b64 s[8:9], vcc
	s_cbranch_execz .LBB219_10
; %bb.7:
	s_load_dword s2, s[4:5], 0x44
	v_lshl_add_u32 v3, v0, 2, 0
	s_mov_b64 s[18:19], 0
	v_mov_b32_e32 v2, 0xff800000
	v_mov_b32_e32 v4, v0
	s_waitcnt lgkmcnt(0)
	s_and_b32 s20, s2, 0xffff
	s_lshl_b32 s21, s20, 2
.LBB219_8:                              ; =>This Inner Loop Header: Depth=1
	ds_read_b32 v5, v3
	v_add_u32_e32 v4, s20, v4
	v_max_f32_e32 v2, v2, v2
	v_cmp_le_i32_e64 s[2:3], s16, v4
	v_add_u32_e32 v3, s21, v3
	s_waitcnt lgkmcnt(0)
	v_max_f32_e32 v5, v5, v5
	s_or_b64 s[18:19], s[2:3], s[18:19]
	v_max_f32_e32 v2, v2, v5
	s_andn2_b64 exec, exec, s[18:19]
	s_cbranch_execnz .LBB219_8
; %bb.9:
	s_or_b64 exec, exec, s[18:19]
.LBB219_10:
	s_or_b64 exec, exec, s[8:9]
	;;#ASMSTART
	v_max_f32 v3, v2, v2 quad_perm:[1,0,3,2] row_mask:0xf bank_mask:0xf bound_ctrl:1
	;;#ASMEND
	;;#ASMSTART
	v_max_f32 v2, v3, v3 quad_perm:[2,3,0,1] row_mask:0xf bank_mask:0xf bound_ctrl:1
	;;#ASMEND
	;;#ASMSTART
	v_max_f32 v3, v2, v2 row_half_mirror row_mask:0xf bank_mask:0xf bound_ctrl:1
	;;#ASMEND
	;;#ASMSTART
	v_max_f32 v2, v3, v3 row_mirror row_mask:0xf bank_mask:0xf bound_ctrl:1
	;;#ASMEND
	;;#ASMSTART
	v_max_f32 v3, v2, v2 row_ror:4 row_mask:0xf bank_mask:0xf bound_ctrl:1
	;;#ASMEND
	;;#ASMSTART
	v_max_f32 v2, v3, v3 row_ror:8 row_mask:0xf bank_mask:0xf bound_ctrl:1
	;;#ASMEND
	;;#ASMSTART
	v_max_f32 v3, v2, v2 row_bcast:15 row_mask:0xf bank_mask:0xf bound_ctrl:1
	;;#ASMEND
	;;#ASMSTART
	v_max_f32 v2, v3, v3 row_bcast:31 row_mask:0xf bank_mask:0xf bound_ctrl:1
	;;#ASMEND
	v_mbcnt_lo_u32_b32 v3, -1, 0
	v_mbcnt_hi_u32_b32 v3, -1, v3
	v_bfrev_b32_e32 v4, 0.5
	v_lshl_or_b32 v4, v3, 2, v4
	ds_bpermute_b32 v3, v4, v2
	v_mov_b32_e32 v2, 0
	s_and_saveexec_b64 s[18:19], vcc
	s_cbranch_execz .LBB219_14
; %bb.11:
	s_load_dword s2, s[4:5], 0x44
	v_lshl_add_u32 v5, v0, 2, 0
	s_mov_b64 s[20:21], 0
	v_mov_b32_e32 v2, 0
	s_mov_b32 s22, 0xc2fc0000
	s_waitcnt lgkmcnt(0)
	s_and_b32 s23, s2, 0xffff
	s_lshl_b32 s24, s23, 2
	v_mov_b32_e32 v6, 0x42800000
	v_mov_b32_e32 v7, 0x1f800000
	;; [unrolled: 1-line block ×3, first 2 shown]
.LBB219_12:                             ; =>This Inner Loop Header: Depth=1
	ds_read_b32 v9, v5
	v_add_u32_e32 v8, s23, v8
	v_cmp_le_i32_e64 s[8:9], s16, v8
	s_or_b64 s[20:21], s[8:9], s[20:21]
	s_waitcnt lgkmcnt(0)
	v_sub_f32_e32 v9, v9, v3
	v_mul_f32_e32 v10, 0x3fb8aa3b, v9
	v_cmp_gt_f32_e64 s[2:3], s22, v10
	v_cndmask_b32_e64 v10, 0, v6, s[2:3]
	v_fmac_f32_e32 v10, 0x3fb8aa3b, v9
	v_exp_f32_e32 v9, v10
	v_cndmask_b32_e64 v10, 1.0, v7, s[2:3]
	v_mul_f32_e32 v11, v9, v10
	v_fmac_f32_e32 v2, v9, v10
	ds_write_b32 v5, v11
	v_add_u32_e32 v5, s24, v5
	s_andn2_b64 exec, exec, s[20:21]
	s_cbranch_execnz .LBB219_12
; %bb.13:
	s_or_b64 exec, exec, s[20:21]
.LBB219_14:
	s_or_b64 exec, exec, s[18:19]
	s_waitcnt lgkmcnt(0)
	v_mov_b32_dpp v3, v2 quad_perm:[1,0,3,2] row_mask:0xf bank_mask:0xf
	v_add_f32_e32 v2, v2, v3
	s_nop 1
	v_mov_b32_dpp v3, v2 quad_perm:[2,3,0,1] row_mask:0xf bank_mask:0xf
	v_add_f32_e32 v2, v2, v3
	s_nop 1
	v_mov_b32_dpp v3, v2 row_half_mirror row_mask:0xf bank_mask:0xf
	v_add_f32_e32 v2, v2, v3
	s_nop 1
	v_mov_b32_dpp v3, v2 row_mirror row_mask:0xf bank_mask:0xf
	v_add_f32_e32 v2, v2, v3
	s_nop 1
	v_mov_b32_dpp v3, v2 row_bcast:15 row_mask:0xf bank_mask:0xf
	v_add_f32_e32 v2, v2, v3
	s_nop 1
	v_mov_b32_dpp v3, v2 row_bcast:31 row_mask:0xf bank_mask:0xf
	v_add_f32_e32 v2, v2, v3
	ds_bpermute_b32 v2, v4, v2
	s_and_saveexec_b64 s[8:9], vcc
	s_cbranch_execz .LBB219_19
; %bb.15:
	s_load_dword s20, s[4:5], 0x44
	s_waitcnt lgkmcnt(0)
	v_rcp_f32_e32 v5, v2
	s_cmp_lg_u64 s[10:11], 0
	s_cselect_b64 s[2:3], -1, 0
	v_cndmask_b32_e64 v2, 0, 1, s[2:3]
	s_and_b32 s20, s20, 0xffff
	s_mov_b64 s[18:19], 0
	v_lshl_add_u32 v6, v0, 2, 0
	s_lshl_b32 s21, s20, 2
	v_cmp_ne_u32_e64 s[2:3], 1, v2
	v_mov_b32_e32 v2, v0
	s_branch .LBB219_17
.LBB219_16:                             ;   in Loop: Header=BB219_17 Depth=1
	v_add_u32_e32 v2, s20, v2
	v_cmp_le_i32_e32 vcc, s16, v2
	s_or_b64 s[18:19], vcc, s[18:19]
	v_add_u32_e32 v6, s21, v6
	s_andn2_b64 exec, exec, s[18:19]
	s_cbranch_execz .LBB219_19
.LBB219_17:                             ; =>This Inner Loop Header: Depth=1
	ds_read_b32 v3, v6
	s_and_b64 vcc, exec, s[2:3]
	s_waitcnt lgkmcnt(0)
	v_mul_f32_e32 v7, v5, v3
	ds_write_b32 v6, v7
	s_cbranch_vccnz .LBB219_16
; %bb.18:                               ;   in Loop: Header=BB219_17 Depth=1
	v_ashrrev_i32_e32 v3, 31, v2
	v_lshlrev_b64 v[8:9], 2, v[2:3]
	v_mov_b32_e32 v3, s11
	v_add_co_u32_e32 v8, vcc, s10, v8
	v_addc_co_u32_e32 v9, vcc, v3, v9, vcc
	global_load_dword v3, v[8:9], off
	s_waitcnt vmcnt(0)
	v_add_f32_e32 v3, v7, v3
	ds_write_b32 v6, v3
	s_branch .LBB219_16
.LBB219_19:
	s_or_b64 exec, exec, s[8:9]
	s_cmp_lt_i32 s17, 1
	v_mov_b32_e32 v3, 0
	s_waitcnt lgkmcnt(0)
	s_barrier
	s_cbranch_scc1 .LBB219_28
; %bb.20:
	s_add_u32 s2, s4, 56
	s_addc_u32 s3, s5, 0
	s_cmp_lg_u64 s[10:11], 0
	s_cselect_b64 s[8:9], -1, 0
	v_lshlrev_b32_e32 v6, 2, v0
	s_mov_b32 s16, 0
	v_mov_b32_e32 v3, 0
	v_mov_b32_e32 v7, 0xff800000
	;; [unrolled: 1-line block ×4, first 2 shown]
	s_branch .LBB219_22
.LBB219_21:                             ;   in Loop: Header=BB219_22 Depth=1
	s_lshl_b32 s19, s18, 2
	s_add_i32 s19, s19, 0
	v_mov_b32_e32 v8, s19
	ds_write_b32 v8, v7
	v_mov_b32_e32 v8, s18
	v_cmp_eq_u32_e32 vcc, s16, v0
	s_add_i32 s16, s16, 1
	v_cndmask_b32_e32 v2, v2, v8, vcc
	v_cndmask_b32_e32 v3, v3, v10, vcc
	s_cmp_eq_u32 s16, s17
	v_add_f32_e32 v5, v5, v10
	s_cbranch_scc1 .LBB219_29
.LBB219_22:                             ; =>This Loop Header: Depth=1
                                        ;     Child Loop BB219_24 Depth 2
	v_mov_b32_e32 v8, s16
	v_mov_b32_e32 v9, 0xff800000
	s_and_saveexec_b64 s[18:19], s[0:1]
	s_cbranch_execz .LBB219_26
; %bb.23:                               ;   in Loop: Header=BB219_22 Depth=1
	s_load_dword s22, s[2:3], 0xc
	s_mov_b64 s[20:21], 0
	v_mov_b32_e32 v8, s16
	v_mov_b32_e32 v9, 0xff800000
	;; [unrolled: 1-line block ×3, first 2 shown]
	s_waitcnt lgkmcnt(0)
	s_and_b32 s22, s22, 0xffff
	s_lshl_b32 s23, s22, 2
	s_lshl_b32 s24, s22, 4
	v_mov_b32_e32 v11, v6
	v_mov_b32_e32 v12, v0
.LBB219_24:                             ;   Parent Loop BB219_22 Depth=1
                                        ; =>  This Inner Loop Header: Depth=2
	ds_read_b128 v[14:17], v10
	v_add_u32_e32 v12, s22, v12
	v_cmp_le_i32_e32 vcc, s7, v12
	s_or_b64 s[20:21], vcc, s[20:21]
	v_add_u32_e32 v13, 1, v11
	s_waitcnt lgkmcnt(0)
	v_cmp_gt_f32_e32 vcc, v14, v9
	v_cndmask_b32_e32 v9, v9, v14, vcc
	v_cndmask_b32_e32 v8, v8, v11, vcc
	v_cmp_gt_f32_e32 vcc, v15, v9
	v_cndmask_b32_e32 v9, v9, v15, vcc
	v_cndmask_b32_e32 v8, v8, v13, vcc
	v_cmp_gt_f32_e32 vcc, v16, v9
	v_add_u32_e32 v18, 2, v11
	v_cndmask_b32_e32 v9, v9, v16, vcc
	v_add_u32_e32 v19, 3, v11
	v_cndmask_b32_e32 v8, v8, v18, vcc
	v_cmp_gt_f32_e32 vcc, v17, v9
	v_add_u32_e32 v10, s24, v10
	v_add_u32_e32 v11, s23, v11
	v_cndmask_b32_e32 v9, v9, v17, vcc
	v_cndmask_b32_e32 v8, v8, v19, vcc
	s_andn2_b64 exec, exec, s[20:21]
	s_cbranch_execnz .LBB219_24
; %bb.25:                               ;   in Loop: Header=BB219_22 Depth=1
	s_or_b64 exec, exec, s[20:21]
.LBB219_26:                             ;   in Loop: Header=BB219_22 Depth=1
	s_or_b64 exec, exec, s[18:19]
	;;#ASMSTART
	v_max_f32 v10, v9, v9 quad_perm:[1,0,3,2] row_mask:0xf bank_mask:0xf bound_ctrl:1
	;;#ASMEND
	;;#ASMSTART
	v_max_f32 v11, v10, v10 quad_perm:[2,3,0,1] row_mask:0xf bank_mask:0xf bound_ctrl:1
	;;#ASMEND
	;;#ASMSTART
	v_max_f32 v10, v11, v11 row_half_mirror row_mask:0xf bank_mask:0xf bound_ctrl:1
	;;#ASMEND
	;;#ASMSTART
	v_max_f32 v11, v10, v10 row_mirror row_mask:0xf bank_mask:0xf bound_ctrl:1
	;;#ASMEND
	;;#ASMSTART
	v_max_f32 v10, v11, v11 row_ror:4 row_mask:0xf bank_mask:0xf bound_ctrl:1
	;;#ASMEND
	;;#ASMSTART
	v_max_f32 v11, v10, v10 row_ror:8 row_mask:0xf bank_mask:0xf bound_ctrl:1
	;;#ASMEND
	;;#ASMSTART
	v_max_f32 v10, v11, v11 row_bcast:15 row_mask:0xf bank_mask:0xf bound_ctrl:1
	;;#ASMEND
	;;#ASMSTART
	v_max_f32 v11, v10, v10 row_bcast:31 row_mask:0xf bank_mask:0xf bound_ctrl:1
	;;#ASMEND
	ds_bpermute_b32 v10, v4, v11
	s_waitcnt lgkmcnt(0)
	v_cmp_eq_f32_e32 vcc, v9, v10
	s_ff1_i32_b64 s18, vcc
	s_cmp_lg_u64 vcc, 0
	s_cselect_b32 s18, s18, 0
	s_and_b64 vcc, exec, s[8:9]
	v_readlane_b32 s18, v8, s18
	s_cbranch_vccz .LBB219_21
; %bb.27:                               ;   in Loop: Header=BB219_22 Depth=1
	s_ashr_i32 s19, s18, 31
	s_lshl_b64 s[20:21], s[18:19], 2
	s_add_u32 s20, s10, s20
	s_addc_u32 s21, s11, s21
	s_load_dword s19, s[20:21], 0x0
	s_waitcnt lgkmcnt(0)
	v_subrev_f32_e32 v10, s19, v10
	s_branch .LBB219_21
.LBB219_28:
	v_mov_b32_e32 v2, 0
	v_mov_b32_e32 v5, 0
.LBB219_29:
	v_cmp_gt_i32_e32 vcc, s17, v0
	s_and_saveexec_b64 s[0:1], vcc
	s_cbranch_execz .LBB219_32
; %bb.30:
	s_load_dword s2, s[4:5], 0x34
	v_max_f32_e32 v1, v5, v5
	v_max_f32_e32 v1, 0x1e3ce508, v1
	s_load_dword s3, s[4:5], 0x44
	s_waitcnt lgkmcnt(0)
	v_div_scale_f32 v4, s[0:1], v1, v1, s2
	s_load_dwordx2 s[0:1], s[4:5], 0x20
	v_rcp_f32_e32 v5, v4
	v_div_scale_f32 v6, vcc, s2, v1, s2
	s_and_b32 s3, s3, 0xffff
	v_fma_f32 v7, -v4, v5, 1.0
	v_fmac_f32_e32 v5, v7, v5
	v_mul_f32_e32 v7, v6, v5
	v_fma_f32 v8, -v4, v7, v6
	v_fmac_f32_e32 v7, v8, v5
	v_fma_f32 v4, -v4, v7, v6
	v_div_fmas_f32 v4, v4, v5, v7
	v_div_fixup_f32 v1, v4, v1, s2
	s_ashr_i32 s2, s6, 31
	s_waitcnt lgkmcnt(0)
	s_mul_i32 s1, s6, s1
	s_mul_hi_u32 s4, s6, s0
	s_add_i32 s1, s4, s1
	s_mul_i32 s2, s2, s0
	s_add_i32 s4, s1, s2
	v_mul_f32_e32 v1, v3, v1
	s_mul_i32 s2, s6, s0
	s_mov_b64 s[0:1], 0
	v_mov_b32_e32 v3, s4
	v_mov_b32_e32 v4, s13
	;; [unrolled: 1-line block ×3, first 2 shown]
.LBB219_31:                             ; =>This Inner Loop Header: Depth=1
	v_ashrrev_i32_e32 v7, 31, v0
	v_add_co_u32_e32 v6, vcc, s2, v0
	v_addc_co_u32_e32 v7, vcc, v3, v7, vcc
	v_add_u32_e32 v0, s3, v0
	v_cmp_le_i32_e32 vcc, s17, v0
	v_lshlrev_b64 v[6:7], 2, v[6:7]
	s_or_b64 s[0:1], vcc, s[0:1]
	v_add_co_u32_e32 v8, vcc, s12, v6
	v_addc_co_u32_e32 v9, vcc, v4, v7, vcc
	v_add_co_u32_e32 v6, vcc, s14, v6
	v_addc_co_u32_e32 v7, vcc, v5, v7, vcc
	global_store_dword v[8:9], v1, off
	global_store_dword v[6:7], v2, off
	s_andn2_b64 exec, exec, s[0:1]
	s_cbranch_execnz .LBB219_31
.LBB219_32:
	s_endpgm
	.section	.rodata,"a",@progbits
	.p2align	6, 0x0
	.amdhsa_kernel _ZN5aiter20topk_softplus_kernelI12hip_bfloat16fDv4_fLb1ELi2EEEvPKT_PKT0_PfPimiiif
		.amdhsa_group_segment_fixed_size 0
		.amdhsa_private_segment_fixed_size 0
		.amdhsa_kernarg_size 312
		.amdhsa_user_sgpr_count 6
		.amdhsa_user_sgpr_private_segment_buffer 1
		.amdhsa_user_sgpr_dispatch_ptr 0
		.amdhsa_user_sgpr_queue_ptr 0
		.amdhsa_user_sgpr_kernarg_segment_ptr 1
		.amdhsa_user_sgpr_dispatch_id 0
		.amdhsa_user_sgpr_flat_scratch_init 0
		.amdhsa_user_sgpr_kernarg_preload_length 0
		.amdhsa_user_sgpr_kernarg_preload_offset 0
		.amdhsa_user_sgpr_private_segment_size 0
		.amdhsa_uses_dynamic_stack 0
		.amdhsa_system_sgpr_private_segment_wavefront_offset 0
		.amdhsa_system_sgpr_workgroup_id_x 1
		.amdhsa_system_sgpr_workgroup_id_y 0
		.amdhsa_system_sgpr_workgroup_id_z 0
		.amdhsa_system_sgpr_workgroup_info 0
		.amdhsa_system_vgpr_workitem_id 0
		.amdhsa_next_free_vgpr 20
		.amdhsa_next_free_sgpr 26
		.amdhsa_accum_offset 20
		.amdhsa_reserve_vcc 1
		.amdhsa_reserve_flat_scratch 0
		.amdhsa_float_round_mode_32 0
		.amdhsa_float_round_mode_16_64 0
		.amdhsa_float_denorm_mode_32 3
		.amdhsa_float_denorm_mode_16_64 3
		.amdhsa_dx10_clamp 1
		.amdhsa_ieee_mode 1
		.amdhsa_fp16_overflow 0
		.amdhsa_tg_split 0
		.amdhsa_exception_fp_ieee_invalid_op 0
		.amdhsa_exception_fp_denorm_src 0
		.amdhsa_exception_fp_ieee_div_zero 0
		.amdhsa_exception_fp_ieee_overflow 0
		.amdhsa_exception_fp_ieee_underflow 0
		.amdhsa_exception_fp_ieee_inexact 0
		.amdhsa_exception_int_div_zero 0
	.end_amdhsa_kernel
	.section	.text._ZN5aiter20topk_softplus_kernelI12hip_bfloat16fDv4_fLb1ELi2EEEvPKT_PKT0_PfPimiiif,"axG",@progbits,_ZN5aiter20topk_softplus_kernelI12hip_bfloat16fDv4_fLb1ELi2EEEvPKT_PKT0_PfPimiiif,comdat
.Lfunc_end219:
	.size	_ZN5aiter20topk_softplus_kernelI12hip_bfloat16fDv4_fLb1ELi2EEEvPKT_PKT0_PfPimiiif, .Lfunc_end219-_ZN5aiter20topk_softplus_kernelI12hip_bfloat16fDv4_fLb1ELi2EEEvPKT_PKT0_PfPimiiif
                                        ; -- End function
	.section	.AMDGPU.csdata,"",@progbits
; Kernel info:
; codeLenInByte = 1828
; NumSgprs: 30
; NumVgprs: 20
; NumAgprs: 0
; TotalNumVgprs: 20
; ScratchSize: 0
; MemoryBound: 0
; FloatMode: 240
; IeeeMode: 1
; LDSByteSize: 0 bytes/workgroup (compile time only)
; SGPRBlocks: 3
; VGPRBlocks: 2
; NumSGPRsForWavesPerEU: 30
; NumVGPRsForWavesPerEU: 20
; AccumOffset: 20
; Occupancy: 8
; WaveLimiterHint : 0
; COMPUTE_PGM_RSRC2:SCRATCH_EN: 0
; COMPUTE_PGM_RSRC2:USER_SGPR: 6
; COMPUTE_PGM_RSRC2:TRAP_HANDLER: 0
; COMPUTE_PGM_RSRC2:TGID_X_EN: 1
; COMPUTE_PGM_RSRC2:TGID_Y_EN: 0
; COMPUTE_PGM_RSRC2:TGID_Z_EN: 0
; COMPUTE_PGM_RSRC2:TIDIG_COMP_CNT: 0
; COMPUTE_PGM_RSRC3_GFX90A:ACCUM_OFFSET: 4
; COMPUTE_PGM_RSRC3_GFX90A:TG_SPLIT: 0
	.section	.text._ZN5aiter20topk_softplus_kernelI12hip_bfloat16fDv4_fLb0ELi2EEEvPKT_PKT0_PfPimiiif,"axG",@progbits,_ZN5aiter20topk_softplus_kernelI12hip_bfloat16fDv4_fLb0ELi2EEEvPKT_PKT0_PfPimiiif,comdat
	.protected	_ZN5aiter20topk_softplus_kernelI12hip_bfloat16fDv4_fLb0ELi2EEEvPKT_PKT0_PfPimiiif ; -- Begin function _ZN5aiter20topk_softplus_kernelI12hip_bfloat16fDv4_fLb0ELi2EEEvPKT_PKT0_PfPimiiif
	.globl	_ZN5aiter20topk_softplus_kernelI12hip_bfloat16fDv4_fLb0ELi2EEEvPKT_PKT0_PfPimiiif
	.p2align	8
	.type	_ZN5aiter20topk_softplus_kernelI12hip_bfloat16fDv4_fLb0ELi2EEEvPKT_PKT0_PfPimiiif,@function
_ZN5aiter20topk_softplus_kernelI12hip_bfloat16fDv4_fLb0ELi2EEEvPKT_PKT0_PfPimiiif: ; @_ZN5aiter20topk_softplus_kernelI12hip_bfloat16fDv4_fLb0ELi2EEEvPKT_PKT0_PfPimiiif
; %bb.0:
	s_load_dwordx2 s[16:17], s[4:5], 0x28
	s_load_dwordx8 s[8:15], s[4:5], 0x0
	v_lshl_add_u32 v1, v0, 4, 0
	s_waitcnt lgkmcnt(0)
	s_ashr_i32 s0, s16, 31
	s_lshr_b32 s0, s0, 30
	s_add_i32 s0, s16, s0
	s_mul_i32 s2, s6, s16
	s_ashr_i32 s7, s0, 2
	s_ashr_i32 s3, s2, 31
	v_cmp_gt_i32_e64 s[0:1], s7, v0
	s_and_saveexec_b64 s[18:19], s[0:1]
	s_cbranch_execz .LBB220_3
; %bb.1:
	s_load_dword s22, s[4:5], 0x44
	s_lshl_b64 s[20:21], s[2:3], 1
	v_lshlrev_b32_e32 v2, 3, v0
	s_mov_b32 s25, 0
	v_lshl_add_u32 v4, v0, 4, 0
	s_waitcnt lgkmcnt(0)
	s_and_b32 s22, s22, 0xffff
	s_add_u32 s20, s8, s20
	s_addc_u32 s21, s9, s21
	v_mov_b32_e32 v3, s21
	v_add_co_u32_e32 v2, vcc, s20, v2
	v_addc_co_u32_e32 v3, vcc, 0, v3, vcc
	s_lshl_b32 s23, s22, 3
	s_lshl_b32 s24, s22, 4
	s_mov_b64 s[20:21], 0
	v_mov_b32_e32 v5, s25
	v_mov_b32_e32 v6, v0
.LBB220_2:                              ; =>This Inner Loop Header: Depth=1
	global_load_dwordx2 v[12:13], v[2:3], off
	v_add_co_u32_e32 v2, vcc, s23, v2
	v_add_u32_e32 v6, s22, v6
	v_addc_co_u32_e32 v3, vcc, v3, v5, vcc
	v_cmp_le_i32_e32 vcc, s7, v6
	s_or_b64 s[20:21], vcc, s[20:21]
	s_waitcnt vmcnt(0)
	v_cvt_f32_u32_sdwa v9, v12 dst_sel:DWORD dst_unused:UNUSED_PAD src0_sel:WORD_1
	v_cvt_f32_u32_sdwa v8, v12 dst_sel:DWORD dst_unused:UNUSED_PAD src0_sel:WORD_0
	v_cvt_f32_u32_sdwa v11, v13 dst_sel:DWORD dst_unused:UNUSED_PAD src0_sel:WORD_1
	v_cvt_f32_u32_sdwa v10, v13 dst_sel:DWORD dst_unused:UNUSED_PAD src0_sel:WORD_0
	ds_write_b128 v4, v[8:11]
	v_add_u32_e32 v4, s24, v4
	s_andn2_b64 exec, exec, s[20:21]
	s_cbranch_execnz .LBB220_2
.LBB220_3:
	s_or_b64 exec, exec, s[18:19]
	v_lshl_add_u32 v2, s7, 2, v0
	v_cmp_gt_i32_e32 vcc, s16, v2
	s_and_saveexec_b64 s[18:19], vcc
	s_cbranch_execz .LBB220_6
; %bb.4:
	s_load_dword s20, s[4:5], 0x44
	s_lshl_b64 s[2:3], s[2:3], 1
	s_add_u32 s8, s8, s2
	s_addc_u32 s21, s9, s3
	s_lshl_b32 s2, s7, 4
	s_waitcnt lgkmcnt(0)
	s_and_b32 s9, s20, 0xffff
	s_add_i32 s2, s2, 0
	v_lshl_add_u32 v4, v0, 2, s2
	s_lshl_b32 s20, s9, 2
	s_mov_b64 s[2:3], 0
	v_mov_b32_e32 v5, s21
.LBB220_5:                              ; =>This Inner Loop Header: Depth=1
	v_ashrrev_i32_e32 v3, 31, v2
	v_lshlrev_b64 v[6:7], 1, v[2:3]
	v_add_co_u32_e32 v6, vcc, s8, v6
	v_addc_co_u32_e32 v7, vcc, v5, v7, vcc
	global_load_ushort v3, v[6:7], off
	v_add_u32_e32 v2, s9, v2
	v_cmp_le_i32_e32 vcc, s16, v2
	s_or_b64 s[2:3], vcc, s[2:3]
	s_waitcnt vmcnt(0)
	v_lshlrev_b32_e32 v3, 16, v3
	ds_write_b32 v4, v3
	v_add_u32_e32 v4, s20, v4
	s_andn2_b64 exec, exec, s[2:3]
	s_cbranch_execnz .LBB220_5
.LBB220_6:
	s_or_b64 exec, exec, s[18:19]
	v_cmp_gt_i32_e32 vcc, s16, v0
	v_mov_b32_e32 v2, 0xff800000
	s_waitcnt lgkmcnt(0)
	s_barrier
	s_and_saveexec_b64 s[8:9], vcc
	s_cbranch_execz .LBB220_10
; %bb.7:
	s_load_dword s2, s[4:5], 0x44
	v_lshl_add_u32 v3, v0, 2, 0
	s_mov_b64 s[18:19], 0
	v_mov_b32_e32 v2, 0xff800000
	v_mov_b32_e32 v4, v0
	s_waitcnt lgkmcnt(0)
	s_and_b32 s20, s2, 0xffff
	s_lshl_b32 s21, s20, 2
.LBB220_8:                              ; =>This Inner Loop Header: Depth=1
	ds_read_b32 v5, v3
	v_add_u32_e32 v4, s20, v4
	v_max_f32_e32 v2, v2, v2
	v_cmp_le_i32_e64 s[2:3], s16, v4
	v_add_u32_e32 v3, s21, v3
	s_waitcnt lgkmcnt(0)
	v_max_f32_e32 v5, v5, v5
	s_or_b64 s[18:19], s[2:3], s[18:19]
	v_max_f32_e32 v2, v2, v5
	s_andn2_b64 exec, exec, s[18:19]
	s_cbranch_execnz .LBB220_8
; %bb.9:
	s_or_b64 exec, exec, s[18:19]
.LBB220_10:
	s_or_b64 exec, exec, s[8:9]
	;;#ASMSTART
	v_max_f32 v3, v2, v2 quad_perm:[1,0,3,2] row_mask:0xf bank_mask:0xf bound_ctrl:1
	;;#ASMEND
	;;#ASMSTART
	v_max_f32 v2, v3, v3 quad_perm:[2,3,0,1] row_mask:0xf bank_mask:0xf bound_ctrl:1
	;;#ASMEND
	;;#ASMSTART
	v_max_f32 v3, v2, v2 row_half_mirror row_mask:0xf bank_mask:0xf bound_ctrl:1
	;;#ASMEND
	;;#ASMSTART
	v_max_f32 v2, v3, v3 row_mirror row_mask:0xf bank_mask:0xf bound_ctrl:1
	;;#ASMEND
	;;#ASMSTART
	v_max_f32 v3, v2, v2 row_ror:4 row_mask:0xf bank_mask:0xf bound_ctrl:1
	;;#ASMEND
	;;#ASMSTART
	v_max_f32 v2, v3, v3 row_ror:8 row_mask:0xf bank_mask:0xf bound_ctrl:1
	;;#ASMEND
	;;#ASMSTART
	v_max_f32 v3, v2, v2 row_bcast:15 row_mask:0xf bank_mask:0xf bound_ctrl:1
	;;#ASMEND
	;;#ASMSTART
	v_max_f32 v2, v3, v3 row_bcast:31 row_mask:0xf bank_mask:0xf bound_ctrl:1
	;;#ASMEND
	v_mbcnt_lo_u32_b32 v3, -1, 0
	v_mbcnt_hi_u32_b32 v3, -1, v3
	v_bfrev_b32_e32 v4, 0.5
	v_lshl_or_b32 v4, v3, 2, v4
	ds_bpermute_b32 v3, v4, v2
	v_mov_b32_e32 v2, 0
	s_and_saveexec_b64 s[18:19], vcc
	s_cbranch_execz .LBB220_14
; %bb.11:
	s_load_dword s2, s[4:5], 0x44
	v_lshl_add_u32 v5, v0, 2, 0
	s_mov_b64 s[20:21], 0
	v_mov_b32_e32 v2, 0
	s_mov_b32 s22, 0xc2fc0000
	s_waitcnt lgkmcnt(0)
	s_and_b32 s23, s2, 0xffff
	s_lshl_b32 s24, s23, 2
	v_mov_b32_e32 v6, 0x42800000
	v_mov_b32_e32 v7, 0x1f800000
	;; [unrolled: 1-line block ×3, first 2 shown]
.LBB220_12:                             ; =>This Inner Loop Header: Depth=1
	ds_read_b32 v9, v5
	v_add_u32_e32 v8, s23, v8
	v_cmp_le_i32_e64 s[8:9], s16, v8
	s_or_b64 s[20:21], s[8:9], s[20:21]
	s_waitcnt lgkmcnt(0)
	v_sub_f32_e32 v9, v9, v3
	v_mul_f32_e32 v10, 0x3fb8aa3b, v9
	v_cmp_gt_f32_e64 s[2:3], s22, v10
	v_cndmask_b32_e64 v10, 0, v6, s[2:3]
	v_fmac_f32_e32 v10, 0x3fb8aa3b, v9
	v_exp_f32_e32 v9, v10
	v_cndmask_b32_e64 v10, 1.0, v7, s[2:3]
	v_mul_f32_e32 v11, v9, v10
	v_fmac_f32_e32 v2, v9, v10
	ds_write_b32 v5, v11
	v_add_u32_e32 v5, s24, v5
	s_andn2_b64 exec, exec, s[20:21]
	s_cbranch_execnz .LBB220_12
; %bb.13:
	s_or_b64 exec, exec, s[20:21]
.LBB220_14:
	s_or_b64 exec, exec, s[18:19]
	s_waitcnt lgkmcnt(0)
	v_mov_b32_dpp v3, v2 quad_perm:[1,0,3,2] row_mask:0xf bank_mask:0xf
	v_add_f32_e32 v2, v2, v3
	s_nop 1
	v_mov_b32_dpp v3, v2 quad_perm:[2,3,0,1] row_mask:0xf bank_mask:0xf
	v_add_f32_e32 v2, v2, v3
	s_nop 1
	v_mov_b32_dpp v3, v2 row_half_mirror row_mask:0xf bank_mask:0xf
	v_add_f32_e32 v2, v2, v3
	s_nop 1
	v_mov_b32_dpp v3, v2 row_mirror row_mask:0xf bank_mask:0xf
	v_add_f32_e32 v2, v2, v3
	s_nop 1
	v_mov_b32_dpp v3, v2 row_bcast:15 row_mask:0xf bank_mask:0xf
	v_add_f32_e32 v2, v2, v3
	s_nop 1
	v_mov_b32_dpp v3, v2 row_bcast:31 row_mask:0xf bank_mask:0xf
	v_add_f32_e32 v2, v2, v3
	ds_bpermute_b32 v2, v4, v2
	s_and_saveexec_b64 s[8:9], vcc
	s_cbranch_execz .LBB220_19
; %bb.15:
	s_load_dword s20, s[4:5], 0x44
	s_waitcnt lgkmcnt(0)
	v_rcp_f32_e32 v5, v2
	s_cmp_lg_u64 s[10:11], 0
	s_cselect_b64 s[2:3], -1, 0
	v_cndmask_b32_e64 v2, 0, 1, s[2:3]
	s_and_b32 s20, s20, 0xffff
	s_mov_b64 s[18:19], 0
	v_lshl_add_u32 v6, v0, 2, 0
	s_lshl_b32 s21, s20, 2
	v_cmp_ne_u32_e64 s[2:3], 1, v2
	v_mov_b32_e32 v2, v0
	s_branch .LBB220_17
.LBB220_16:                             ;   in Loop: Header=BB220_17 Depth=1
	v_add_u32_e32 v2, s20, v2
	v_cmp_le_i32_e32 vcc, s16, v2
	s_or_b64 s[18:19], vcc, s[18:19]
	v_add_u32_e32 v6, s21, v6
	s_andn2_b64 exec, exec, s[18:19]
	s_cbranch_execz .LBB220_19
.LBB220_17:                             ; =>This Inner Loop Header: Depth=1
	ds_read_b32 v3, v6
	s_and_b64 vcc, exec, s[2:3]
	s_waitcnt lgkmcnt(0)
	v_mul_f32_e32 v7, v5, v3
	ds_write_b32 v6, v7
	s_cbranch_vccnz .LBB220_16
; %bb.18:                               ;   in Loop: Header=BB220_17 Depth=1
	v_ashrrev_i32_e32 v3, 31, v2
	v_lshlrev_b64 v[8:9], 2, v[2:3]
	v_mov_b32_e32 v3, s11
	v_add_co_u32_e32 v8, vcc, s10, v8
	v_addc_co_u32_e32 v9, vcc, v3, v9, vcc
	global_load_dword v3, v[8:9], off
	s_waitcnt vmcnt(0)
	v_add_f32_e32 v3, v7, v3
	ds_write_b32 v6, v3
	s_branch .LBB220_16
.LBB220_19:
	s_or_b64 exec, exec, s[8:9]
	s_cmp_lt_i32 s17, 1
	s_waitcnt lgkmcnt(0)
	s_barrier
	s_cbranch_scc1 .LBB220_28
; %bb.20:
	s_add_u32 s2, s4, 56
	s_addc_u32 s3, s5, 0
	s_cmp_lg_u64 s[10:11], 0
	s_cselect_b64 s[8:9], -1, 0
	v_lshlrev_b32_e32 v5, 2, v0
	s_mov_b32 s16, 0
	v_mov_b32_e32 v2, 0
	v_mov_b32_e32 v3, 0
	;; [unrolled: 1-line block ×3, first 2 shown]
	s_branch .LBB220_22
.LBB220_21:                             ;   in Loop: Header=BB220_22 Depth=1
	s_lshl_b32 s19, s18, 2
	s_add_i32 s19, s19, 0
	v_mov_b32_e32 v7, s19
	ds_write_b32 v7, v6
	v_mov_b32_e32 v7, s18
	v_cmp_eq_u32_e32 vcc, s16, v0
	s_add_i32 s16, s16, 1
	v_cndmask_b32_e32 v2, v2, v7, vcc
	s_cmp_eq_u32 s16, s17
	v_cndmask_b32_e32 v3, v3, v9, vcc
	s_cbranch_scc1 .LBB220_29
.LBB220_22:                             ; =>This Loop Header: Depth=1
                                        ;     Child Loop BB220_24 Depth 2
	v_mov_b32_e32 v7, s16
	v_mov_b32_e32 v8, 0xff800000
	s_and_saveexec_b64 s[18:19], s[0:1]
	s_cbranch_execz .LBB220_26
; %bb.23:                               ;   in Loop: Header=BB220_22 Depth=1
	s_load_dword s22, s[2:3], 0xc
	s_mov_b64 s[20:21], 0
	v_mov_b32_e32 v7, s16
	v_mov_b32_e32 v8, 0xff800000
	;; [unrolled: 1-line block ×3, first 2 shown]
	s_waitcnt lgkmcnt(0)
	s_and_b32 s22, s22, 0xffff
	s_lshl_b32 s23, s22, 2
	s_lshl_b32 s24, s22, 4
	v_mov_b32_e32 v10, v5
	v_mov_b32_e32 v11, v0
.LBB220_24:                             ;   Parent Loop BB220_22 Depth=1
                                        ; =>  This Inner Loop Header: Depth=2
	ds_read_b128 v[12:15], v9
	v_add_u32_e32 v11, s22, v11
	v_cmp_le_i32_e32 vcc, s7, v11
	s_or_b64 s[20:21], vcc, s[20:21]
	v_add_u32_e32 v16, 1, v10
	s_waitcnt lgkmcnt(0)
	v_cmp_gt_f32_e32 vcc, v12, v8
	v_cndmask_b32_e32 v8, v8, v12, vcc
	v_cndmask_b32_e32 v7, v7, v10, vcc
	v_cmp_gt_f32_e32 vcc, v13, v8
	v_cndmask_b32_e32 v8, v8, v13, vcc
	v_cndmask_b32_e32 v7, v7, v16, vcc
	v_cmp_gt_f32_e32 vcc, v14, v8
	v_add_u32_e32 v17, 2, v10
	v_cndmask_b32_e32 v8, v8, v14, vcc
	v_add_u32_e32 v18, 3, v10
	v_cndmask_b32_e32 v7, v7, v17, vcc
	v_cmp_gt_f32_e32 vcc, v15, v8
	v_add_u32_e32 v9, s24, v9
	v_add_u32_e32 v10, s23, v10
	v_cndmask_b32_e32 v8, v8, v15, vcc
	v_cndmask_b32_e32 v7, v7, v18, vcc
	s_andn2_b64 exec, exec, s[20:21]
	s_cbranch_execnz .LBB220_24
; %bb.25:                               ;   in Loop: Header=BB220_22 Depth=1
	s_or_b64 exec, exec, s[20:21]
.LBB220_26:                             ;   in Loop: Header=BB220_22 Depth=1
	s_or_b64 exec, exec, s[18:19]
	;;#ASMSTART
	v_max_f32 v9, v8, v8 quad_perm:[1,0,3,2] row_mask:0xf bank_mask:0xf bound_ctrl:1
	;;#ASMEND
	;;#ASMSTART
	v_max_f32 v10, v9, v9 quad_perm:[2,3,0,1] row_mask:0xf bank_mask:0xf bound_ctrl:1
	;;#ASMEND
	;;#ASMSTART
	v_max_f32 v9, v10, v10 row_half_mirror row_mask:0xf bank_mask:0xf bound_ctrl:1
	;;#ASMEND
	;;#ASMSTART
	v_max_f32 v10, v9, v9 row_mirror row_mask:0xf bank_mask:0xf bound_ctrl:1
	;;#ASMEND
	;;#ASMSTART
	v_max_f32 v9, v10, v10 row_ror:4 row_mask:0xf bank_mask:0xf bound_ctrl:1
	;;#ASMEND
	;;#ASMSTART
	v_max_f32 v10, v9, v9 row_ror:8 row_mask:0xf bank_mask:0xf bound_ctrl:1
	;;#ASMEND
	;;#ASMSTART
	v_max_f32 v9, v10, v10 row_bcast:15 row_mask:0xf bank_mask:0xf bound_ctrl:1
	;;#ASMEND
	;;#ASMSTART
	v_max_f32 v10, v9, v9 row_bcast:31 row_mask:0xf bank_mask:0xf bound_ctrl:1
	;;#ASMEND
	ds_bpermute_b32 v9, v4, v10
	s_waitcnt lgkmcnt(0)
	v_cmp_eq_f32_e32 vcc, v8, v9
	s_ff1_i32_b64 s18, vcc
	s_cmp_lg_u64 vcc, 0
	s_cselect_b32 s18, s18, 0
	s_and_b64 vcc, exec, s[8:9]
	v_readlane_b32 s18, v7, s18
	s_cbranch_vccz .LBB220_21
; %bb.27:                               ;   in Loop: Header=BB220_22 Depth=1
	s_ashr_i32 s19, s18, 31
	s_lshl_b64 s[20:21], s[18:19], 2
	s_add_u32 s20, s10, s20
	s_addc_u32 s21, s11, s21
	s_load_dword s19, s[20:21], 0x0
	s_waitcnt lgkmcnt(0)
	v_subrev_f32_e32 v9, s19, v9
	s_branch .LBB220_21
.LBB220_28:
	v_mov_b32_e32 v3, 0
	v_mov_b32_e32 v2, 0
.LBB220_29:
	v_cmp_gt_i32_e32 vcc, s17, v0
	s_and_saveexec_b64 s[0:1], vcc
	s_cbranch_execz .LBB220_32
; %bb.30:
	s_load_dword s2, s[4:5], 0x34
	s_load_dwordx2 s[0:1], s[4:5], 0x20
	s_ashr_i32 s3, s6, 31
	s_load_dword s4, s[4:5], 0x44
	v_mov_b32_e32 v4, s13
	s_waitcnt lgkmcnt(0)
	v_mul_f32_e32 v1, s2, v3
	s_mul_i32 s1, s6, s1
	s_mul_hi_u32 s2, s6, s0
	s_add_i32 s1, s2, s1
	s_mul_i32 s3, s3, s0
	s_add_i32 s5, s1, s3
	s_mul_i32 s2, s6, s0
	s_and_b32 s3, s4, 0xffff
	s_mov_b64 s[0:1], 0
	v_mov_b32_e32 v3, s5
	v_mov_b32_e32 v5, s15
.LBB220_31:                             ; =>This Inner Loop Header: Depth=1
	v_ashrrev_i32_e32 v7, 31, v0
	v_add_co_u32_e32 v6, vcc, s2, v0
	v_addc_co_u32_e32 v7, vcc, v3, v7, vcc
	v_add_u32_e32 v0, s3, v0
	v_cmp_le_i32_e32 vcc, s17, v0
	v_lshlrev_b64 v[6:7], 2, v[6:7]
	s_or_b64 s[0:1], vcc, s[0:1]
	v_add_co_u32_e32 v8, vcc, s12, v6
	v_addc_co_u32_e32 v9, vcc, v4, v7, vcc
	v_add_co_u32_e32 v6, vcc, s14, v6
	v_addc_co_u32_e32 v7, vcc, v5, v7, vcc
	global_store_dword v[8:9], v1, off
	global_store_dword v[6:7], v2, off
	s_andn2_b64 exec, exec, s[0:1]
	s_cbranch_execnz .LBB220_31
.LBB220_32:
	s_endpgm
	.section	.rodata,"a",@progbits
	.p2align	6, 0x0
	.amdhsa_kernel _ZN5aiter20topk_softplus_kernelI12hip_bfloat16fDv4_fLb0ELi2EEEvPKT_PKT0_PfPimiiif
		.amdhsa_group_segment_fixed_size 0
		.amdhsa_private_segment_fixed_size 0
		.amdhsa_kernarg_size 312
		.amdhsa_user_sgpr_count 6
		.amdhsa_user_sgpr_private_segment_buffer 1
		.amdhsa_user_sgpr_dispatch_ptr 0
		.amdhsa_user_sgpr_queue_ptr 0
		.amdhsa_user_sgpr_kernarg_segment_ptr 1
		.amdhsa_user_sgpr_dispatch_id 0
		.amdhsa_user_sgpr_flat_scratch_init 0
		.amdhsa_user_sgpr_kernarg_preload_length 0
		.amdhsa_user_sgpr_kernarg_preload_offset 0
		.amdhsa_user_sgpr_private_segment_size 0
		.amdhsa_uses_dynamic_stack 0
		.amdhsa_system_sgpr_private_segment_wavefront_offset 0
		.amdhsa_system_sgpr_workgroup_id_x 1
		.amdhsa_system_sgpr_workgroup_id_y 0
		.amdhsa_system_sgpr_workgroup_id_z 0
		.amdhsa_system_sgpr_workgroup_info 0
		.amdhsa_system_vgpr_workitem_id 0
		.amdhsa_next_free_vgpr 19
		.amdhsa_next_free_sgpr 26
		.amdhsa_accum_offset 20
		.amdhsa_reserve_vcc 1
		.amdhsa_reserve_flat_scratch 0
		.amdhsa_float_round_mode_32 0
		.amdhsa_float_round_mode_16_64 0
		.amdhsa_float_denorm_mode_32 3
		.amdhsa_float_denorm_mode_16_64 3
		.amdhsa_dx10_clamp 1
		.amdhsa_ieee_mode 1
		.amdhsa_fp16_overflow 0
		.amdhsa_tg_split 0
		.amdhsa_exception_fp_ieee_invalid_op 0
		.amdhsa_exception_fp_denorm_src 0
		.amdhsa_exception_fp_ieee_div_zero 0
		.amdhsa_exception_fp_ieee_overflow 0
		.amdhsa_exception_fp_ieee_underflow 0
		.amdhsa_exception_fp_ieee_inexact 0
		.amdhsa_exception_int_div_zero 0
	.end_amdhsa_kernel
	.section	.text._ZN5aiter20topk_softplus_kernelI12hip_bfloat16fDv4_fLb0ELi2EEEvPKT_PKT0_PfPimiiif,"axG",@progbits,_ZN5aiter20topk_softplus_kernelI12hip_bfloat16fDv4_fLb0ELi2EEEvPKT_PKT0_PfPimiiif,comdat
.Lfunc_end220:
	.size	_ZN5aiter20topk_softplus_kernelI12hip_bfloat16fDv4_fLb0ELi2EEEvPKT_PKT0_PfPimiiif, .Lfunc_end220-_ZN5aiter20topk_softplus_kernelI12hip_bfloat16fDv4_fLb0ELi2EEEvPKT_PKT0_PfPimiiif
                                        ; -- End function
	.section	.AMDGPU.csdata,"",@progbits
; Kernel info:
; codeLenInByte = 1728
; NumSgprs: 30
; NumVgprs: 19
; NumAgprs: 0
; TotalNumVgprs: 19
; ScratchSize: 0
; MemoryBound: 0
; FloatMode: 240
; IeeeMode: 1
; LDSByteSize: 0 bytes/workgroup (compile time only)
; SGPRBlocks: 3
; VGPRBlocks: 2
; NumSGPRsForWavesPerEU: 30
; NumVGPRsForWavesPerEU: 19
; AccumOffset: 20
; Occupancy: 8
; WaveLimiterHint : 0
; COMPUTE_PGM_RSRC2:SCRATCH_EN: 0
; COMPUTE_PGM_RSRC2:USER_SGPR: 6
; COMPUTE_PGM_RSRC2:TRAP_HANDLER: 0
; COMPUTE_PGM_RSRC2:TGID_X_EN: 1
; COMPUTE_PGM_RSRC2:TGID_Y_EN: 0
; COMPUTE_PGM_RSRC2:TGID_Z_EN: 0
; COMPUTE_PGM_RSRC2:TIDIG_COMP_CNT: 0
; COMPUTE_PGM_RSRC3_GFX90A:ACCUM_OFFSET: 4
; COMPUTE_PGM_RSRC3_GFX90A:TG_SPLIT: 0
	.section	.text._ZN5aiter20topk_softplus_kernelI12hip_bfloat16fDv2_fLb1ELi2EEEvPKT_PKT0_PfPimiiif,"axG",@progbits,_ZN5aiter20topk_softplus_kernelI12hip_bfloat16fDv2_fLb1ELi2EEEvPKT_PKT0_PfPimiiif,comdat
	.protected	_ZN5aiter20topk_softplus_kernelI12hip_bfloat16fDv2_fLb1ELi2EEEvPKT_PKT0_PfPimiiif ; -- Begin function _ZN5aiter20topk_softplus_kernelI12hip_bfloat16fDv2_fLb1ELi2EEEvPKT_PKT0_PfPimiiif
	.globl	_ZN5aiter20topk_softplus_kernelI12hip_bfloat16fDv2_fLb1ELi2EEEvPKT_PKT0_PfPimiiif
	.p2align	8
	.type	_ZN5aiter20topk_softplus_kernelI12hip_bfloat16fDv2_fLb1ELi2EEEvPKT_PKT0_PfPimiiif,@function
_ZN5aiter20topk_softplus_kernelI12hip_bfloat16fDv2_fLb1ELi2EEEvPKT_PKT0_PfPimiiif: ; @_ZN5aiter20topk_softplus_kernelI12hip_bfloat16fDv2_fLb1ELi2EEEvPKT_PKT0_PfPimiiif
; %bb.0:
	s_load_dwordx2 s[16:17], s[4:5], 0x28
	s_load_dwordx8 s[8:15], s[4:5], 0x0
	v_lshl_add_u32 v1, v0, 3, 0
	s_waitcnt lgkmcnt(0)
	s_lshr_b32 s0, s16, 31
	s_add_i32 s0, s16, s0
	s_mul_i32 s2, s6, s16
	s_ashr_i32 s7, s0, 1
	s_ashr_i32 s3, s2, 31
	v_cmp_gt_i32_e64 s[0:1], s7, v0
	s_and_saveexec_b64 s[18:19], s[0:1]
	s_cbranch_execz .LBB221_3
; %bb.1:
	s_load_dword s22, s[4:5], 0x44
	s_lshl_b64 s[20:21], s[2:3], 1
	v_lshlrev_b32_e32 v2, 2, v0
	s_mov_b32 s25, 0
	v_lshl_add_u32 v4, v0, 3, 0
	s_waitcnt lgkmcnt(0)
	s_and_b32 s22, s22, 0xffff
	s_add_u32 s20, s8, s20
	s_addc_u32 s21, s9, s21
	v_mov_b32_e32 v3, s21
	v_add_co_u32_e32 v2, vcc, s20, v2
	v_addc_co_u32_e32 v3, vcc, 0, v3, vcc
	s_lshl_b32 s23, s22, 2
	s_lshl_b32 s24, s22, 3
	s_mov_b64 s[20:21], 0
	v_mov_b32_e32 v5, s25
	v_mov_b32_e32 v6, v0
.LBB221_2:                              ; =>This Inner Loop Header: Depth=1
	global_load_dword v7, v[2:3], off
	v_add_co_u32_e32 v2, vcc, s23, v2
	v_add_u32_e32 v6, s22, v6
	v_addc_co_u32_e32 v3, vcc, v3, v5, vcc
	v_cmp_le_i32_e32 vcc, s7, v6
	s_or_b64 s[20:21], vcc, s[20:21]
	s_waitcnt vmcnt(0)
	v_cvt_f32_u32_sdwa v9, v7 dst_sel:DWORD dst_unused:UNUSED_PAD src0_sel:WORD_1
	v_cvt_f32_u32_sdwa v8, v7 dst_sel:DWORD dst_unused:UNUSED_PAD src0_sel:WORD_0
	ds_write_b64 v4, v[8:9]
	v_add_u32_e32 v4, s24, v4
	s_andn2_b64 exec, exec, s[20:21]
	s_cbranch_execnz .LBB221_2
.LBB221_3:
	s_or_b64 exec, exec, s[18:19]
	v_lshl_add_u32 v2, s7, 1, v0
	v_cmp_gt_i32_e32 vcc, s16, v2
	s_and_saveexec_b64 s[18:19], vcc
	s_cbranch_execz .LBB221_6
; %bb.4:
	s_load_dword s20, s[4:5], 0x44
	s_lshl_b64 s[2:3], s[2:3], 1
	s_add_u32 s8, s8, s2
	s_addc_u32 s21, s9, s3
	s_lshl_b32 s2, s7, 3
	s_waitcnt lgkmcnt(0)
	s_and_b32 s9, s20, 0xffff
	s_add_i32 s2, s2, 0
	v_lshl_add_u32 v4, v0, 2, s2
	s_lshl_b32 s20, s9, 2
	s_mov_b64 s[2:3], 0
	v_mov_b32_e32 v5, s21
.LBB221_5:                              ; =>This Inner Loop Header: Depth=1
	v_ashrrev_i32_e32 v3, 31, v2
	v_lshlrev_b64 v[6:7], 1, v[2:3]
	v_add_co_u32_e32 v6, vcc, s8, v6
	v_addc_co_u32_e32 v7, vcc, v5, v7, vcc
	global_load_ushort v3, v[6:7], off
	v_add_u32_e32 v2, s9, v2
	v_cmp_le_i32_e32 vcc, s16, v2
	s_or_b64 s[2:3], vcc, s[2:3]
	s_waitcnt vmcnt(0)
	v_lshlrev_b32_e32 v3, 16, v3
	ds_write_b32 v4, v3
	v_add_u32_e32 v4, s20, v4
	s_andn2_b64 exec, exec, s[2:3]
	s_cbranch_execnz .LBB221_5
.LBB221_6:
	s_or_b64 exec, exec, s[18:19]
	v_cmp_gt_i32_e32 vcc, s16, v0
	v_mov_b32_e32 v2, 0xff800000
	s_waitcnt lgkmcnt(0)
	s_barrier
	s_and_saveexec_b64 s[8:9], vcc
	s_cbranch_execz .LBB221_10
; %bb.7:
	s_load_dword s2, s[4:5], 0x44
	v_lshl_add_u32 v3, v0, 2, 0
	s_mov_b64 s[18:19], 0
	v_mov_b32_e32 v2, 0xff800000
	v_mov_b32_e32 v4, v0
	s_waitcnt lgkmcnt(0)
	s_and_b32 s20, s2, 0xffff
	s_lshl_b32 s21, s20, 2
.LBB221_8:                              ; =>This Inner Loop Header: Depth=1
	ds_read_b32 v5, v3
	v_add_u32_e32 v4, s20, v4
	v_max_f32_e32 v2, v2, v2
	v_cmp_le_i32_e64 s[2:3], s16, v4
	v_add_u32_e32 v3, s21, v3
	s_waitcnt lgkmcnt(0)
	v_max_f32_e32 v5, v5, v5
	s_or_b64 s[18:19], s[2:3], s[18:19]
	v_max_f32_e32 v2, v2, v5
	s_andn2_b64 exec, exec, s[18:19]
	s_cbranch_execnz .LBB221_8
; %bb.9:
	s_or_b64 exec, exec, s[18:19]
.LBB221_10:
	s_or_b64 exec, exec, s[8:9]
	;;#ASMSTART
	v_max_f32 v3, v2, v2 quad_perm:[1,0,3,2] row_mask:0xf bank_mask:0xf bound_ctrl:1
	;;#ASMEND
	;;#ASMSTART
	v_max_f32 v2, v3, v3 quad_perm:[2,3,0,1] row_mask:0xf bank_mask:0xf bound_ctrl:1
	;;#ASMEND
	;;#ASMSTART
	v_max_f32 v3, v2, v2 row_half_mirror row_mask:0xf bank_mask:0xf bound_ctrl:1
	;;#ASMEND
	;;#ASMSTART
	v_max_f32 v2, v3, v3 row_mirror row_mask:0xf bank_mask:0xf bound_ctrl:1
	;;#ASMEND
	;;#ASMSTART
	v_max_f32 v3, v2, v2 row_ror:4 row_mask:0xf bank_mask:0xf bound_ctrl:1
	;;#ASMEND
	;;#ASMSTART
	v_max_f32 v2, v3, v3 row_ror:8 row_mask:0xf bank_mask:0xf bound_ctrl:1
	;;#ASMEND
	;;#ASMSTART
	v_max_f32 v3, v2, v2 row_bcast:15 row_mask:0xf bank_mask:0xf bound_ctrl:1
	;;#ASMEND
	;;#ASMSTART
	v_max_f32 v2, v3, v3 row_bcast:31 row_mask:0xf bank_mask:0xf bound_ctrl:1
	;;#ASMEND
	v_mbcnt_lo_u32_b32 v3, -1, 0
	v_mbcnt_hi_u32_b32 v3, -1, v3
	v_bfrev_b32_e32 v4, 0.5
	v_lshl_or_b32 v4, v3, 2, v4
	ds_bpermute_b32 v3, v4, v2
	v_mov_b32_e32 v2, 0
	s_and_saveexec_b64 s[18:19], vcc
	s_cbranch_execz .LBB221_14
; %bb.11:
	s_load_dword s2, s[4:5], 0x44
	v_lshl_add_u32 v5, v0, 2, 0
	s_mov_b64 s[20:21], 0
	v_mov_b32_e32 v2, 0
	s_mov_b32 s22, 0xc2fc0000
	s_waitcnt lgkmcnt(0)
	s_and_b32 s23, s2, 0xffff
	s_lshl_b32 s24, s23, 2
	v_mov_b32_e32 v6, 0x42800000
	v_mov_b32_e32 v7, 0x1f800000
	;; [unrolled: 1-line block ×3, first 2 shown]
.LBB221_12:                             ; =>This Inner Loop Header: Depth=1
	ds_read_b32 v9, v5
	v_add_u32_e32 v8, s23, v8
	v_cmp_le_i32_e64 s[8:9], s16, v8
	s_or_b64 s[20:21], s[8:9], s[20:21]
	s_waitcnt lgkmcnt(0)
	v_sub_f32_e32 v9, v9, v3
	v_mul_f32_e32 v10, 0x3fb8aa3b, v9
	v_cmp_gt_f32_e64 s[2:3], s22, v10
	v_cndmask_b32_e64 v10, 0, v6, s[2:3]
	v_fmac_f32_e32 v10, 0x3fb8aa3b, v9
	v_exp_f32_e32 v9, v10
	v_cndmask_b32_e64 v10, 1.0, v7, s[2:3]
	v_mul_f32_e32 v11, v9, v10
	v_fmac_f32_e32 v2, v9, v10
	ds_write_b32 v5, v11
	v_add_u32_e32 v5, s24, v5
	s_andn2_b64 exec, exec, s[20:21]
	s_cbranch_execnz .LBB221_12
; %bb.13:
	s_or_b64 exec, exec, s[20:21]
.LBB221_14:
	s_or_b64 exec, exec, s[18:19]
	s_waitcnt lgkmcnt(0)
	v_mov_b32_dpp v3, v2 quad_perm:[1,0,3,2] row_mask:0xf bank_mask:0xf
	v_add_f32_e32 v2, v2, v3
	s_nop 1
	v_mov_b32_dpp v3, v2 quad_perm:[2,3,0,1] row_mask:0xf bank_mask:0xf
	v_add_f32_e32 v2, v2, v3
	s_nop 1
	v_mov_b32_dpp v3, v2 row_half_mirror row_mask:0xf bank_mask:0xf
	v_add_f32_e32 v2, v2, v3
	s_nop 1
	v_mov_b32_dpp v3, v2 row_mirror row_mask:0xf bank_mask:0xf
	v_add_f32_e32 v2, v2, v3
	s_nop 1
	v_mov_b32_dpp v3, v2 row_bcast:15 row_mask:0xf bank_mask:0xf
	v_add_f32_e32 v2, v2, v3
	s_nop 1
	v_mov_b32_dpp v3, v2 row_bcast:31 row_mask:0xf bank_mask:0xf
	v_add_f32_e32 v2, v2, v3
	ds_bpermute_b32 v2, v4, v2
	s_and_saveexec_b64 s[8:9], vcc
	s_cbranch_execz .LBB221_19
; %bb.15:
	s_load_dword s20, s[4:5], 0x44
	s_waitcnt lgkmcnt(0)
	v_rcp_f32_e32 v5, v2
	s_cmp_lg_u64 s[10:11], 0
	s_cselect_b64 s[2:3], -1, 0
	v_cndmask_b32_e64 v2, 0, 1, s[2:3]
	s_and_b32 s20, s20, 0xffff
	s_mov_b64 s[18:19], 0
	v_lshl_add_u32 v6, v0, 2, 0
	s_lshl_b32 s21, s20, 2
	v_cmp_ne_u32_e64 s[2:3], 1, v2
	v_mov_b32_e32 v2, v0
	s_branch .LBB221_17
.LBB221_16:                             ;   in Loop: Header=BB221_17 Depth=1
	v_add_u32_e32 v2, s20, v2
	v_cmp_le_i32_e32 vcc, s16, v2
	s_or_b64 s[18:19], vcc, s[18:19]
	v_add_u32_e32 v6, s21, v6
	s_andn2_b64 exec, exec, s[18:19]
	s_cbranch_execz .LBB221_19
.LBB221_17:                             ; =>This Inner Loop Header: Depth=1
	ds_read_b32 v3, v6
	s_and_b64 vcc, exec, s[2:3]
	s_waitcnt lgkmcnt(0)
	v_mul_f32_e32 v7, v5, v3
	ds_write_b32 v6, v7
	s_cbranch_vccnz .LBB221_16
; %bb.18:                               ;   in Loop: Header=BB221_17 Depth=1
	v_ashrrev_i32_e32 v3, 31, v2
	v_lshlrev_b64 v[8:9], 2, v[2:3]
	v_mov_b32_e32 v3, s11
	v_add_co_u32_e32 v8, vcc, s10, v8
	v_addc_co_u32_e32 v9, vcc, v3, v9, vcc
	global_load_dword v3, v[8:9], off
	s_waitcnt vmcnt(0)
	v_add_f32_e32 v3, v7, v3
	ds_write_b32 v6, v3
	s_branch .LBB221_16
.LBB221_19:
	s_or_b64 exec, exec, s[8:9]
	s_cmp_lt_i32 s17, 1
	v_mov_b32_e32 v3, 0
	s_waitcnt lgkmcnt(0)
	s_barrier
	s_cbranch_scc1 .LBB221_28
; %bb.20:
	s_add_u32 s2, s4, 56
	s_addc_u32 s3, s5, 0
	s_cmp_lg_u64 s[10:11], 0
	s_cselect_b64 s[8:9], -1, 0
	v_lshlrev_b32_e32 v6, 1, v0
	s_mov_b32 s16, 0
	v_mov_b32_e32 v3, 0
	v_mov_b32_e32 v7, 0xff800000
	;; [unrolled: 1-line block ×4, first 2 shown]
	s_branch .LBB221_22
.LBB221_21:                             ;   in Loop: Header=BB221_22 Depth=1
	s_lshl_b32 s19, s18, 2
	s_add_i32 s19, s19, 0
	v_mov_b32_e32 v8, s19
	ds_write_b32 v8, v7
	v_mov_b32_e32 v8, s18
	v_cmp_eq_u32_e32 vcc, s16, v0
	s_add_i32 s16, s16, 1
	v_cndmask_b32_e32 v2, v2, v8, vcc
	v_cndmask_b32_e32 v3, v3, v10, vcc
	s_cmp_eq_u32 s16, s17
	v_add_f32_e32 v5, v5, v10
	s_cbranch_scc1 .LBB221_29
.LBB221_22:                             ; =>This Loop Header: Depth=1
                                        ;     Child Loop BB221_24 Depth 2
	v_mov_b32_e32 v8, s16
	v_mov_b32_e32 v9, 0xff800000
	s_and_saveexec_b64 s[18:19], s[0:1]
	s_cbranch_execz .LBB221_26
; %bb.23:                               ;   in Loop: Header=BB221_22 Depth=1
	s_load_dword s22, s[2:3], 0xc
	s_mov_b64 s[20:21], 0
	v_mov_b32_e32 v8, s16
	v_mov_b32_e32 v9, 0xff800000
	;; [unrolled: 1-line block ×3, first 2 shown]
	s_waitcnt lgkmcnt(0)
	s_and_b32 s22, s22, 0xffff
	s_lshl_b32 s23, s22, 1
	s_lshl_b32 s24, s22, 3
	v_mov_b32_e32 v11, v6
	v_mov_b32_e32 v12, v0
.LBB221_24:                             ;   Parent Loop BB221_22 Depth=1
                                        ; =>  This Inner Loop Header: Depth=2
	ds_read_b64 v[14:15], v10
	v_add_u32_e32 v12, s22, v12
	v_cmp_le_i32_e32 vcc, s7, v12
	s_or_b64 s[20:21], vcc, s[20:21]
	v_add_u32_e32 v13, 1, v11
	s_waitcnt lgkmcnt(0)
	v_cmp_gt_f32_e32 vcc, v14, v9
	v_cndmask_b32_e32 v9, v9, v14, vcc
	v_cndmask_b32_e32 v8, v8, v11, vcc
	v_cmp_gt_f32_e32 vcc, v15, v9
	v_add_u32_e32 v10, s24, v10
	v_cndmask_b32_e32 v9, v9, v15, vcc
	v_add_u32_e32 v11, s23, v11
	v_cndmask_b32_e32 v8, v8, v13, vcc
	s_andn2_b64 exec, exec, s[20:21]
	s_cbranch_execnz .LBB221_24
; %bb.25:                               ;   in Loop: Header=BB221_22 Depth=1
	s_or_b64 exec, exec, s[20:21]
.LBB221_26:                             ;   in Loop: Header=BB221_22 Depth=1
	s_or_b64 exec, exec, s[18:19]
	;;#ASMSTART
	v_max_f32 v10, v9, v9 quad_perm:[1,0,3,2] row_mask:0xf bank_mask:0xf bound_ctrl:1
	;;#ASMEND
	;;#ASMSTART
	v_max_f32 v11, v10, v10 quad_perm:[2,3,0,1] row_mask:0xf bank_mask:0xf bound_ctrl:1
	;;#ASMEND
	;;#ASMSTART
	v_max_f32 v10, v11, v11 row_half_mirror row_mask:0xf bank_mask:0xf bound_ctrl:1
	;;#ASMEND
	;;#ASMSTART
	v_max_f32 v11, v10, v10 row_mirror row_mask:0xf bank_mask:0xf bound_ctrl:1
	;;#ASMEND
	;;#ASMSTART
	v_max_f32 v10, v11, v11 row_ror:4 row_mask:0xf bank_mask:0xf bound_ctrl:1
	;;#ASMEND
	;;#ASMSTART
	v_max_f32 v11, v10, v10 row_ror:8 row_mask:0xf bank_mask:0xf bound_ctrl:1
	;;#ASMEND
	;;#ASMSTART
	v_max_f32 v10, v11, v11 row_bcast:15 row_mask:0xf bank_mask:0xf bound_ctrl:1
	;;#ASMEND
	;;#ASMSTART
	v_max_f32 v11, v10, v10 row_bcast:31 row_mask:0xf bank_mask:0xf bound_ctrl:1
	;;#ASMEND
	ds_bpermute_b32 v10, v4, v11
	s_waitcnt lgkmcnt(0)
	v_cmp_eq_f32_e32 vcc, v9, v10
	s_ff1_i32_b64 s18, vcc
	s_cmp_lg_u64 vcc, 0
	s_cselect_b32 s18, s18, 0
	s_and_b64 vcc, exec, s[8:9]
	v_readlane_b32 s18, v8, s18
	s_cbranch_vccz .LBB221_21
; %bb.27:                               ;   in Loop: Header=BB221_22 Depth=1
	s_ashr_i32 s19, s18, 31
	s_lshl_b64 s[20:21], s[18:19], 2
	s_add_u32 s20, s10, s20
	s_addc_u32 s21, s11, s21
	s_load_dword s19, s[20:21], 0x0
	s_waitcnt lgkmcnt(0)
	v_subrev_f32_e32 v10, s19, v10
	s_branch .LBB221_21
.LBB221_28:
	v_mov_b32_e32 v2, 0
	v_mov_b32_e32 v5, 0
.LBB221_29:
	v_cmp_gt_i32_e32 vcc, s17, v0
	s_and_saveexec_b64 s[0:1], vcc
	s_cbranch_execz .LBB221_32
; %bb.30:
	s_load_dword s2, s[4:5], 0x34
	v_max_f32_e32 v1, v5, v5
	v_max_f32_e32 v1, 0x1e3ce508, v1
	s_load_dword s3, s[4:5], 0x44
	s_waitcnt lgkmcnt(0)
	v_div_scale_f32 v4, s[0:1], v1, v1, s2
	s_load_dwordx2 s[0:1], s[4:5], 0x20
	v_rcp_f32_e32 v5, v4
	v_div_scale_f32 v6, vcc, s2, v1, s2
	s_and_b32 s3, s3, 0xffff
	v_fma_f32 v7, -v4, v5, 1.0
	v_fmac_f32_e32 v5, v7, v5
	v_mul_f32_e32 v7, v6, v5
	v_fma_f32 v8, -v4, v7, v6
	v_fmac_f32_e32 v7, v8, v5
	v_fma_f32 v4, -v4, v7, v6
	v_div_fmas_f32 v4, v4, v5, v7
	v_div_fixup_f32 v1, v4, v1, s2
	s_ashr_i32 s2, s6, 31
	s_waitcnt lgkmcnt(0)
	s_mul_i32 s1, s6, s1
	s_mul_hi_u32 s4, s6, s0
	s_add_i32 s1, s4, s1
	s_mul_i32 s2, s2, s0
	s_add_i32 s4, s1, s2
	v_mul_f32_e32 v1, v3, v1
	s_mul_i32 s2, s6, s0
	s_mov_b64 s[0:1], 0
	v_mov_b32_e32 v3, s4
	v_mov_b32_e32 v4, s13
	;; [unrolled: 1-line block ×3, first 2 shown]
.LBB221_31:                             ; =>This Inner Loop Header: Depth=1
	v_ashrrev_i32_e32 v7, 31, v0
	v_add_co_u32_e32 v6, vcc, s2, v0
	v_addc_co_u32_e32 v7, vcc, v3, v7, vcc
	v_add_u32_e32 v0, s3, v0
	v_cmp_le_i32_e32 vcc, s17, v0
	v_lshlrev_b64 v[6:7], 2, v[6:7]
	s_or_b64 s[0:1], vcc, s[0:1]
	v_add_co_u32_e32 v8, vcc, s12, v6
	v_addc_co_u32_e32 v9, vcc, v4, v7, vcc
	v_add_co_u32_e32 v6, vcc, s14, v6
	v_addc_co_u32_e32 v7, vcc, v5, v7, vcc
	global_store_dword v[8:9], v1, off
	global_store_dword v[6:7], v2, off
	s_andn2_b64 exec, exec, s[0:1]
	s_cbranch_execnz .LBB221_31
.LBB221_32:
	s_endpgm
	.section	.rodata,"a",@progbits
	.p2align	6, 0x0
	.amdhsa_kernel _ZN5aiter20topk_softplus_kernelI12hip_bfloat16fDv2_fLb1ELi2EEEvPKT_PKT0_PfPimiiif
		.amdhsa_group_segment_fixed_size 0
		.amdhsa_private_segment_fixed_size 0
		.amdhsa_kernarg_size 312
		.amdhsa_user_sgpr_count 6
		.amdhsa_user_sgpr_private_segment_buffer 1
		.amdhsa_user_sgpr_dispatch_ptr 0
		.amdhsa_user_sgpr_queue_ptr 0
		.amdhsa_user_sgpr_kernarg_segment_ptr 1
		.amdhsa_user_sgpr_dispatch_id 0
		.amdhsa_user_sgpr_flat_scratch_init 0
		.amdhsa_user_sgpr_kernarg_preload_length 0
		.amdhsa_user_sgpr_kernarg_preload_offset 0
		.amdhsa_user_sgpr_private_segment_size 0
		.amdhsa_uses_dynamic_stack 0
		.amdhsa_system_sgpr_private_segment_wavefront_offset 0
		.amdhsa_system_sgpr_workgroup_id_x 1
		.amdhsa_system_sgpr_workgroup_id_y 0
		.amdhsa_system_sgpr_workgroup_id_z 0
		.amdhsa_system_sgpr_workgroup_info 0
		.amdhsa_system_vgpr_workitem_id 0
		.amdhsa_next_free_vgpr 16
		.amdhsa_next_free_sgpr 26
		.amdhsa_accum_offset 16
		.amdhsa_reserve_vcc 1
		.amdhsa_reserve_flat_scratch 0
		.amdhsa_float_round_mode_32 0
		.amdhsa_float_round_mode_16_64 0
		.amdhsa_float_denorm_mode_32 3
		.amdhsa_float_denorm_mode_16_64 3
		.amdhsa_dx10_clamp 1
		.amdhsa_ieee_mode 1
		.amdhsa_fp16_overflow 0
		.amdhsa_tg_split 0
		.amdhsa_exception_fp_ieee_invalid_op 0
		.amdhsa_exception_fp_denorm_src 0
		.amdhsa_exception_fp_ieee_div_zero 0
		.amdhsa_exception_fp_ieee_overflow 0
		.amdhsa_exception_fp_ieee_underflow 0
		.amdhsa_exception_fp_ieee_inexact 0
		.amdhsa_exception_int_div_zero 0
	.end_amdhsa_kernel
	.section	.text._ZN5aiter20topk_softplus_kernelI12hip_bfloat16fDv2_fLb1ELi2EEEvPKT_PKT0_PfPimiiif,"axG",@progbits,_ZN5aiter20topk_softplus_kernelI12hip_bfloat16fDv2_fLb1ELi2EEEvPKT_PKT0_PfPimiiif,comdat
.Lfunc_end221:
	.size	_ZN5aiter20topk_softplus_kernelI12hip_bfloat16fDv2_fLb1ELi2EEEvPKT_PKT0_PfPimiiif, .Lfunc_end221-_ZN5aiter20topk_softplus_kernelI12hip_bfloat16fDv2_fLb1ELi2EEEvPKT_PKT0_PfPimiiif
                                        ; -- End function
	.section	.AMDGPU.csdata,"",@progbits
; Kernel info:
; codeLenInByte = 1776
; NumSgprs: 30
; NumVgprs: 16
; NumAgprs: 0
; TotalNumVgprs: 16
; ScratchSize: 0
; MemoryBound: 0
; FloatMode: 240
; IeeeMode: 1
; LDSByteSize: 0 bytes/workgroup (compile time only)
; SGPRBlocks: 3
; VGPRBlocks: 1
; NumSGPRsForWavesPerEU: 30
; NumVGPRsForWavesPerEU: 16
; AccumOffset: 16
; Occupancy: 8
; WaveLimiterHint : 0
; COMPUTE_PGM_RSRC2:SCRATCH_EN: 0
; COMPUTE_PGM_RSRC2:USER_SGPR: 6
; COMPUTE_PGM_RSRC2:TRAP_HANDLER: 0
; COMPUTE_PGM_RSRC2:TGID_X_EN: 1
; COMPUTE_PGM_RSRC2:TGID_Y_EN: 0
; COMPUTE_PGM_RSRC2:TGID_Z_EN: 0
; COMPUTE_PGM_RSRC2:TIDIG_COMP_CNT: 0
; COMPUTE_PGM_RSRC3_GFX90A:ACCUM_OFFSET: 3
; COMPUTE_PGM_RSRC3_GFX90A:TG_SPLIT: 0
	.section	.text._ZN5aiter20topk_softplus_kernelI12hip_bfloat16fDv2_fLb0ELi2EEEvPKT_PKT0_PfPimiiif,"axG",@progbits,_ZN5aiter20topk_softplus_kernelI12hip_bfloat16fDv2_fLb0ELi2EEEvPKT_PKT0_PfPimiiif,comdat
	.protected	_ZN5aiter20topk_softplus_kernelI12hip_bfloat16fDv2_fLb0ELi2EEEvPKT_PKT0_PfPimiiif ; -- Begin function _ZN5aiter20topk_softplus_kernelI12hip_bfloat16fDv2_fLb0ELi2EEEvPKT_PKT0_PfPimiiif
	.globl	_ZN5aiter20topk_softplus_kernelI12hip_bfloat16fDv2_fLb0ELi2EEEvPKT_PKT0_PfPimiiif
	.p2align	8
	.type	_ZN5aiter20topk_softplus_kernelI12hip_bfloat16fDv2_fLb0ELi2EEEvPKT_PKT0_PfPimiiif,@function
_ZN5aiter20topk_softplus_kernelI12hip_bfloat16fDv2_fLb0ELi2EEEvPKT_PKT0_PfPimiiif: ; @_ZN5aiter20topk_softplus_kernelI12hip_bfloat16fDv2_fLb0ELi2EEEvPKT_PKT0_PfPimiiif
; %bb.0:
	s_load_dwordx2 s[16:17], s[4:5], 0x28
	s_load_dwordx8 s[8:15], s[4:5], 0x0
	v_lshl_add_u32 v1, v0, 3, 0
	s_waitcnt lgkmcnt(0)
	s_lshr_b32 s0, s16, 31
	s_add_i32 s0, s16, s0
	s_mul_i32 s2, s6, s16
	s_ashr_i32 s7, s0, 1
	s_ashr_i32 s3, s2, 31
	v_cmp_gt_i32_e64 s[0:1], s7, v0
	s_and_saveexec_b64 s[18:19], s[0:1]
	s_cbranch_execz .LBB222_3
; %bb.1:
	s_load_dword s22, s[4:5], 0x44
	s_lshl_b64 s[20:21], s[2:3], 1
	v_lshlrev_b32_e32 v2, 2, v0
	s_mov_b32 s25, 0
	v_lshl_add_u32 v4, v0, 3, 0
	s_waitcnt lgkmcnt(0)
	s_and_b32 s22, s22, 0xffff
	s_add_u32 s20, s8, s20
	s_addc_u32 s21, s9, s21
	v_mov_b32_e32 v3, s21
	v_add_co_u32_e32 v2, vcc, s20, v2
	v_addc_co_u32_e32 v3, vcc, 0, v3, vcc
	s_lshl_b32 s23, s22, 2
	s_lshl_b32 s24, s22, 3
	s_mov_b64 s[20:21], 0
	v_mov_b32_e32 v5, s25
	v_mov_b32_e32 v6, v0
.LBB222_2:                              ; =>This Inner Loop Header: Depth=1
	global_load_dword v7, v[2:3], off
	v_add_co_u32_e32 v2, vcc, s23, v2
	v_add_u32_e32 v6, s22, v6
	v_addc_co_u32_e32 v3, vcc, v3, v5, vcc
	v_cmp_le_i32_e32 vcc, s7, v6
	s_or_b64 s[20:21], vcc, s[20:21]
	s_waitcnt vmcnt(0)
	v_cvt_f32_u32_sdwa v9, v7 dst_sel:DWORD dst_unused:UNUSED_PAD src0_sel:WORD_1
	v_cvt_f32_u32_sdwa v8, v7 dst_sel:DWORD dst_unused:UNUSED_PAD src0_sel:WORD_0
	ds_write_b64 v4, v[8:9]
	v_add_u32_e32 v4, s24, v4
	s_andn2_b64 exec, exec, s[20:21]
	s_cbranch_execnz .LBB222_2
.LBB222_3:
	s_or_b64 exec, exec, s[18:19]
	v_lshl_add_u32 v2, s7, 1, v0
	v_cmp_gt_i32_e32 vcc, s16, v2
	s_and_saveexec_b64 s[18:19], vcc
	s_cbranch_execz .LBB222_6
; %bb.4:
	s_load_dword s20, s[4:5], 0x44
	s_lshl_b64 s[2:3], s[2:3], 1
	s_add_u32 s8, s8, s2
	s_addc_u32 s21, s9, s3
	s_lshl_b32 s2, s7, 3
	s_waitcnt lgkmcnt(0)
	s_and_b32 s9, s20, 0xffff
	s_add_i32 s2, s2, 0
	v_lshl_add_u32 v4, v0, 2, s2
	s_lshl_b32 s20, s9, 2
	s_mov_b64 s[2:3], 0
	v_mov_b32_e32 v5, s21
.LBB222_5:                              ; =>This Inner Loop Header: Depth=1
	v_ashrrev_i32_e32 v3, 31, v2
	v_lshlrev_b64 v[6:7], 1, v[2:3]
	v_add_co_u32_e32 v6, vcc, s8, v6
	v_addc_co_u32_e32 v7, vcc, v5, v7, vcc
	global_load_ushort v3, v[6:7], off
	v_add_u32_e32 v2, s9, v2
	v_cmp_le_i32_e32 vcc, s16, v2
	s_or_b64 s[2:3], vcc, s[2:3]
	s_waitcnt vmcnt(0)
	v_lshlrev_b32_e32 v3, 16, v3
	ds_write_b32 v4, v3
	v_add_u32_e32 v4, s20, v4
	s_andn2_b64 exec, exec, s[2:3]
	s_cbranch_execnz .LBB222_5
.LBB222_6:
	s_or_b64 exec, exec, s[18:19]
	v_cmp_gt_i32_e32 vcc, s16, v0
	v_mov_b32_e32 v2, 0xff800000
	s_waitcnt lgkmcnt(0)
	s_barrier
	s_and_saveexec_b64 s[8:9], vcc
	s_cbranch_execz .LBB222_10
; %bb.7:
	s_load_dword s2, s[4:5], 0x44
	v_lshl_add_u32 v3, v0, 2, 0
	s_mov_b64 s[18:19], 0
	v_mov_b32_e32 v2, 0xff800000
	v_mov_b32_e32 v4, v0
	s_waitcnt lgkmcnt(0)
	s_and_b32 s20, s2, 0xffff
	s_lshl_b32 s21, s20, 2
.LBB222_8:                              ; =>This Inner Loop Header: Depth=1
	ds_read_b32 v5, v3
	v_add_u32_e32 v4, s20, v4
	v_max_f32_e32 v2, v2, v2
	v_cmp_le_i32_e64 s[2:3], s16, v4
	v_add_u32_e32 v3, s21, v3
	s_waitcnt lgkmcnt(0)
	v_max_f32_e32 v5, v5, v5
	s_or_b64 s[18:19], s[2:3], s[18:19]
	v_max_f32_e32 v2, v2, v5
	s_andn2_b64 exec, exec, s[18:19]
	s_cbranch_execnz .LBB222_8
; %bb.9:
	s_or_b64 exec, exec, s[18:19]
.LBB222_10:
	s_or_b64 exec, exec, s[8:9]
	;;#ASMSTART
	v_max_f32 v3, v2, v2 quad_perm:[1,0,3,2] row_mask:0xf bank_mask:0xf bound_ctrl:1
	;;#ASMEND
	;;#ASMSTART
	v_max_f32 v2, v3, v3 quad_perm:[2,3,0,1] row_mask:0xf bank_mask:0xf bound_ctrl:1
	;;#ASMEND
	;;#ASMSTART
	v_max_f32 v3, v2, v2 row_half_mirror row_mask:0xf bank_mask:0xf bound_ctrl:1
	;;#ASMEND
	;;#ASMSTART
	v_max_f32 v2, v3, v3 row_mirror row_mask:0xf bank_mask:0xf bound_ctrl:1
	;;#ASMEND
	;;#ASMSTART
	v_max_f32 v3, v2, v2 row_ror:4 row_mask:0xf bank_mask:0xf bound_ctrl:1
	;;#ASMEND
	;;#ASMSTART
	v_max_f32 v2, v3, v3 row_ror:8 row_mask:0xf bank_mask:0xf bound_ctrl:1
	;;#ASMEND
	;;#ASMSTART
	v_max_f32 v3, v2, v2 row_bcast:15 row_mask:0xf bank_mask:0xf bound_ctrl:1
	;;#ASMEND
	;;#ASMSTART
	v_max_f32 v2, v3, v3 row_bcast:31 row_mask:0xf bank_mask:0xf bound_ctrl:1
	;;#ASMEND
	v_mbcnt_lo_u32_b32 v3, -1, 0
	v_mbcnt_hi_u32_b32 v3, -1, v3
	v_bfrev_b32_e32 v4, 0.5
	v_lshl_or_b32 v4, v3, 2, v4
	ds_bpermute_b32 v3, v4, v2
	v_mov_b32_e32 v2, 0
	s_and_saveexec_b64 s[18:19], vcc
	s_cbranch_execz .LBB222_14
; %bb.11:
	s_load_dword s2, s[4:5], 0x44
	v_lshl_add_u32 v5, v0, 2, 0
	s_mov_b64 s[20:21], 0
	v_mov_b32_e32 v2, 0
	s_mov_b32 s22, 0xc2fc0000
	s_waitcnt lgkmcnt(0)
	s_and_b32 s23, s2, 0xffff
	s_lshl_b32 s24, s23, 2
	v_mov_b32_e32 v6, 0x42800000
	v_mov_b32_e32 v7, 0x1f800000
	;; [unrolled: 1-line block ×3, first 2 shown]
.LBB222_12:                             ; =>This Inner Loop Header: Depth=1
	ds_read_b32 v9, v5
	v_add_u32_e32 v8, s23, v8
	v_cmp_le_i32_e64 s[8:9], s16, v8
	s_or_b64 s[20:21], s[8:9], s[20:21]
	s_waitcnt lgkmcnt(0)
	v_sub_f32_e32 v9, v9, v3
	v_mul_f32_e32 v10, 0x3fb8aa3b, v9
	v_cmp_gt_f32_e64 s[2:3], s22, v10
	v_cndmask_b32_e64 v10, 0, v6, s[2:3]
	v_fmac_f32_e32 v10, 0x3fb8aa3b, v9
	v_exp_f32_e32 v9, v10
	v_cndmask_b32_e64 v10, 1.0, v7, s[2:3]
	v_mul_f32_e32 v11, v9, v10
	v_fmac_f32_e32 v2, v9, v10
	ds_write_b32 v5, v11
	v_add_u32_e32 v5, s24, v5
	s_andn2_b64 exec, exec, s[20:21]
	s_cbranch_execnz .LBB222_12
; %bb.13:
	s_or_b64 exec, exec, s[20:21]
.LBB222_14:
	s_or_b64 exec, exec, s[18:19]
	s_waitcnt lgkmcnt(0)
	v_mov_b32_dpp v3, v2 quad_perm:[1,0,3,2] row_mask:0xf bank_mask:0xf
	v_add_f32_e32 v2, v2, v3
	s_nop 1
	v_mov_b32_dpp v3, v2 quad_perm:[2,3,0,1] row_mask:0xf bank_mask:0xf
	v_add_f32_e32 v2, v2, v3
	s_nop 1
	v_mov_b32_dpp v3, v2 row_half_mirror row_mask:0xf bank_mask:0xf
	v_add_f32_e32 v2, v2, v3
	s_nop 1
	v_mov_b32_dpp v3, v2 row_mirror row_mask:0xf bank_mask:0xf
	v_add_f32_e32 v2, v2, v3
	s_nop 1
	v_mov_b32_dpp v3, v2 row_bcast:15 row_mask:0xf bank_mask:0xf
	v_add_f32_e32 v2, v2, v3
	s_nop 1
	v_mov_b32_dpp v3, v2 row_bcast:31 row_mask:0xf bank_mask:0xf
	v_add_f32_e32 v2, v2, v3
	ds_bpermute_b32 v2, v4, v2
	s_and_saveexec_b64 s[8:9], vcc
	s_cbranch_execz .LBB222_19
; %bb.15:
	s_load_dword s20, s[4:5], 0x44
	s_waitcnt lgkmcnt(0)
	v_rcp_f32_e32 v5, v2
	s_cmp_lg_u64 s[10:11], 0
	s_cselect_b64 s[2:3], -1, 0
	v_cndmask_b32_e64 v2, 0, 1, s[2:3]
	s_and_b32 s20, s20, 0xffff
	s_mov_b64 s[18:19], 0
	v_lshl_add_u32 v6, v0, 2, 0
	s_lshl_b32 s21, s20, 2
	v_cmp_ne_u32_e64 s[2:3], 1, v2
	v_mov_b32_e32 v2, v0
	s_branch .LBB222_17
.LBB222_16:                             ;   in Loop: Header=BB222_17 Depth=1
	v_add_u32_e32 v2, s20, v2
	v_cmp_le_i32_e32 vcc, s16, v2
	s_or_b64 s[18:19], vcc, s[18:19]
	v_add_u32_e32 v6, s21, v6
	s_andn2_b64 exec, exec, s[18:19]
	s_cbranch_execz .LBB222_19
.LBB222_17:                             ; =>This Inner Loop Header: Depth=1
	ds_read_b32 v3, v6
	s_and_b64 vcc, exec, s[2:3]
	s_waitcnt lgkmcnt(0)
	v_mul_f32_e32 v7, v5, v3
	ds_write_b32 v6, v7
	s_cbranch_vccnz .LBB222_16
; %bb.18:                               ;   in Loop: Header=BB222_17 Depth=1
	v_ashrrev_i32_e32 v3, 31, v2
	v_lshlrev_b64 v[8:9], 2, v[2:3]
	v_mov_b32_e32 v3, s11
	v_add_co_u32_e32 v8, vcc, s10, v8
	v_addc_co_u32_e32 v9, vcc, v3, v9, vcc
	global_load_dword v3, v[8:9], off
	s_waitcnt vmcnt(0)
	v_add_f32_e32 v3, v7, v3
	ds_write_b32 v6, v3
	s_branch .LBB222_16
.LBB222_19:
	s_or_b64 exec, exec, s[8:9]
	s_cmp_lt_i32 s17, 1
	s_waitcnt lgkmcnt(0)
	s_barrier
	s_cbranch_scc1 .LBB222_28
; %bb.20:
	s_add_u32 s2, s4, 56
	s_addc_u32 s3, s5, 0
	s_cmp_lg_u64 s[10:11], 0
	s_cselect_b64 s[8:9], -1, 0
	v_lshlrev_b32_e32 v5, 1, v0
	s_mov_b32 s16, 0
	v_mov_b32_e32 v2, 0
	v_mov_b32_e32 v3, 0
	v_mov_b32_e32 v6, 0xff800000
	s_branch .LBB222_22
.LBB222_21:                             ;   in Loop: Header=BB222_22 Depth=1
	s_lshl_b32 s19, s18, 2
	s_add_i32 s19, s19, 0
	v_mov_b32_e32 v7, s19
	ds_write_b32 v7, v6
	v_mov_b32_e32 v7, s18
	v_cmp_eq_u32_e32 vcc, s16, v0
	s_add_i32 s16, s16, 1
	v_cndmask_b32_e32 v2, v2, v7, vcc
	s_cmp_eq_u32 s16, s17
	v_cndmask_b32_e32 v3, v3, v9, vcc
	s_cbranch_scc1 .LBB222_29
.LBB222_22:                             ; =>This Loop Header: Depth=1
                                        ;     Child Loop BB222_24 Depth 2
	v_mov_b32_e32 v7, s16
	v_mov_b32_e32 v8, 0xff800000
	s_and_saveexec_b64 s[18:19], s[0:1]
	s_cbranch_execz .LBB222_26
; %bb.23:                               ;   in Loop: Header=BB222_22 Depth=1
	s_load_dword s22, s[2:3], 0xc
	s_mov_b64 s[20:21], 0
	v_mov_b32_e32 v7, s16
	v_mov_b32_e32 v8, 0xff800000
	;; [unrolled: 1-line block ×3, first 2 shown]
	s_waitcnt lgkmcnt(0)
	s_and_b32 s22, s22, 0xffff
	s_lshl_b32 s23, s22, 1
	s_lshl_b32 s24, s22, 3
	v_mov_b32_e32 v10, v5
	v_mov_b32_e32 v11, v0
.LBB222_24:                             ;   Parent Loop BB222_22 Depth=1
                                        ; =>  This Inner Loop Header: Depth=2
	ds_read_b64 v[12:13], v9
	v_add_u32_e32 v11, s22, v11
	v_cmp_le_i32_e32 vcc, s7, v11
	s_or_b64 s[20:21], vcc, s[20:21]
	v_add_u32_e32 v14, 1, v10
	s_waitcnt lgkmcnt(0)
	v_cmp_gt_f32_e32 vcc, v12, v8
	v_cndmask_b32_e32 v8, v8, v12, vcc
	v_cndmask_b32_e32 v7, v7, v10, vcc
	v_cmp_gt_f32_e32 vcc, v13, v8
	v_add_u32_e32 v9, s24, v9
	v_cndmask_b32_e32 v8, v8, v13, vcc
	v_add_u32_e32 v10, s23, v10
	v_cndmask_b32_e32 v7, v7, v14, vcc
	s_andn2_b64 exec, exec, s[20:21]
	s_cbranch_execnz .LBB222_24
; %bb.25:                               ;   in Loop: Header=BB222_22 Depth=1
	s_or_b64 exec, exec, s[20:21]
.LBB222_26:                             ;   in Loop: Header=BB222_22 Depth=1
	s_or_b64 exec, exec, s[18:19]
	;;#ASMSTART
	v_max_f32 v9, v8, v8 quad_perm:[1,0,3,2] row_mask:0xf bank_mask:0xf bound_ctrl:1
	;;#ASMEND
	;;#ASMSTART
	v_max_f32 v10, v9, v9 quad_perm:[2,3,0,1] row_mask:0xf bank_mask:0xf bound_ctrl:1
	;;#ASMEND
	;;#ASMSTART
	v_max_f32 v9, v10, v10 row_half_mirror row_mask:0xf bank_mask:0xf bound_ctrl:1
	;;#ASMEND
	;;#ASMSTART
	v_max_f32 v10, v9, v9 row_mirror row_mask:0xf bank_mask:0xf bound_ctrl:1
	;;#ASMEND
	;;#ASMSTART
	v_max_f32 v9, v10, v10 row_ror:4 row_mask:0xf bank_mask:0xf bound_ctrl:1
	;;#ASMEND
	;;#ASMSTART
	v_max_f32 v10, v9, v9 row_ror:8 row_mask:0xf bank_mask:0xf bound_ctrl:1
	;;#ASMEND
	;;#ASMSTART
	v_max_f32 v9, v10, v10 row_bcast:15 row_mask:0xf bank_mask:0xf bound_ctrl:1
	;;#ASMEND
	;;#ASMSTART
	v_max_f32 v10, v9, v9 row_bcast:31 row_mask:0xf bank_mask:0xf bound_ctrl:1
	;;#ASMEND
	ds_bpermute_b32 v9, v4, v10
	s_waitcnt lgkmcnt(0)
	v_cmp_eq_f32_e32 vcc, v8, v9
	s_ff1_i32_b64 s18, vcc
	s_cmp_lg_u64 vcc, 0
	s_cselect_b32 s18, s18, 0
	s_and_b64 vcc, exec, s[8:9]
	v_readlane_b32 s18, v7, s18
	s_cbranch_vccz .LBB222_21
; %bb.27:                               ;   in Loop: Header=BB222_22 Depth=1
	s_ashr_i32 s19, s18, 31
	s_lshl_b64 s[20:21], s[18:19], 2
	s_add_u32 s20, s10, s20
	s_addc_u32 s21, s11, s21
	s_load_dword s19, s[20:21], 0x0
	s_waitcnt lgkmcnt(0)
	v_subrev_f32_e32 v9, s19, v9
	s_branch .LBB222_21
.LBB222_28:
	v_mov_b32_e32 v3, 0
	v_mov_b32_e32 v2, 0
.LBB222_29:
	v_cmp_gt_i32_e32 vcc, s17, v0
	s_and_saveexec_b64 s[0:1], vcc
	s_cbranch_execz .LBB222_32
; %bb.30:
	s_load_dword s2, s[4:5], 0x34
	s_load_dwordx2 s[0:1], s[4:5], 0x20
	s_ashr_i32 s3, s6, 31
	s_load_dword s4, s[4:5], 0x44
	v_mov_b32_e32 v4, s13
	s_waitcnt lgkmcnt(0)
	v_mul_f32_e32 v1, s2, v3
	s_mul_i32 s1, s6, s1
	s_mul_hi_u32 s2, s6, s0
	s_add_i32 s1, s2, s1
	s_mul_i32 s3, s3, s0
	s_add_i32 s5, s1, s3
	s_mul_i32 s2, s6, s0
	s_and_b32 s3, s4, 0xffff
	s_mov_b64 s[0:1], 0
	v_mov_b32_e32 v3, s5
	v_mov_b32_e32 v5, s15
.LBB222_31:                             ; =>This Inner Loop Header: Depth=1
	v_ashrrev_i32_e32 v7, 31, v0
	v_add_co_u32_e32 v6, vcc, s2, v0
	v_addc_co_u32_e32 v7, vcc, v3, v7, vcc
	v_add_u32_e32 v0, s3, v0
	v_cmp_le_i32_e32 vcc, s17, v0
	v_lshlrev_b64 v[6:7], 2, v[6:7]
	s_or_b64 s[0:1], vcc, s[0:1]
	v_add_co_u32_e32 v8, vcc, s12, v6
	v_addc_co_u32_e32 v9, vcc, v4, v7, vcc
	v_add_co_u32_e32 v6, vcc, s14, v6
	v_addc_co_u32_e32 v7, vcc, v5, v7, vcc
	global_store_dword v[8:9], v1, off
	global_store_dword v[6:7], v2, off
	s_andn2_b64 exec, exec, s[0:1]
	s_cbranch_execnz .LBB222_31
.LBB222_32:
	s_endpgm
	.section	.rodata,"a",@progbits
	.p2align	6, 0x0
	.amdhsa_kernel _ZN5aiter20topk_softplus_kernelI12hip_bfloat16fDv2_fLb0ELi2EEEvPKT_PKT0_PfPimiiif
		.amdhsa_group_segment_fixed_size 0
		.amdhsa_private_segment_fixed_size 0
		.amdhsa_kernarg_size 312
		.amdhsa_user_sgpr_count 6
		.amdhsa_user_sgpr_private_segment_buffer 1
		.amdhsa_user_sgpr_dispatch_ptr 0
		.amdhsa_user_sgpr_queue_ptr 0
		.amdhsa_user_sgpr_kernarg_segment_ptr 1
		.amdhsa_user_sgpr_dispatch_id 0
		.amdhsa_user_sgpr_flat_scratch_init 0
		.amdhsa_user_sgpr_kernarg_preload_length 0
		.amdhsa_user_sgpr_kernarg_preload_offset 0
		.amdhsa_user_sgpr_private_segment_size 0
		.amdhsa_uses_dynamic_stack 0
		.amdhsa_system_sgpr_private_segment_wavefront_offset 0
		.amdhsa_system_sgpr_workgroup_id_x 1
		.amdhsa_system_sgpr_workgroup_id_y 0
		.amdhsa_system_sgpr_workgroup_id_z 0
		.amdhsa_system_sgpr_workgroup_info 0
		.amdhsa_system_vgpr_workitem_id 0
		.amdhsa_next_free_vgpr 15
		.amdhsa_next_free_sgpr 26
		.amdhsa_accum_offset 16
		.amdhsa_reserve_vcc 1
		.amdhsa_reserve_flat_scratch 0
		.amdhsa_float_round_mode_32 0
		.amdhsa_float_round_mode_16_64 0
		.amdhsa_float_denorm_mode_32 3
		.amdhsa_float_denorm_mode_16_64 3
		.amdhsa_dx10_clamp 1
		.amdhsa_ieee_mode 1
		.amdhsa_fp16_overflow 0
		.amdhsa_tg_split 0
		.amdhsa_exception_fp_ieee_invalid_op 0
		.amdhsa_exception_fp_denorm_src 0
		.amdhsa_exception_fp_ieee_div_zero 0
		.amdhsa_exception_fp_ieee_overflow 0
		.amdhsa_exception_fp_ieee_underflow 0
		.amdhsa_exception_fp_ieee_inexact 0
		.amdhsa_exception_int_div_zero 0
	.end_amdhsa_kernel
	.section	.text._ZN5aiter20topk_softplus_kernelI12hip_bfloat16fDv2_fLb0ELi2EEEvPKT_PKT0_PfPimiiif,"axG",@progbits,_ZN5aiter20topk_softplus_kernelI12hip_bfloat16fDv2_fLb0ELi2EEEvPKT_PKT0_PfPimiiif,comdat
.Lfunc_end222:
	.size	_ZN5aiter20topk_softplus_kernelI12hip_bfloat16fDv2_fLb0ELi2EEEvPKT_PKT0_PfPimiiif, .Lfunc_end222-_ZN5aiter20topk_softplus_kernelI12hip_bfloat16fDv2_fLb0ELi2EEEvPKT_PKT0_PfPimiiif
                                        ; -- End function
	.section	.AMDGPU.csdata,"",@progbits
; Kernel info:
; codeLenInByte = 1676
; NumSgprs: 30
; NumVgprs: 15
; NumAgprs: 0
; TotalNumVgprs: 15
; ScratchSize: 0
; MemoryBound: 0
; FloatMode: 240
; IeeeMode: 1
; LDSByteSize: 0 bytes/workgroup (compile time only)
; SGPRBlocks: 3
; VGPRBlocks: 1
; NumSGPRsForWavesPerEU: 30
; NumVGPRsForWavesPerEU: 15
; AccumOffset: 16
; Occupancy: 8
; WaveLimiterHint : 0
; COMPUTE_PGM_RSRC2:SCRATCH_EN: 0
; COMPUTE_PGM_RSRC2:USER_SGPR: 6
; COMPUTE_PGM_RSRC2:TRAP_HANDLER: 0
; COMPUTE_PGM_RSRC2:TGID_X_EN: 1
; COMPUTE_PGM_RSRC2:TGID_Y_EN: 0
; COMPUTE_PGM_RSRC2:TGID_Z_EN: 0
; COMPUTE_PGM_RSRC2:TIDIG_COMP_CNT: 0
; COMPUTE_PGM_RSRC3_GFX90A:ACCUM_OFFSET: 3
; COMPUTE_PGM_RSRC3_GFX90A:TG_SPLIT: 0
	.section	.text._ZN5aiter20topk_softplus_kernelI12hip_bfloat16fDv1_fLb1ELi2EEEvPKT_PKT0_PfPimiiif,"axG",@progbits,_ZN5aiter20topk_softplus_kernelI12hip_bfloat16fDv1_fLb1ELi2EEEvPKT_PKT0_PfPimiiif,comdat
	.protected	_ZN5aiter20topk_softplus_kernelI12hip_bfloat16fDv1_fLb1ELi2EEEvPKT_PKT0_PfPimiiif ; -- Begin function _ZN5aiter20topk_softplus_kernelI12hip_bfloat16fDv1_fLb1ELi2EEEvPKT_PKT0_PfPimiiif
	.globl	_ZN5aiter20topk_softplus_kernelI12hip_bfloat16fDv1_fLb1ELi2EEEvPKT_PKT0_PfPimiiif
	.p2align	8
	.type	_ZN5aiter20topk_softplus_kernelI12hip_bfloat16fDv1_fLb1ELi2EEEvPKT_PKT0_PfPimiiif,@function
_ZN5aiter20topk_softplus_kernelI12hip_bfloat16fDv1_fLb1ELi2EEEvPKT_PKT0_PfPimiiif: ; @_ZN5aiter20topk_softplus_kernelI12hip_bfloat16fDv1_fLb1ELi2EEEvPKT_PKT0_PfPimiiif
; %bb.0:
	s_load_dwordx2 s[16:17], s[4:5], 0x28
	s_load_dwordx8 s[8:15], s[4:5], 0x0
	v_lshl_add_u32 v1, v0, 2, 0
	s_waitcnt lgkmcnt(0)
	s_mul_i32 s2, s6, s16
	s_ashr_i32 s3, s2, 31
	s_lshl_b64 s[2:3], s[2:3], 1
	s_add_u32 s7, s8, s2
	v_cmp_gt_i32_e64 s[0:1], s16, v0
	s_addc_u32 s18, s9, s3
	s_and_saveexec_b64 s[2:3], s[0:1]
	s_cbranch_execz .LBB223_3
; %bb.1:
	s_load_dword s19, s[4:5], 0x44
	v_lshl_add_u32 v4, v0, 2, 0
	s_mov_b64 s[8:9], 0
	v_mov_b32_e32 v5, s18
	v_mov_b32_e32 v2, v0
	s_waitcnt lgkmcnt(0)
	s_and_b32 s19, s19, 0xffff
	s_lshl_b32 s20, s19, 2
.LBB223_2:                              ; =>This Inner Loop Header: Depth=1
	v_ashrrev_i32_e32 v3, 31, v2
	v_lshlrev_b64 v[6:7], 1, v[2:3]
	v_add_co_u32_e32 v6, vcc, s7, v6
	v_addc_co_u32_e32 v7, vcc, v5, v7, vcc
	global_load_ushort v3, v[6:7], off
	v_add_u32_e32 v2, s19, v2
	v_cmp_le_i32_e32 vcc, s16, v2
	s_or_b64 s[8:9], vcc, s[8:9]
	s_waitcnt vmcnt(0)
	v_cvt_f32_u32_e32 v3, v3
	ds_write_b32 v4, v3
	v_add_u32_e32 v4, s20, v4
	s_andn2_b64 exec, exec, s[8:9]
	s_cbranch_execnz .LBB223_2
.LBB223_3:
	s_or_b64 exec, exec, s[2:3]
	v_add_u32_e32 v2, s16, v0
	v_cmp_gt_i32_e32 vcc, s16, v2
	s_and_saveexec_b64 s[2:3], vcc
	s_cbranch_execz .LBB223_6
; %bb.4:
	s_load_dword s19, s[4:5], 0x44
	v_lshl_add_u32 v4, v2, 2, 0
	s_mov_b64 s[8:9], 0
	v_mov_b32_e32 v5, s18
	s_waitcnt lgkmcnt(0)
	s_and_b32 s19, s19, 0xffff
	s_lshl_b32 s20, s19, 2
.LBB223_5:                              ; =>This Inner Loop Header: Depth=1
	v_ashrrev_i32_e32 v3, 31, v2
	v_lshlrev_b64 v[6:7], 1, v[2:3]
	v_add_co_u32_e32 v6, vcc, s7, v6
	v_addc_co_u32_e32 v7, vcc, v5, v7, vcc
	global_load_ushort v3, v[6:7], off
	v_add_u32_e32 v2, s19, v2
	v_cmp_le_i32_e32 vcc, s16, v2
	s_or_b64 s[8:9], vcc, s[8:9]
	s_waitcnt vmcnt(0)
	v_lshlrev_b32_e32 v3, 16, v3
	ds_write_b32 v4, v3
	v_add_u32_e32 v4, s20, v4
	s_andn2_b64 exec, exec, s[8:9]
	s_cbranch_execnz .LBB223_5
.LBB223_6:
	s_or_b64 exec, exec, s[2:3]
	v_mov_b32_e32 v2, 0xff800000
	s_waitcnt lgkmcnt(0)
	s_barrier
	s_and_saveexec_b64 s[2:3], s[0:1]
	s_cbranch_execz .LBB223_10
; %bb.7:
	s_load_dword s7, s[4:5], 0x44
	v_lshl_add_u32 v3, v0, 2, 0
	s_mov_b64 s[8:9], 0
	v_mov_b32_e32 v2, 0xff800000
	v_mov_b32_e32 v4, v0
	s_waitcnt lgkmcnt(0)
	s_and_b32 s7, s7, 0xffff
	s_lshl_b32 s18, s7, 2
.LBB223_8:                              ; =>This Inner Loop Header: Depth=1
	ds_read_b32 v5, v3
	v_add_u32_e32 v4, s7, v4
	v_max_f32_e32 v2, v2, v2
	v_cmp_le_i32_e32 vcc, s16, v4
	v_add_u32_e32 v3, s18, v3
	s_waitcnt lgkmcnt(0)
	v_max_f32_e32 v5, v5, v5
	s_or_b64 s[8:9], vcc, s[8:9]
	v_max_f32_e32 v2, v2, v5
	s_andn2_b64 exec, exec, s[8:9]
	s_cbranch_execnz .LBB223_8
; %bb.9:
	s_or_b64 exec, exec, s[8:9]
.LBB223_10:
	s_or_b64 exec, exec, s[2:3]
	;;#ASMSTART
	v_max_f32 v3, v2, v2 quad_perm:[1,0,3,2] row_mask:0xf bank_mask:0xf bound_ctrl:1
	;;#ASMEND
	;;#ASMSTART
	v_max_f32 v2, v3, v3 quad_perm:[2,3,0,1] row_mask:0xf bank_mask:0xf bound_ctrl:1
	;;#ASMEND
	;;#ASMSTART
	v_max_f32 v3, v2, v2 row_half_mirror row_mask:0xf bank_mask:0xf bound_ctrl:1
	;;#ASMEND
	;;#ASMSTART
	v_max_f32 v2, v3, v3 row_mirror row_mask:0xf bank_mask:0xf bound_ctrl:1
	;;#ASMEND
	;;#ASMSTART
	v_max_f32 v3, v2, v2 row_ror:4 row_mask:0xf bank_mask:0xf bound_ctrl:1
	;;#ASMEND
	;;#ASMSTART
	v_max_f32 v2, v3, v3 row_ror:8 row_mask:0xf bank_mask:0xf bound_ctrl:1
	;;#ASMEND
	;;#ASMSTART
	v_max_f32 v3, v2, v2 row_bcast:15 row_mask:0xf bank_mask:0xf bound_ctrl:1
	;;#ASMEND
	;;#ASMSTART
	v_max_f32 v2, v3, v3 row_bcast:31 row_mask:0xf bank_mask:0xf bound_ctrl:1
	;;#ASMEND
	v_mbcnt_lo_u32_b32 v3, -1, 0
	v_mbcnt_hi_u32_b32 v3, -1, v3
	v_bfrev_b32_e32 v4, 0.5
	v_lshl_or_b32 v4, v3, 2, v4
	ds_bpermute_b32 v3, v4, v2
	v_mov_b32_e32 v2, 0
	s_and_saveexec_b64 s[8:9], s[0:1]
	s_cbranch_execz .LBB223_14
; %bb.11:
	s_load_dword s2, s[4:5], 0x44
	v_lshl_add_u32 v5, v0, 2, 0
	s_mov_b64 s[18:19], 0
	v_mov_b32_e32 v2, 0
	s_mov_b32 s7, 0xc2fc0000
	s_waitcnt lgkmcnt(0)
	s_and_b32 s20, s2, 0xffff
	s_lshl_b32 s21, s20, 2
	v_mov_b32_e32 v6, 0x42800000
	v_mov_b32_e32 v7, 0x1f800000
	;; [unrolled: 1-line block ×3, first 2 shown]
.LBB223_12:                             ; =>This Inner Loop Header: Depth=1
	ds_read_b32 v9, v5
	v_add_u32_e32 v8, s20, v8
	v_cmp_le_i32_e64 s[2:3], s16, v8
	s_or_b64 s[18:19], s[2:3], s[18:19]
	s_waitcnt lgkmcnt(0)
	v_sub_f32_e32 v9, v9, v3
	v_mul_f32_e32 v10, 0x3fb8aa3b, v9
	v_cmp_gt_f32_e32 vcc, s7, v10
	v_cndmask_b32_e32 v10, 0, v6, vcc
	v_fmac_f32_e32 v10, 0x3fb8aa3b, v9
	v_exp_f32_e32 v9, v10
	v_cndmask_b32_e32 v10, 1.0, v7, vcc
	v_mul_f32_e32 v11, v9, v10
	v_fmac_f32_e32 v2, v9, v10
	ds_write_b32 v5, v11
	v_add_u32_e32 v5, s21, v5
	s_andn2_b64 exec, exec, s[18:19]
	s_cbranch_execnz .LBB223_12
; %bb.13:
	s_or_b64 exec, exec, s[18:19]
.LBB223_14:
	s_or_b64 exec, exec, s[8:9]
	s_waitcnt lgkmcnt(0)
	v_mov_b32_dpp v3, v2 quad_perm:[1,0,3,2] row_mask:0xf bank_mask:0xf
	v_add_f32_e32 v2, v2, v3
	s_nop 1
	v_mov_b32_dpp v3, v2 quad_perm:[2,3,0,1] row_mask:0xf bank_mask:0xf
	v_add_f32_e32 v2, v2, v3
	s_nop 1
	v_mov_b32_dpp v3, v2 row_half_mirror row_mask:0xf bank_mask:0xf
	v_add_f32_e32 v2, v2, v3
	s_nop 1
	v_mov_b32_dpp v3, v2 row_mirror row_mask:0xf bank_mask:0xf
	v_add_f32_e32 v2, v2, v3
	s_nop 1
	v_mov_b32_dpp v3, v2 row_bcast:15 row_mask:0xf bank_mask:0xf
	v_add_f32_e32 v2, v2, v3
	s_nop 1
	v_mov_b32_dpp v3, v2 row_bcast:31 row_mask:0xf bank_mask:0xf
	v_add_f32_e32 v2, v2, v3
	ds_bpermute_b32 v2, v4, v2
	s_and_saveexec_b64 s[8:9], s[0:1]
	s_cbranch_execz .LBB223_19
; %bb.15:
	s_load_dword s7, s[4:5], 0x44
	s_waitcnt lgkmcnt(0)
	v_rcp_f32_e32 v5, v2
	s_cmp_lg_u64 s[10:11], 0
	s_cselect_b64 s[2:3], -1, 0
	v_cndmask_b32_e64 v2, 0, 1, s[2:3]
	s_and_b32 s7, s7, 0xffff
	s_mov_b64 s[18:19], 0
	v_lshl_add_u32 v6, v0, 2, 0
	s_lshl_b32 s20, s7, 2
	v_cmp_ne_u32_e64 s[2:3], 1, v2
	v_mov_b32_e32 v2, v0
	s_branch .LBB223_17
.LBB223_16:                             ;   in Loop: Header=BB223_17 Depth=1
	v_add_u32_e32 v2, s7, v2
	v_cmp_le_i32_e32 vcc, s16, v2
	s_or_b64 s[18:19], vcc, s[18:19]
	v_add_u32_e32 v6, s20, v6
	s_andn2_b64 exec, exec, s[18:19]
	s_cbranch_execz .LBB223_19
.LBB223_17:                             ; =>This Inner Loop Header: Depth=1
	ds_read_b32 v3, v6
	s_and_b64 vcc, exec, s[2:3]
	s_waitcnt lgkmcnt(0)
	v_mul_f32_e32 v7, v5, v3
	ds_write_b32 v6, v7
	s_cbranch_vccnz .LBB223_16
; %bb.18:                               ;   in Loop: Header=BB223_17 Depth=1
	v_ashrrev_i32_e32 v3, 31, v2
	v_lshlrev_b64 v[8:9], 2, v[2:3]
	v_mov_b32_e32 v3, s11
	v_add_co_u32_e32 v8, vcc, s10, v8
	v_addc_co_u32_e32 v9, vcc, v3, v9, vcc
	global_load_dword v3, v[8:9], off
	s_waitcnt vmcnt(0)
	v_add_f32_e32 v3, v7, v3
	ds_write_b32 v6, v3
	s_branch .LBB223_16
.LBB223_19:
	s_or_b64 exec, exec, s[8:9]
	s_cmp_lt_i32 s17, 1
	v_mov_b32_e32 v3, 0
	s_waitcnt lgkmcnt(0)
	s_barrier
	s_cbranch_scc1 .LBB223_28
; %bb.20:
	s_add_u32 s2, s4, 56
	s_addc_u32 s3, s5, 0
	s_cmp_lg_u64 s[10:11], 0
	s_cselect_b64 s[8:9], -1, 0
	s_mov_b32 s7, 0
	v_mov_b32_e32 v3, 0
	v_mov_b32_e32 v6, 0xff800000
	;; [unrolled: 1-line block ×4, first 2 shown]
	s_branch .LBB223_22
.LBB223_21:                             ;   in Loop: Header=BB223_22 Depth=1
	s_lshl_b32 s19, s18, 2
	s_add_i32 s19, s19, 0
	v_mov_b32_e32 v7, s19
	ds_write_b32 v7, v6
	v_mov_b32_e32 v7, s18
	v_cmp_eq_u32_e32 vcc, s7, v0
	s_add_i32 s7, s7, 1
	v_cndmask_b32_e32 v2, v2, v7, vcc
	v_cndmask_b32_e32 v3, v3, v9, vcc
	s_cmp_eq_u32 s7, s17
	v_add_f32_e32 v5, v5, v9
	s_cbranch_scc1 .LBB223_29
.LBB223_22:                             ; =>This Loop Header: Depth=1
                                        ;     Child Loop BB223_24 Depth 2
	v_mov_b32_e32 v7, s7
	v_mov_b32_e32 v8, 0xff800000
	s_and_saveexec_b64 s[18:19], s[0:1]
	s_cbranch_execz .LBB223_26
; %bb.23:                               ;   in Loop: Header=BB223_22 Depth=1
	s_load_dword s22, s[2:3], 0xc
	s_mov_b64 s[20:21], 0
	v_mov_b32_e32 v7, s7
	v_mov_b32_e32 v8, 0xff800000
	;; [unrolled: 1-line block ×3, first 2 shown]
	s_waitcnt lgkmcnt(0)
	s_and_b32 s22, s22, 0xffff
	s_lshl_b32 s23, s22, 2
	v_mov_b32_e32 v10, v0
.LBB223_24:                             ;   Parent Loop BB223_22 Depth=1
                                        ; =>  This Inner Loop Header: Depth=2
	ds_read_b32 v11, v9
	v_add_u32_e32 v9, s23, v9
	s_waitcnt lgkmcnt(0)
	v_cmp_gt_f32_e32 vcc, v11, v8
	v_cndmask_b32_e32 v7, v7, v10, vcc
	v_add_u32_e32 v10, s22, v10
	v_cndmask_b32_e32 v8, v8, v11, vcc
	v_cmp_le_i32_e32 vcc, s16, v10
	s_or_b64 s[20:21], vcc, s[20:21]
	s_andn2_b64 exec, exec, s[20:21]
	s_cbranch_execnz .LBB223_24
; %bb.25:                               ;   in Loop: Header=BB223_22 Depth=1
	s_or_b64 exec, exec, s[20:21]
.LBB223_26:                             ;   in Loop: Header=BB223_22 Depth=1
	s_or_b64 exec, exec, s[18:19]
	;;#ASMSTART
	v_max_f32 v9, v8, v8 quad_perm:[1,0,3,2] row_mask:0xf bank_mask:0xf bound_ctrl:1
	;;#ASMEND
	;;#ASMSTART
	v_max_f32 v10, v9, v9 quad_perm:[2,3,0,1] row_mask:0xf bank_mask:0xf bound_ctrl:1
	;;#ASMEND
	;;#ASMSTART
	v_max_f32 v9, v10, v10 row_half_mirror row_mask:0xf bank_mask:0xf bound_ctrl:1
	;;#ASMEND
	;;#ASMSTART
	v_max_f32 v10, v9, v9 row_mirror row_mask:0xf bank_mask:0xf bound_ctrl:1
	;;#ASMEND
	;;#ASMSTART
	v_max_f32 v9, v10, v10 row_ror:4 row_mask:0xf bank_mask:0xf bound_ctrl:1
	;;#ASMEND
	;;#ASMSTART
	v_max_f32 v10, v9, v9 row_ror:8 row_mask:0xf bank_mask:0xf bound_ctrl:1
	;;#ASMEND
	;;#ASMSTART
	v_max_f32 v9, v10, v10 row_bcast:15 row_mask:0xf bank_mask:0xf bound_ctrl:1
	;;#ASMEND
	;;#ASMSTART
	v_max_f32 v10, v9, v9 row_bcast:31 row_mask:0xf bank_mask:0xf bound_ctrl:1
	;;#ASMEND
	ds_bpermute_b32 v9, v4, v10
	s_waitcnt lgkmcnt(0)
	v_cmp_eq_f32_e32 vcc, v8, v9
	s_ff1_i32_b64 s18, vcc
	s_cmp_lg_u64 vcc, 0
	s_cselect_b32 s18, s18, 0
	s_and_b64 vcc, exec, s[8:9]
	v_readlane_b32 s18, v7, s18
	s_cbranch_vccz .LBB223_21
; %bb.27:                               ;   in Loop: Header=BB223_22 Depth=1
	s_ashr_i32 s19, s18, 31
	s_lshl_b64 s[20:21], s[18:19], 2
	s_add_u32 s20, s10, s20
	s_addc_u32 s21, s11, s21
	s_load_dword s19, s[20:21], 0x0
	s_waitcnt lgkmcnt(0)
	v_subrev_f32_e32 v9, s19, v9
	s_branch .LBB223_21
.LBB223_28:
	v_mov_b32_e32 v2, 0
	v_mov_b32_e32 v5, 0
.LBB223_29:
	v_cmp_gt_i32_e32 vcc, s17, v0
	s_and_saveexec_b64 s[0:1], vcc
	s_cbranch_execz .LBB223_32
; %bb.30:
	s_load_dword s2, s[4:5], 0x34
	v_max_f32_e32 v1, v5, v5
	v_max_f32_e32 v1, 0x1e3ce508, v1
	s_load_dword s3, s[4:5], 0x44
	s_waitcnt lgkmcnt(0)
	v_div_scale_f32 v4, s[0:1], v1, v1, s2
	s_load_dwordx2 s[0:1], s[4:5], 0x20
	v_rcp_f32_e32 v5, v4
	v_div_scale_f32 v6, vcc, s2, v1, s2
	s_and_b32 s3, s3, 0xffff
	v_fma_f32 v7, -v4, v5, 1.0
	v_fmac_f32_e32 v5, v7, v5
	v_mul_f32_e32 v7, v6, v5
	v_fma_f32 v8, -v4, v7, v6
	v_fmac_f32_e32 v7, v8, v5
	v_fma_f32 v4, -v4, v7, v6
	v_div_fmas_f32 v4, v4, v5, v7
	v_div_fixup_f32 v1, v4, v1, s2
	s_ashr_i32 s2, s6, 31
	s_waitcnt lgkmcnt(0)
	s_mul_i32 s1, s6, s1
	s_mul_hi_u32 s4, s6, s0
	s_add_i32 s1, s4, s1
	s_mul_i32 s2, s2, s0
	s_add_i32 s4, s1, s2
	v_mul_f32_e32 v1, v3, v1
	s_mul_i32 s2, s6, s0
	s_mov_b64 s[0:1], 0
	v_mov_b32_e32 v3, s4
	v_mov_b32_e32 v4, s13
	;; [unrolled: 1-line block ×3, first 2 shown]
.LBB223_31:                             ; =>This Inner Loop Header: Depth=1
	v_ashrrev_i32_e32 v7, 31, v0
	v_add_co_u32_e32 v6, vcc, s2, v0
	v_addc_co_u32_e32 v7, vcc, v3, v7, vcc
	v_add_u32_e32 v0, s3, v0
	v_cmp_le_i32_e32 vcc, s17, v0
	v_lshlrev_b64 v[6:7], 2, v[6:7]
	s_or_b64 s[0:1], vcc, s[0:1]
	v_add_co_u32_e32 v8, vcc, s12, v6
	v_addc_co_u32_e32 v9, vcc, v4, v7, vcc
	v_add_co_u32_e32 v6, vcc, s14, v6
	v_addc_co_u32_e32 v7, vcc, v5, v7, vcc
	global_store_dword v[8:9], v1, off
	global_store_dword v[6:7], v2, off
	s_andn2_b64 exec, exec, s[0:1]
	s_cbranch_execnz .LBB223_31
.LBB223_32:
	s_endpgm
	.section	.rodata,"a",@progbits
	.p2align	6, 0x0
	.amdhsa_kernel _ZN5aiter20topk_softplus_kernelI12hip_bfloat16fDv1_fLb1ELi2EEEvPKT_PKT0_PfPimiiif
		.amdhsa_group_segment_fixed_size 0
		.amdhsa_private_segment_fixed_size 0
		.amdhsa_kernarg_size 312
		.amdhsa_user_sgpr_count 6
		.amdhsa_user_sgpr_private_segment_buffer 1
		.amdhsa_user_sgpr_dispatch_ptr 0
		.amdhsa_user_sgpr_queue_ptr 0
		.amdhsa_user_sgpr_kernarg_segment_ptr 1
		.amdhsa_user_sgpr_dispatch_id 0
		.amdhsa_user_sgpr_flat_scratch_init 0
		.amdhsa_user_sgpr_kernarg_preload_length 0
		.amdhsa_user_sgpr_kernarg_preload_offset 0
		.amdhsa_user_sgpr_private_segment_size 0
		.amdhsa_uses_dynamic_stack 0
		.amdhsa_system_sgpr_private_segment_wavefront_offset 0
		.amdhsa_system_sgpr_workgroup_id_x 1
		.amdhsa_system_sgpr_workgroup_id_y 0
		.amdhsa_system_sgpr_workgroup_id_z 0
		.amdhsa_system_sgpr_workgroup_info 0
		.amdhsa_system_vgpr_workitem_id 0
		.amdhsa_next_free_vgpr 12
		.amdhsa_next_free_sgpr 24
		.amdhsa_accum_offset 12
		.amdhsa_reserve_vcc 1
		.amdhsa_reserve_flat_scratch 0
		.amdhsa_float_round_mode_32 0
		.amdhsa_float_round_mode_16_64 0
		.amdhsa_float_denorm_mode_32 3
		.amdhsa_float_denorm_mode_16_64 3
		.amdhsa_dx10_clamp 1
		.amdhsa_ieee_mode 1
		.amdhsa_fp16_overflow 0
		.amdhsa_tg_split 0
		.amdhsa_exception_fp_ieee_invalid_op 0
		.amdhsa_exception_fp_denorm_src 0
		.amdhsa_exception_fp_ieee_div_zero 0
		.amdhsa_exception_fp_ieee_overflow 0
		.amdhsa_exception_fp_ieee_underflow 0
		.amdhsa_exception_fp_ieee_inexact 0
		.amdhsa_exception_int_div_zero 0
	.end_amdhsa_kernel
	.section	.text._ZN5aiter20topk_softplus_kernelI12hip_bfloat16fDv1_fLb1ELi2EEEvPKT_PKT0_PfPimiiif,"axG",@progbits,_ZN5aiter20topk_softplus_kernelI12hip_bfloat16fDv1_fLb1ELi2EEEvPKT_PKT0_PfPimiiif,comdat
.Lfunc_end223:
	.size	_ZN5aiter20topk_softplus_kernelI12hip_bfloat16fDv1_fLb1ELi2EEEvPKT_PKT0_PfPimiiif, .Lfunc_end223-_ZN5aiter20topk_softplus_kernelI12hip_bfloat16fDv1_fLb1ELi2EEEvPKT_PKT0_PfPimiiif
                                        ; -- End function
	.section	.AMDGPU.csdata,"",@progbits
; Kernel info:
; codeLenInByte = 1664
; NumSgprs: 28
; NumVgprs: 12
; NumAgprs: 0
; TotalNumVgprs: 12
; ScratchSize: 0
; MemoryBound: 0
; FloatMode: 240
; IeeeMode: 1
; LDSByteSize: 0 bytes/workgroup (compile time only)
; SGPRBlocks: 3
; VGPRBlocks: 1
; NumSGPRsForWavesPerEU: 28
; NumVGPRsForWavesPerEU: 12
; AccumOffset: 12
; Occupancy: 8
; WaveLimiterHint : 0
; COMPUTE_PGM_RSRC2:SCRATCH_EN: 0
; COMPUTE_PGM_RSRC2:USER_SGPR: 6
; COMPUTE_PGM_RSRC2:TRAP_HANDLER: 0
; COMPUTE_PGM_RSRC2:TGID_X_EN: 1
; COMPUTE_PGM_RSRC2:TGID_Y_EN: 0
; COMPUTE_PGM_RSRC2:TGID_Z_EN: 0
; COMPUTE_PGM_RSRC2:TIDIG_COMP_CNT: 0
; COMPUTE_PGM_RSRC3_GFX90A:ACCUM_OFFSET: 2
; COMPUTE_PGM_RSRC3_GFX90A:TG_SPLIT: 0
	.section	.text._ZN5aiter20topk_softplus_kernelI12hip_bfloat16fDv1_fLb0ELi2EEEvPKT_PKT0_PfPimiiif,"axG",@progbits,_ZN5aiter20topk_softplus_kernelI12hip_bfloat16fDv1_fLb0ELi2EEEvPKT_PKT0_PfPimiiif,comdat
	.protected	_ZN5aiter20topk_softplus_kernelI12hip_bfloat16fDv1_fLb0ELi2EEEvPKT_PKT0_PfPimiiif ; -- Begin function _ZN5aiter20topk_softplus_kernelI12hip_bfloat16fDv1_fLb0ELi2EEEvPKT_PKT0_PfPimiiif
	.globl	_ZN5aiter20topk_softplus_kernelI12hip_bfloat16fDv1_fLb0ELi2EEEvPKT_PKT0_PfPimiiif
	.p2align	8
	.type	_ZN5aiter20topk_softplus_kernelI12hip_bfloat16fDv1_fLb0ELi2EEEvPKT_PKT0_PfPimiiif,@function
_ZN5aiter20topk_softplus_kernelI12hip_bfloat16fDv1_fLb0ELi2EEEvPKT_PKT0_PfPimiiif: ; @_ZN5aiter20topk_softplus_kernelI12hip_bfloat16fDv1_fLb0ELi2EEEvPKT_PKT0_PfPimiiif
; %bb.0:
	s_load_dwordx2 s[16:17], s[4:5], 0x28
	s_load_dwordx8 s[8:15], s[4:5], 0x0
	v_lshl_add_u32 v1, v0, 2, 0
	s_waitcnt lgkmcnt(0)
	s_mul_i32 s2, s6, s16
	s_ashr_i32 s3, s2, 31
	s_lshl_b64 s[2:3], s[2:3], 1
	s_add_u32 s7, s8, s2
	v_cmp_gt_i32_e64 s[0:1], s16, v0
	s_addc_u32 s18, s9, s3
	s_and_saveexec_b64 s[2:3], s[0:1]
	s_cbranch_execz .LBB224_3
; %bb.1:
	s_load_dword s19, s[4:5], 0x44
	v_lshl_add_u32 v4, v0, 2, 0
	s_mov_b64 s[8:9], 0
	v_mov_b32_e32 v5, s18
	v_mov_b32_e32 v2, v0
	s_waitcnt lgkmcnt(0)
	s_and_b32 s19, s19, 0xffff
	s_lshl_b32 s20, s19, 2
.LBB224_2:                              ; =>This Inner Loop Header: Depth=1
	v_ashrrev_i32_e32 v3, 31, v2
	v_lshlrev_b64 v[6:7], 1, v[2:3]
	v_add_co_u32_e32 v6, vcc, s7, v6
	v_addc_co_u32_e32 v7, vcc, v5, v7, vcc
	global_load_ushort v3, v[6:7], off
	v_add_u32_e32 v2, s19, v2
	v_cmp_le_i32_e32 vcc, s16, v2
	s_or_b64 s[8:9], vcc, s[8:9]
	s_waitcnt vmcnt(0)
	v_cvt_f32_u32_e32 v3, v3
	ds_write_b32 v4, v3
	v_add_u32_e32 v4, s20, v4
	s_andn2_b64 exec, exec, s[8:9]
	s_cbranch_execnz .LBB224_2
.LBB224_3:
	s_or_b64 exec, exec, s[2:3]
	v_add_u32_e32 v2, s16, v0
	v_cmp_gt_i32_e32 vcc, s16, v2
	s_and_saveexec_b64 s[2:3], vcc
	s_cbranch_execz .LBB224_6
; %bb.4:
	s_load_dword s19, s[4:5], 0x44
	v_lshl_add_u32 v4, v2, 2, 0
	s_mov_b64 s[8:9], 0
	v_mov_b32_e32 v5, s18
	s_waitcnt lgkmcnt(0)
	s_and_b32 s19, s19, 0xffff
	s_lshl_b32 s20, s19, 2
.LBB224_5:                              ; =>This Inner Loop Header: Depth=1
	v_ashrrev_i32_e32 v3, 31, v2
	v_lshlrev_b64 v[6:7], 1, v[2:3]
	v_add_co_u32_e32 v6, vcc, s7, v6
	v_addc_co_u32_e32 v7, vcc, v5, v7, vcc
	global_load_ushort v3, v[6:7], off
	v_add_u32_e32 v2, s19, v2
	v_cmp_le_i32_e32 vcc, s16, v2
	s_or_b64 s[8:9], vcc, s[8:9]
	s_waitcnt vmcnt(0)
	v_lshlrev_b32_e32 v3, 16, v3
	ds_write_b32 v4, v3
	v_add_u32_e32 v4, s20, v4
	s_andn2_b64 exec, exec, s[8:9]
	s_cbranch_execnz .LBB224_5
.LBB224_6:
	s_or_b64 exec, exec, s[2:3]
	v_mov_b32_e32 v2, 0xff800000
	s_waitcnt lgkmcnt(0)
	s_barrier
	s_and_saveexec_b64 s[2:3], s[0:1]
	s_cbranch_execz .LBB224_10
; %bb.7:
	s_load_dword s7, s[4:5], 0x44
	v_lshl_add_u32 v3, v0, 2, 0
	s_mov_b64 s[8:9], 0
	v_mov_b32_e32 v2, 0xff800000
	v_mov_b32_e32 v4, v0
	s_waitcnt lgkmcnt(0)
	s_and_b32 s7, s7, 0xffff
	s_lshl_b32 s18, s7, 2
.LBB224_8:                              ; =>This Inner Loop Header: Depth=1
	ds_read_b32 v5, v3
	v_add_u32_e32 v4, s7, v4
	v_max_f32_e32 v2, v2, v2
	v_cmp_le_i32_e32 vcc, s16, v4
	v_add_u32_e32 v3, s18, v3
	s_waitcnt lgkmcnt(0)
	v_max_f32_e32 v5, v5, v5
	s_or_b64 s[8:9], vcc, s[8:9]
	v_max_f32_e32 v2, v2, v5
	s_andn2_b64 exec, exec, s[8:9]
	s_cbranch_execnz .LBB224_8
; %bb.9:
	s_or_b64 exec, exec, s[8:9]
.LBB224_10:
	s_or_b64 exec, exec, s[2:3]
	;;#ASMSTART
	v_max_f32 v3, v2, v2 quad_perm:[1,0,3,2] row_mask:0xf bank_mask:0xf bound_ctrl:1
	;;#ASMEND
	;;#ASMSTART
	v_max_f32 v2, v3, v3 quad_perm:[2,3,0,1] row_mask:0xf bank_mask:0xf bound_ctrl:1
	;;#ASMEND
	;;#ASMSTART
	v_max_f32 v3, v2, v2 row_half_mirror row_mask:0xf bank_mask:0xf bound_ctrl:1
	;;#ASMEND
	;;#ASMSTART
	v_max_f32 v2, v3, v3 row_mirror row_mask:0xf bank_mask:0xf bound_ctrl:1
	;;#ASMEND
	;;#ASMSTART
	v_max_f32 v3, v2, v2 row_ror:4 row_mask:0xf bank_mask:0xf bound_ctrl:1
	;;#ASMEND
	;;#ASMSTART
	v_max_f32 v2, v3, v3 row_ror:8 row_mask:0xf bank_mask:0xf bound_ctrl:1
	;;#ASMEND
	;;#ASMSTART
	v_max_f32 v3, v2, v2 row_bcast:15 row_mask:0xf bank_mask:0xf bound_ctrl:1
	;;#ASMEND
	;;#ASMSTART
	v_max_f32 v2, v3, v3 row_bcast:31 row_mask:0xf bank_mask:0xf bound_ctrl:1
	;;#ASMEND
	v_mbcnt_lo_u32_b32 v3, -1, 0
	v_mbcnt_hi_u32_b32 v3, -1, v3
	v_bfrev_b32_e32 v4, 0.5
	v_lshl_or_b32 v4, v3, 2, v4
	ds_bpermute_b32 v3, v4, v2
	v_mov_b32_e32 v2, 0
	s_and_saveexec_b64 s[8:9], s[0:1]
	s_cbranch_execz .LBB224_14
; %bb.11:
	s_load_dword s2, s[4:5], 0x44
	v_lshl_add_u32 v5, v0, 2, 0
	s_mov_b64 s[18:19], 0
	v_mov_b32_e32 v2, 0
	s_mov_b32 s7, 0xc2fc0000
	s_waitcnt lgkmcnt(0)
	s_and_b32 s20, s2, 0xffff
	s_lshl_b32 s21, s20, 2
	v_mov_b32_e32 v6, 0x42800000
	v_mov_b32_e32 v7, 0x1f800000
	;; [unrolled: 1-line block ×3, first 2 shown]
.LBB224_12:                             ; =>This Inner Loop Header: Depth=1
	ds_read_b32 v9, v5
	v_add_u32_e32 v8, s20, v8
	v_cmp_le_i32_e64 s[2:3], s16, v8
	s_or_b64 s[18:19], s[2:3], s[18:19]
	s_waitcnt lgkmcnt(0)
	v_sub_f32_e32 v9, v9, v3
	v_mul_f32_e32 v10, 0x3fb8aa3b, v9
	v_cmp_gt_f32_e32 vcc, s7, v10
	v_cndmask_b32_e32 v10, 0, v6, vcc
	v_fmac_f32_e32 v10, 0x3fb8aa3b, v9
	v_exp_f32_e32 v9, v10
	v_cndmask_b32_e32 v10, 1.0, v7, vcc
	v_mul_f32_e32 v11, v9, v10
	v_fmac_f32_e32 v2, v9, v10
	ds_write_b32 v5, v11
	v_add_u32_e32 v5, s21, v5
	s_andn2_b64 exec, exec, s[18:19]
	s_cbranch_execnz .LBB224_12
; %bb.13:
	s_or_b64 exec, exec, s[18:19]
.LBB224_14:
	s_or_b64 exec, exec, s[8:9]
	s_waitcnt lgkmcnt(0)
	v_mov_b32_dpp v3, v2 quad_perm:[1,0,3,2] row_mask:0xf bank_mask:0xf
	v_add_f32_e32 v2, v2, v3
	s_nop 1
	v_mov_b32_dpp v3, v2 quad_perm:[2,3,0,1] row_mask:0xf bank_mask:0xf
	v_add_f32_e32 v2, v2, v3
	s_nop 1
	v_mov_b32_dpp v3, v2 row_half_mirror row_mask:0xf bank_mask:0xf
	v_add_f32_e32 v2, v2, v3
	s_nop 1
	v_mov_b32_dpp v3, v2 row_mirror row_mask:0xf bank_mask:0xf
	v_add_f32_e32 v2, v2, v3
	s_nop 1
	v_mov_b32_dpp v3, v2 row_bcast:15 row_mask:0xf bank_mask:0xf
	v_add_f32_e32 v2, v2, v3
	s_nop 1
	v_mov_b32_dpp v3, v2 row_bcast:31 row_mask:0xf bank_mask:0xf
	v_add_f32_e32 v2, v2, v3
	ds_bpermute_b32 v2, v4, v2
	s_and_saveexec_b64 s[8:9], s[0:1]
	s_cbranch_execz .LBB224_19
; %bb.15:
	s_load_dword s7, s[4:5], 0x44
	s_waitcnt lgkmcnt(0)
	v_rcp_f32_e32 v5, v2
	s_cmp_lg_u64 s[10:11], 0
	s_cselect_b64 s[2:3], -1, 0
	v_cndmask_b32_e64 v2, 0, 1, s[2:3]
	s_and_b32 s7, s7, 0xffff
	s_mov_b64 s[18:19], 0
	v_lshl_add_u32 v6, v0, 2, 0
	s_lshl_b32 s20, s7, 2
	v_cmp_ne_u32_e64 s[2:3], 1, v2
	v_mov_b32_e32 v2, v0
	s_branch .LBB224_17
.LBB224_16:                             ;   in Loop: Header=BB224_17 Depth=1
	v_add_u32_e32 v2, s7, v2
	v_cmp_le_i32_e32 vcc, s16, v2
	s_or_b64 s[18:19], vcc, s[18:19]
	v_add_u32_e32 v6, s20, v6
	s_andn2_b64 exec, exec, s[18:19]
	s_cbranch_execz .LBB224_19
.LBB224_17:                             ; =>This Inner Loop Header: Depth=1
	ds_read_b32 v3, v6
	s_and_b64 vcc, exec, s[2:3]
	s_waitcnt lgkmcnt(0)
	v_mul_f32_e32 v7, v5, v3
	ds_write_b32 v6, v7
	s_cbranch_vccnz .LBB224_16
; %bb.18:                               ;   in Loop: Header=BB224_17 Depth=1
	v_ashrrev_i32_e32 v3, 31, v2
	v_lshlrev_b64 v[8:9], 2, v[2:3]
	v_mov_b32_e32 v3, s11
	v_add_co_u32_e32 v8, vcc, s10, v8
	v_addc_co_u32_e32 v9, vcc, v3, v9, vcc
	global_load_dword v3, v[8:9], off
	s_waitcnt vmcnt(0)
	v_add_f32_e32 v3, v7, v3
	ds_write_b32 v6, v3
	s_branch .LBB224_16
.LBB224_19:
	s_or_b64 exec, exec, s[8:9]
	s_cmp_lt_i32 s17, 1
	s_waitcnt lgkmcnt(0)
	s_barrier
	s_cbranch_scc1 .LBB224_28
; %bb.20:
	s_add_u32 s2, s4, 56
	s_addc_u32 s3, s5, 0
	s_cmp_lg_u64 s[10:11], 0
	s_cselect_b64 s[8:9], -1, 0
	s_mov_b32 s7, 0
	v_mov_b32_e32 v2, 0
	v_mov_b32_e32 v3, 0
	;; [unrolled: 1-line block ×3, first 2 shown]
	s_branch .LBB224_22
.LBB224_21:                             ;   in Loop: Header=BB224_22 Depth=1
	s_lshl_b32 s19, s18, 2
	s_add_i32 s19, s19, 0
	v_mov_b32_e32 v6, s19
	ds_write_b32 v6, v5
	v_mov_b32_e32 v6, s18
	v_cmp_eq_u32_e32 vcc, s7, v0
	s_add_i32 s7, s7, 1
	v_cndmask_b32_e32 v2, v2, v6, vcc
	s_cmp_eq_u32 s7, s17
	v_cndmask_b32_e32 v3, v3, v8, vcc
	s_cbranch_scc1 .LBB224_29
.LBB224_22:                             ; =>This Loop Header: Depth=1
                                        ;     Child Loop BB224_24 Depth 2
	v_mov_b32_e32 v6, s7
	v_mov_b32_e32 v7, 0xff800000
	s_and_saveexec_b64 s[18:19], s[0:1]
	s_cbranch_execz .LBB224_26
; %bb.23:                               ;   in Loop: Header=BB224_22 Depth=1
	s_load_dword s22, s[2:3], 0xc
	s_mov_b64 s[20:21], 0
	v_mov_b32_e32 v6, s7
	v_mov_b32_e32 v7, 0xff800000
	;; [unrolled: 1-line block ×3, first 2 shown]
	s_waitcnt lgkmcnt(0)
	s_and_b32 s22, s22, 0xffff
	s_lshl_b32 s23, s22, 2
	v_mov_b32_e32 v9, v0
.LBB224_24:                             ;   Parent Loop BB224_22 Depth=1
                                        ; =>  This Inner Loop Header: Depth=2
	ds_read_b32 v10, v8
	v_add_u32_e32 v8, s23, v8
	s_waitcnt lgkmcnt(0)
	v_cmp_gt_f32_e32 vcc, v10, v7
	v_cndmask_b32_e32 v6, v6, v9, vcc
	v_add_u32_e32 v9, s22, v9
	v_cndmask_b32_e32 v7, v7, v10, vcc
	v_cmp_le_i32_e32 vcc, s16, v9
	s_or_b64 s[20:21], vcc, s[20:21]
	s_andn2_b64 exec, exec, s[20:21]
	s_cbranch_execnz .LBB224_24
; %bb.25:                               ;   in Loop: Header=BB224_22 Depth=1
	s_or_b64 exec, exec, s[20:21]
.LBB224_26:                             ;   in Loop: Header=BB224_22 Depth=1
	s_or_b64 exec, exec, s[18:19]
	;;#ASMSTART
	v_max_f32 v8, v7, v7 quad_perm:[1,0,3,2] row_mask:0xf bank_mask:0xf bound_ctrl:1
	;;#ASMEND
	;;#ASMSTART
	v_max_f32 v9, v8, v8 quad_perm:[2,3,0,1] row_mask:0xf bank_mask:0xf bound_ctrl:1
	;;#ASMEND
	;;#ASMSTART
	v_max_f32 v8, v9, v9 row_half_mirror row_mask:0xf bank_mask:0xf bound_ctrl:1
	;;#ASMEND
	;;#ASMSTART
	v_max_f32 v9, v8, v8 row_mirror row_mask:0xf bank_mask:0xf bound_ctrl:1
	;;#ASMEND
	;;#ASMSTART
	v_max_f32 v8, v9, v9 row_ror:4 row_mask:0xf bank_mask:0xf bound_ctrl:1
	;;#ASMEND
	;;#ASMSTART
	v_max_f32 v9, v8, v8 row_ror:8 row_mask:0xf bank_mask:0xf bound_ctrl:1
	;;#ASMEND
	;;#ASMSTART
	v_max_f32 v8, v9, v9 row_bcast:15 row_mask:0xf bank_mask:0xf bound_ctrl:1
	;;#ASMEND
	;;#ASMSTART
	v_max_f32 v9, v8, v8 row_bcast:31 row_mask:0xf bank_mask:0xf bound_ctrl:1
	;;#ASMEND
	ds_bpermute_b32 v8, v4, v9
	s_waitcnt lgkmcnt(0)
	v_cmp_eq_f32_e32 vcc, v7, v8
	s_ff1_i32_b64 s18, vcc
	s_cmp_lg_u64 vcc, 0
	s_cselect_b32 s18, s18, 0
	s_and_b64 vcc, exec, s[8:9]
	v_readlane_b32 s18, v6, s18
	s_cbranch_vccz .LBB224_21
; %bb.27:                               ;   in Loop: Header=BB224_22 Depth=1
	s_ashr_i32 s19, s18, 31
	s_lshl_b64 s[20:21], s[18:19], 2
	s_add_u32 s20, s10, s20
	s_addc_u32 s21, s11, s21
	s_load_dword s19, s[20:21], 0x0
	s_waitcnt lgkmcnt(0)
	v_subrev_f32_e32 v8, s19, v8
	s_branch .LBB224_21
.LBB224_28:
	v_mov_b32_e32 v3, 0
	v_mov_b32_e32 v2, 0
.LBB224_29:
	v_cmp_gt_i32_e32 vcc, s17, v0
	s_and_saveexec_b64 s[0:1], vcc
	s_cbranch_execz .LBB224_32
; %bb.30:
	s_load_dword s2, s[4:5], 0x34
	s_load_dwordx2 s[0:1], s[4:5], 0x20
	s_ashr_i32 s3, s6, 31
	s_load_dword s4, s[4:5], 0x44
	v_mov_b32_e32 v4, s13
	s_waitcnt lgkmcnt(0)
	v_mul_f32_e32 v1, s2, v3
	s_mul_i32 s1, s6, s1
	s_mul_hi_u32 s2, s6, s0
	s_add_i32 s1, s2, s1
	s_mul_i32 s3, s3, s0
	s_add_i32 s5, s1, s3
	s_mul_i32 s2, s6, s0
	s_and_b32 s3, s4, 0xffff
	s_mov_b64 s[0:1], 0
	v_mov_b32_e32 v3, s5
	v_mov_b32_e32 v5, s15
.LBB224_31:                             ; =>This Inner Loop Header: Depth=1
	v_ashrrev_i32_e32 v7, 31, v0
	v_add_co_u32_e32 v6, vcc, s2, v0
	v_addc_co_u32_e32 v7, vcc, v3, v7, vcc
	v_add_u32_e32 v0, s3, v0
	v_cmp_le_i32_e32 vcc, s17, v0
	v_lshlrev_b64 v[6:7], 2, v[6:7]
	s_or_b64 s[0:1], vcc, s[0:1]
	v_add_co_u32_e32 v8, vcc, s12, v6
	v_addc_co_u32_e32 v9, vcc, v4, v7, vcc
	v_add_co_u32_e32 v6, vcc, s14, v6
	v_addc_co_u32_e32 v7, vcc, v5, v7, vcc
	global_store_dword v[8:9], v1, off
	global_store_dword v[6:7], v2, off
	s_andn2_b64 exec, exec, s[0:1]
	s_cbranch_execnz .LBB224_31
.LBB224_32:
	s_endpgm
	.section	.rodata,"a",@progbits
	.p2align	6, 0x0
	.amdhsa_kernel _ZN5aiter20topk_softplus_kernelI12hip_bfloat16fDv1_fLb0ELi2EEEvPKT_PKT0_PfPimiiif
		.amdhsa_group_segment_fixed_size 0
		.amdhsa_private_segment_fixed_size 0
		.amdhsa_kernarg_size 312
		.amdhsa_user_sgpr_count 6
		.amdhsa_user_sgpr_private_segment_buffer 1
		.amdhsa_user_sgpr_dispatch_ptr 0
		.amdhsa_user_sgpr_queue_ptr 0
		.amdhsa_user_sgpr_kernarg_segment_ptr 1
		.amdhsa_user_sgpr_dispatch_id 0
		.amdhsa_user_sgpr_flat_scratch_init 0
		.amdhsa_user_sgpr_kernarg_preload_length 0
		.amdhsa_user_sgpr_kernarg_preload_offset 0
		.amdhsa_user_sgpr_private_segment_size 0
		.amdhsa_uses_dynamic_stack 0
		.amdhsa_system_sgpr_private_segment_wavefront_offset 0
		.amdhsa_system_sgpr_workgroup_id_x 1
		.amdhsa_system_sgpr_workgroup_id_y 0
		.amdhsa_system_sgpr_workgroup_id_z 0
		.amdhsa_system_sgpr_workgroup_info 0
		.amdhsa_system_vgpr_workitem_id 0
		.amdhsa_next_free_vgpr 12
		.amdhsa_next_free_sgpr 24
		.amdhsa_accum_offset 12
		.amdhsa_reserve_vcc 1
		.amdhsa_reserve_flat_scratch 0
		.amdhsa_float_round_mode_32 0
		.amdhsa_float_round_mode_16_64 0
		.amdhsa_float_denorm_mode_32 3
		.amdhsa_float_denorm_mode_16_64 3
		.amdhsa_dx10_clamp 1
		.amdhsa_ieee_mode 1
		.amdhsa_fp16_overflow 0
		.amdhsa_tg_split 0
		.amdhsa_exception_fp_ieee_invalid_op 0
		.amdhsa_exception_fp_denorm_src 0
		.amdhsa_exception_fp_ieee_div_zero 0
		.amdhsa_exception_fp_ieee_overflow 0
		.amdhsa_exception_fp_ieee_underflow 0
		.amdhsa_exception_fp_ieee_inexact 0
		.amdhsa_exception_int_div_zero 0
	.end_amdhsa_kernel
	.section	.text._ZN5aiter20topk_softplus_kernelI12hip_bfloat16fDv1_fLb0ELi2EEEvPKT_PKT0_PfPimiiif,"axG",@progbits,_ZN5aiter20topk_softplus_kernelI12hip_bfloat16fDv1_fLb0ELi2EEEvPKT_PKT0_PfPimiiif,comdat
.Lfunc_end224:
	.size	_ZN5aiter20topk_softplus_kernelI12hip_bfloat16fDv1_fLb0ELi2EEEvPKT_PKT0_PfPimiiif, .Lfunc_end224-_ZN5aiter20topk_softplus_kernelI12hip_bfloat16fDv1_fLb0ELi2EEEvPKT_PKT0_PfPimiiif
                                        ; -- End function
	.section	.AMDGPU.csdata,"",@progbits
; Kernel info:
; codeLenInByte = 1564
; NumSgprs: 28
; NumVgprs: 12
; NumAgprs: 0
; TotalNumVgprs: 12
; ScratchSize: 0
; MemoryBound: 0
; FloatMode: 240
; IeeeMode: 1
; LDSByteSize: 0 bytes/workgroup (compile time only)
; SGPRBlocks: 3
; VGPRBlocks: 1
; NumSGPRsForWavesPerEU: 28
; NumVGPRsForWavesPerEU: 12
; AccumOffset: 12
; Occupancy: 8
; WaveLimiterHint : 0
; COMPUTE_PGM_RSRC2:SCRATCH_EN: 0
; COMPUTE_PGM_RSRC2:USER_SGPR: 6
; COMPUTE_PGM_RSRC2:TRAP_HANDLER: 0
; COMPUTE_PGM_RSRC2:TGID_X_EN: 1
; COMPUTE_PGM_RSRC2:TGID_Y_EN: 0
; COMPUTE_PGM_RSRC2:TGID_Z_EN: 0
; COMPUTE_PGM_RSRC2:TIDIG_COMP_CNT: 0
; COMPUTE_PGM_RSRC3_GFX90A:ACCUM_OFFSET: 2
; COMPUTE_PGM_RSRC3_GFX90A:TG_SPLIT: 0
	.section	.text._ZN5aiter24topk_softplus_kernel_optI12hip_bfloat16fLi64ELb1ELi0EEEvPKT_PKT0_PfPimiif,"axG",@progbits,_ZN5aiter24topk_softplus_kernel_optI12hip_bfloat16fLi64ELb1ELi0EEEvPKT_PKT0_PfPimiif,comdat
	.protected	_ZN5aiter24topk_softplus_kernel_optI12hip_bfloat16fLi64ELb1ELi0EEEvPKT_PKT0_PfPimiif ; -- Begin function _ZN5aiter24topk_softplus_kernel_optI12hip_bfloat16fLi64ELb1ELi0EEEvPKT_PKT0_PfPimiif
	.globl	_ZN5aiter24topk_softplus_kernel_optI12hip_bfloat16fLi64ELb1ELi0EEEvPKT_PKT0_PfPimiif
	.p2align	8
	.type	_ZN5aiter24topk_softplus_kernel_optI12hip_bfloat16fLi64ELb1ELi0EEEvPKT_PKT0_PfPimiif,@function
_ZN5aiter24topk_softplus_kernel_optI12hip_bfloat16fLi64ELb1ELi0EEEvPKT_PKT0_PfPimiif: ; @_ZN5aiter24topk_softplus_kernel_optI12hip_bfloat16fLi64ELb1ELi0EEEvPKT_PKT0_PfPimiif
; %bb.0:
	s_load_dwordx4 s[0:3], s[4:5], 0x0
	s_lshl_b32 s8, s6, 6
	s_ashr_i32 s9, s8, 31
	s_lshl_b64 s[8:9], s[8:9], 1
	v_lshlrev_b32_e32 v1, 1, v0
	s_waitcnt lgkmcnt(0)
	s_add_u32 s0, s0, s8
	s_addc_u32 s1, s1, s9
	global_load_ushort v1, v1, s[0:1]
	s_mov_b32 s1, 0xc2fc0000
	v_mov_b32_e32 v2, 0x42800000
	v_mov_b32_e32 v3, 0x1f800000
	s_mov_b32 s0, 0x41a00000
	s_cmp_eq_u64 s[2:3], 0
	s_waitcnt vmcnt(0)
	v_lshlrev_b32_e32 v1, 16, v1
	v_mul_f32_e32 v4, 0x3fb8aa3b, v1
	v_cmp_gt_f32_e32 vcc, s1, v4
	v_cndmask_b32_e32 v2, 0, v2, vcc
	v_fmac_f32_e32 v2, 0x3fb8aa3b, v1
	v_exp_f32_e32 v2, v2
	v_cndmask_b32_e32 v3, 1.0, v3, vcc
	s_mov_b32 s1, 0x800000
	v_mov_b32_e32 v4, 0x4f800000
	v_fma_f32 v2, v2, v3, 1.0
	v_cmp_gt_f32_e32 vcc, s1, v2
	v_cndmask_b32_e32 v3, 1.0, v4, vcc
	v_mul_f32_e32 v2, v2, v3
	v_log_f32_e32 v2, v2
	v_mov_b32_e32 v3, 0x42000000
	v_cndmask_b32_e32 v3, 0, v3, vcc
	v_cmp_lt_f32_e32 vcc, s0, v1
	v_sub_f32_e32 v2, v2, v3
	v_mul_f32_e32 v2, 0x3f317218, v2
	s_mov_b32 s1, 0xf800000
	v_cndmask_b32_e32 v1, v2, v1, vcc
	v_mul_f32_e32 v2, 0x4f800000, v1
	v_cmp_gt_f32_e32 vcc, s1, v1
	v_cndmask_b32_e32 v2, v1, v2, vcc
	v_sqrt_f32_e32 v3, v2
	v_mov_b32_e32 v4, 0x260
	v_mov_b32_e32 v1, 0
	v_add_u32_e32 v5, -1, v3
	v_add_u32_e32 v6, 1, v3
	v_fma_f32 v7, -v5, v3, v2
	v_fma_f32 v8, -v6, v3, v2
	v_cmp_ge_f32_e64 s[0:1], 0, v7
	v_cndmask_b32_e64 v3, v3, v5, s[0:1]
	v_cmp_lt_f32_e64 s[0:1], 0, v8
	v_cndmask_b32_e64 v3, v3, v6, s[0:1]
	v_mul_f32_e32 v5, 0x37800000, v3
	v_cndmask_b32_e32 v3, v3, v5, vcc
	v_cmp_class_f32_e32 vcc, v2, v4
	v_cndmask_b32_e32 v4, v3, v2, vcc
	v_lshlrev_b32_e32 v2, 2, v0
	v_mov_b32_e32 v5, v4
	s_cbranch_scc1 .LBB225_2
; %bb.1:
	global_load_dword v3, v2, s[2:3]
	s_waitcnt vmcnt(0)
	v_add_f32_e32 v5, v4, v3
.LBB225_2:
	s_load_dword s2, s[4:5], 0x28
	s_load_dwordx4 s[8:11], s[4:5], 0x10
	s_mov_b32 s3, 0
	v_mov_b32_e32 v6, 0
	v_mov_b32_e32 v3, 0
	s_waitcnt lgkmcnt(0)
	s_cmp_lt_i32 s2, 1
	s_cbranch_scc1 .LBB225_5
; %bb.3:
	v_mbcnt_lo_u32_b32 v1, -1, 0
	v_mbcnt_hi_u32_b32 v1, -1, v1
	v_bfrev_b32_e32 v3, 0.5
	v_mov_b32_e32 v7, 0
	v_mov_b32_e32 v8, 0xff800000
	v_lshl_or_b32 v9, v1, 2, v3
	v_mov_b32_e32 v6, 0
	v_mov_b32_e32 v1, 0
	;; [unrolled: 1-line block ×3, first 2 shown]
.LBB225_4:                              ; =>This Inner Loop Header: Depth=1
	v_cmp_eq_u32_e32 vcc, 0, v7
	v_cndmask_b32_e32 v10, v8, v5, vcc
	;;#ASMSTART
	v_max_f32 v12, v10, v10 quad_perm:[1,0,3,2] row_mask:0xf bank_mask:0xf bound_ctrl:1
	;;#ASMEND
	;;#ASMSTART
	v_max_f32 v13, v12, v12 quad_perm:[2,3,0,1] row_mask:0xf bank_mask:0xf bound_ctrl:1
	;;#ASMEND
	;;#ASMSTART
	v_max_f32 v12, v13, v13 row_half_mirror row_mask:0xf bank_mask:0xf bound_ctrl:1
	;;#ASMEND
	;;#ASMSTART
	v_max_f32 v13, v12, v12 row_mirror row_mask:0xf bank_mask:0xf bound_ctrl:1
	;;#ASMEND
	;;#ASMSTART
	v_max_f32 v12, v13, v13 row_ror:4 row_mask:0xf bank_mask:0xf bound_ctrl:1
	;;#ASMEND
	;;#ASMSTART
	v_max_f32 v13, v12, v12 row_ror:8 row_mask:0xf bank_mask:0xf bound_ctrl:1
	;;#ASMEND
	;;#ASMSTART
	v_max_f32 v12, v13, v13 row_bcast:15 row_mask:0xf bank_mask:0xf bound_ctrl:1
	;;#ASMEND
	;;#ASMSTART
	v_max_f32 v13, v12, v12 row_bcast:31 row_mask:0xf bank_mask:0xf bound_ctrl:1
	;;#ASMEND
	ds_bpermute_b32 v12, v9, v13
	v_cndmask_b32_e32 v11, 0, v0, vcc
	s_waitcnt lgkmcnt(0)
	v_cmp_eq_f32_e64 s[0:1], v10, v12
	s_ff1_i32_b64 s7, s[0:1]
	s_cmp_lg_u64 s[0:1], 0
	s_cselect_b32 s0, s7, 0
	s_nop 0
	v_readlane_b32 s7, v11, s0
	v_cmp_eq_u32_e64 s[0:1], s7, v0
	s_and_b64 vcc, vcc, s[0:1]
	s_and_b32 s12, s7, 63
	v_cndmask_b32_e32 v11, 0, v4, vcc
	v_addc_co_u32_e32 v7, vcc, 0, v7, vcc
	v_readlane_b32 s0, v11, s12
	v_mov_b32_e32 v10, s7
	v_mov_b32_e32 v11, s0
	v_cmp_eq_u32_e32 vcc, s3, v0
	s_add_i32 s3, s3, 1
	v_add_f32_e32 v6, s0, v6
	v_cndmask_b32_e32 v3, v3, v11, vcc
	s_cmp_eq_u32 s2, s3
	v_cndmask_b32_e32 v1, v1, v10, vcc
	s_cbranch_scc0 .LBB225_4
.LBB225_5:
	v_cmp_gt_i32_e32 vcc, s2, v0
	s_and_saveexec_b64 s[0:1], vcc
	s_cbranch_execz .LBB225_7
; %bb.6:
	s_load_dword s2, s[4:5], 0x30
	v_max_f32_e32 v0, v6, v6
	v_max_f32_e32 v0, 0x1e3ce508, v0
	s_waitcnt lgkmcnt(0)
	v_div_scale_f32 v4, s[0:1], v0, v0, s2
	v_rcp_f32_e32 v5, v4
	v_div_scale_f32 v6, vcc, s2, v0, s2
	s_load_dwordx2 s[0:1], s[4:5], 0x20
	v_fma_f32 v7, -v4, v5, 1.0
	v_fmac_f32_e32 v5, v7, v5
	v_mul_f32_e32 v7, v6, v5
	v_fma_f32 v8, -v4, v7, v6
	v_fmac_f32_e32 v7, v8, v5
	v_fma_f32 v4, -v4, v7, v6
	v_div_fmas_f32 v4, v4, v5, v7
	v_div_fixup_f32 v0, v4, v0, s2
	s_ashr_i32 s2, s6, 31
	s_waitcnt lgkmcnt(0)
	s_mul_i32 s1, s6, s1
	s_mul_hi_u32 s3, s6, s0
	s_add_i32 s1, s3, s1
	s_mul_i32 s2, s2, s0
	s_add_i32 s1, s1, s2
	s_mul_i32 s0, s6, s0
	s_lshl_b64 s[0:1], s[0:1], 2
	s_add_u32 s2, s8, s0
	s_addc_u32 s3, s9, s1
	s_add_u32 s0, s10, s0
	v_mul_f32_e32 v0, v3, v0
	s_addc_u32 s1, s11, s1
	global_store_dword v2, v0, s[2:3]
	global_store_dword v2, v1, s[0:1]
.LBB225_7:
	s_endpgm
	.section	.rodata,"a",@progbits
	.p2align	6, 0x0
	.amdhsa_kernel _ZN5aiter24topk_softplus_kernel_optI12hip_bfloat16fLi64ELb1ELi0EEEvPKT_PKT0_PfPimiif
		.amdhsa_group_segment_fixed_size 0
		.amdhsa_private_segment_fixed_size 0
		.amdhsa_kernarg_size 52
		.amdhsa_user_sgpr_count 6
		.amdhsa_user_sgpr_private_segment_buffer 1
		.amdhsa_user_sgpr_dispatch_ptr 0
		.amdhsa_user_sgpr_queue_ptr 0
		.amdhsa_user_sgpr_kernarg_segment_ptr 1
		.amdhsa_user_sgpr_dispatch_id 0
		.amdhsa_user_sgpr_flat_scratch_init 0
		.amdhsa_user_sgpr_kernarg_preload_length 0
		.amdhsa_user_sgpr_kernarg_preload_offset 0
		.amdhsa_user_sgpr_private_segment_size 0
		.amdhsa_uses_dynamic_stack 0
		.amdhsa_system_sgpr_private_segment_wavefront_offset 0
		.amdhsa_system_sgpr_workgroup_id_x 1
		.amdhsa_system_sgpr_workgroup_id_y 0
		.amdhsa_system_sgpr_workgroup_id_z 0
		.amdhsa_system_sgpr_workgroup_info 0
		.amdhsa_system_vgpr_workitem_id 0
		.amdhsa_next_free_vgpr 14
		.amdhsa_next_free_sgpr 13
		.amdhsa_accum_offset 16
		.amdhsa_reserve_vcc 1
		.amdhsa_reserve_flat_scratch 0
		.amdhsa_float_round_mode_32 0
		.amdhsa_float_round_mode_16_64 0
		.amdhsa_float_denorm_mode_32 3
		.amdhsa_float_denorm_mode_16_64 3
		.amdhsa_dx10_clamp 1
		.amdhsa_ieee_mode 1
		.amdhsa_fp16_overflow 0
		.amdhsa_tg_split 0
		.amdhsa_exception_fp_ieee_invalid_op 0
		.amdhsa_exception_fp_denorm_src 0
		.amdhsa_exception_fp_ieee_div_zero 0
		.amdhsa_exception_fp_ieee_overflow 0
		.amdhsa_exception_fp_ieee_underflow 0
		.amdhsa_exception_fp_ieee_inexact 0
		.amdhsa_exception_int_div_zero 0
	.end_amdhsa_kernel
	.section	.text._ZN5aiter24topk_softplus_kernel_optI12hip_bfloat16fLi64ELb1ELi0EEEvPKT_PKT0_PfPimiif,"axG",@progbits,_ZN5aiter24topk_softplus_kernel_optI12hip_bfloat16fLi64ELb1ELi0EEEvPKT_PKT0_PfPimiif,comdat
.Lfunc_end225:
	.size	_ZN5aiter24topk_softplus_kernel_optI12hip_bfloat16fLi64ELb1ELi0EEEvPKT_PKT0_PfPimiif, .Lfunc_end225-_ZN5aiter24topk_softplus_kernel_optI12hip_bfloat16fLi64ELb1ELi0EEEvPKT_PKT0_PfPimiif
                                        ; -- End function
	.section	.AMDGPU.csdata,"",@progbits
; Kernel info:
; codeLenInByte = 808
; NumSgprs: 17
; NumVgprs: 14
; NumAgprs: 0
; TotalNumVgprs: 14
; ScratchSize: 0
; MemoryBound: 0
; FloatMode: 240
; IeeeMode: 1
; LDSByteSize: 0 bytes/workgroup (compile time only)
; SGPRBlocks: 2
; VGPRBlocks: 1
; NumSGPRsForWavesPerEU: 17
; NumVGPRsForWavesPerEU: 14
; AccumOffset: 16
; Occupancy: 8
; WaveLimiterHint : 0
; COMPUTE_PGM_RSRC2:SCRATCH_EN: 0
; COMPUTE_PGM_RSRC2:USER_SGPR: 6
; COMPUTE_PGM_RSRC2:TRAP_HANDLER: 0
; COMPUTE_PGM_RSRC2:TGID_X_EN: 1
; COMPUTE_PGM_RSRC2:TGID_Y_EN: 0
; COMPUTE_PGM_RSRC2:TGID_Z_EN: 0
; COMPUTE_PGM_RSRC2:TIDIG_COMP_CNT: 0
; COMPUTE_PGM_RSRC3_GFX90A:ACCUM_OFFSET: 3
; COMPUTE_PGM_RSRC3_GFX90A:TG_SPLIT: 0
	.section	.text._ZN5aiter24topk_softplus_kernel_optI12hip_bfloat16fLi64ELb0ELi0EEEvPKT_PKT0_PfPimiif,"axG",@progbits,_ZN5aiter24topk_softplus_kernel_optI12hip_bfloat16fLi64ELb0ELi0EEEvPKT_PKT0_PfPimiif,comdat
	.protected	_ZN5aiter24topk_softplus_kernel_optI12hip_bfloat16fLi64ELb0ELi0EEEvPKT_PKT0_PfPimiif ; -- Begin function _ZN5aiter24topk_softplus_kernel_optI12hip_bfloat16fLi64ELb0ELi0EEEvPKT_PKT0_PfPimiif
	.globl	_ZN5aiter24topk_softplus_kernel_optI12hip_bfloat16fLi64ELb0ELi0EEEvPKT_PKT0_PfPimiif
	.p2align	8
	.type	_ZN5aiter24topk_softplus_kernel_optI12hip_bfloat16fLi64ELb0ELi0EEEvPKT_PKT0_PfPimiif,@function
_ZN5aiter24topk_softplus_kernel_optI12hip_bfloat16fLi64ELb0ELi0EEEvPKT_PKT0_PfPimiif: ; @_ZN5aiter24topk_softplus_kernel_optI12hip_bfloat16fLi64ELb0ELi0EEEvPKT_PKT0_PfPimiif
; %bb.0:
	s_load_dwordx4 s[0:3], s[4:5], 0x0
	s_lshl_b32 s8, s6, 6
	s_ashr_i32 s9, s8, 31
	s_lshl_b64 s[8:9], s[8:9], 1
	v_lshlrev_b32_e32 v1, 1, v0
	s_waitcnt lgkmcnt(0)
	s_add_u32 s0, s0, s8
	s_addc_u32 s1, s1, s9
	global_load_ushort v1, v1, s[0:1]
	s_mov_b32 s1, 0xc2fc0000
	v_mov_b32_e32 v2, 0x42800000
	v_mov_b32_e32 v3, 0x1f800000
	s_mov_b32 s0, 0x41a00000
	s_cmp_eq_u64 s[2:3], 0
	s_waitcnt vmcnt(0)
	v_lshlrev_b32_e32 v1, 16, v1
	v_mul_f32_e32 v4, 0x3fb8aa3b, v1
	v_cmp_gt_f32_e32 vcc, s1, v4
	v_cndmask_b32_e32 v2, 0, v2, vcc
	v_fmac_f32_e32 v2, 0x3fb8aa3b, v1
	v_exp_f32_e32 v2, v2
	v_cndmask_b32_e32 v3, 1.0, v3, vcc
	s_mov_b32 s1, 0x800000
	v_mov_b32_e32 v4, 0x4f800000
	v_fma_f32 v2, v2, v3, 1.0
	v_cmp_gt_f32_e32 vcc, s1, v2
	v_cndmask_b32_e32 v3, 1.0, v4, vcc
	v_mul_f32_e32 v2, v2, v3
	v_log_f32_e32 v2, v2
	v_mov_b32_e32 v3, 0x42000000
	v_cndmask_b32_e32 v3, 0, v3, vcc
	v_cmp_lt_f32_e32 vcc, s0, v1
	v_sub_f32_e32 v2, v2, v3
	v_mul_f32_e32 v2, 0x3f317218, v2
	s_mov_b32 s1, 0xf800000
	v_cndmask_b32_e32 v1, v2, v1, vcc
	v_mul_f32_e32 v2, 0x4f800000, v1
	v_cmp_gt_f32_e32 vcc, s1, v1
	v_cndmask_b32_e32 v2, v1, v2, vcc
	v_sqrt_f32_e32 v3, v2
	v_mov_b32_e32 v4, 0x260
	v_mov_b32_e32 v1, 0
	v_add_u32_e32 v5, -1, v3
	v_add_u32_e32 v6, 1, v3
	v_fma_f32 v7, -v5, v3, v2
	v_fma_f32 v8, -v6, v3, v2
	v_cmp_ge_f32_e64 s[0:1], 0, v7
	v_cndmask_b32_e64 v3, v3, v5, s[0:1]
	v_cmp_lt_f32_e64 s[0:1], 0, v8
	v_cndmask_b32_e64 v3, v3, v6, s[0:1]
	v_mul_f32_e32 v5, 0x37800000, v3
	v_cndmask_b32_e32 v3, v3, v5, vcc
	v_cmp_class_f32_e32 vcc, v2, v4
	v_cndmask_b32_e32 v4, v3, v2, vcc
	v_lshlrev_b32_e32 v2, 2, v0
	v_mov_b32_e32 v5, v4
	s_cbranch_scc1 .LBB226_2
; %bb.1:
	global_load_dword v3, v2, s[2:3]
	s_waitcnt vmcnt(0)
	v_add_f32_e32 v5, v4, v3
.LBB226_2:
	s_load_dword s2, s[4:5], 0x28
	s_load_dwordx4 s[8:11], s[4:5], 0x10
	s_waitcnt lgkmcnt(0)
	s_cmp_lt_i32 s2, 1
	s_cbranch_scc1 .LBB226_8
; %bb.3:
	v_mbcnt_lo_u32_b32 v1, -1, 0
	v_mbcnt_hi_u32_b32 v1, -1, v1
	v_bfrev_b32_e32 v8, 0.5
	s_mov_b32 s3, 0
	v_mov_b32_e32 v6, 0
	v_mov_b32_e32 v3, 0
	;; [unrolled: 1-line block ×3, first 2 shown]
	v_lshl_or_b32 v8, v1, 2, v8
	v_mov_b32_e32 v1, 0
.LBB226_4:                              ; =>This Inner Loop Header: Depth=1
	v_cmp_eq_u32_e32 vcc, 0, v6
	v_cndmask_b32_e32 v9, v7, v5, vcc
	;;#ASMSTART
	v_max_f32 v11, v9, v9 quad_perm:[1,0,3,2] row_mask:0xf bank_mask:0xf bound_ctrl:1
	;;#ASMEND
	;;#ASMSTART
	v_max_f32 v12, v11, v11 quad_perm:[2,3,0,1] row_mask:0xf bank_mask:0xf bound_ctrl:1
	;;#ASMEND
	;;#ASMSTART
	v_max_f32 v11, v12, v12 row_half_mirror row_mask:0xf bank_mask:0xf bound_ctrl:1
	;;#ASMEND
	;;#ASMSTART
	v_max_f32 v12, v11, v11 row_mirror row_mask:0xf bank_mask:0xf bound_ctrl:1
	;;#ASMEND
	;;#ASMSTART
	v_max_f32 v11, v12, v12 row_ror:4 row_mask:0xf bank_mask:0xf bound_ctrl:1
	;;#ASMEND
	;;#ASMSTART
	v_max_f32 v12, v11, v11 row_ror:8 row_mask:0xf bank_mask:0xf bound_ctrl:1
	;;#ASMEND
	;;#ASMSTART
	v_max_f32 v11, v12, v12 row_bcast:15 row_mask:0xf bank_mask:0xf bound_ctrl:1
	;;#ASMEND
	;;#ASMSTART
	v_max_f32 v12, v11, v11 row_bcast:31 row_mask:0xf bank_mask:0xf bound_ctrl:1
	;;#ASMEND
	ds_bpermute_b32 v11, v8, v12
	v_cndmask_b32_e32 v10, 0, v0, vcc
	s_waitcnt lgkmcnt(0)
	v_cmp_eq_f32_e64 s[0:1], v9, v11
	s_ff1_i32_b64 s7, s[0:1]
	s_cmp_lg_u64 s[0:1], 0
	s_cselect_b32 s0, s7, 0
	s_nop 0
	v_readlane_b32 s7, v10, s0
	v_cmp_eq_u32_e64 s[0:1], s7, v0
	s_and_b64 vcc, vcc, s[0:1]
	s_and_b32 s12, s7, 63
	v_cndmask_b32_e32 v10, 0, v4, vcc
	v_addc_co_u32_e32 v6, vcc, 0, v6, vcc
	v_readlane_b32 s0, v10, s12
	v_mov_b32_e32 v9, s7
	v_mov_b32_e32 v10, s0
	v_cmp_eq_u32_e32 vcc, s3, v0
	s_add_i32 s3, s3, 1
	v_cndmask_b32_e32 v3, v3, v10, vcc
	s_cmp_eq_u32 s2, s3
	v_cndmask_b32_e32 v1, v1, v9, vcc
	s_cbranch_scc0 .LBB226_4
; %bb.5:
	v_cmp_gt_i32_e32 vcc, s2, v0
	s_and_saveexec_b64 s[0:1], vcc
	s_cbranch_execz .LBB226_7
.LBB226_6:
	s_load_dword s2, s[4:5], 0x30
	s_load_dwordx2 s[0:1], s[4:5], 0x20
	s_ashr_i32 s3, s6, 31
	s_waitcnt lgkmcnt(0)
	v_mul_f32_e32 v0, s2, v3
	s_mul_i32 s1, s6, s1
	s_mul_hi_u32 s2, s6, s0
	s_add_i32 s1, s2, s1
	s_mul_i32 s3, s3, s0
	s_add_i32 s1, s1, s3
	s_mul_i32 s0, s6, s0
	s_lshl_b64 s[0:1], s[0:1], 2
	s_add_u32 s2, s8, s0
	s_addc_u32 s3, s9, s1
	s_add_u32 s0, s10, s0
	s_addc_u32 s1, s11, s1
	global_store_dword v2, v0, s[2:3]
	global_store_dword v2, v1, s[0:1]
.LBB226_7:
	s_endpgm
.LBB226_8:
	v_mov_b32_e32 v3, 0
	v_cmp_gt_i32_e32 vcc, s2, v0
	s_and_saveexec_b64 s[0:1], vcc
	s_cbranch_execnz .LBB226_6
	s_branch .LBB226_7
	.section	.rodata,"a",@progbits
	.p2align	6, 0x0
	.amdhsa_kernel _ZN5aiter24topk_softplus_kernel_optI12hip_bfloat16fLi64ELb0ELi0EEEvPKT_PKT0_PfPimiif
		.amdhsa_group_segment_fixed_size 0
		.amdhsa_private_segment_fixed_size 0
		.amdhsa_kernarg_size 52
		.amdhsa_user_sgpr_count 6
		.amdhsa_user_sgpr_private_segment_buffer 1
		.amdhsa_user_sgpr_dispatch_ptr 0
		.amdhsa_user_sgpr_queue_ptr 0
		.amdhsa_user_sgpr_kernarg_segment_ptr 1
		.amdhsa_user_sgpr_dispatch_id 0
		.amdhsa_user_sgpr_flat_scratch_init 0
		.amdhsa_user_sgpr_kernarg_preload_length 0
		.amdhsa_user_sgpr_kernarg_preload_offset 0
		.amdhsa_user_sgpr_private_segment_size 0
		.amdhsa_uses_dynamic_stack 0
		.amdhsa_system_sgpr_private_segment_wavefront_offset 0
		.amdhsa_system_sgpr_workgroup_id_x 1
		.amdhsa_system_sgpr_workgroup_id_y 0
		.amdhsa_system_sgpr_workgroup_id_z 0
		.amdhsa_system_sgpr_workgroup_info 0
		.amdhsa_system_vgpr_workitem_id 0
		.amdhsa_next_free_vgpr 13
		.amdhsa_next_free_sgpr 13
		.amdhsa_accum_offset 16
		.amdhsa_reserve_vcc 1
		.amdhsa_reserve_flat_scratch 0
		.amdhsa_float_round_mode_32 0
		.amdhsa_float_round_mode_16_64 0
		.amdhsa_float_denorm_mode_32 3
		.amdhsa_float_denorm_mode_16_64 3
		.amdhsa_dx10_clamp 1
		.amdhsa_ieee_mode 1
		.amdhsa_fp16_overflow 0
		.amdhsa_tg_split 0
		.amdhsa_exception_fp_ieee_invalid_op 0
		.amdhsa_exception_fp_denorm_src 0
		.amdhsa_exception_fp_ieee_div_zero 0
		.amdhsa_exception_fp_ieee_overflow 0
		.amdhsa_exception_fp_ieee_underflow 0
		.amdhsa_exception_fp_ieee_inexact 0
		.amdhsa_exception_int_div_zero 0
	.end_amdhsa_kernel
	.section	.text._ZN5aiter24topk_softplus_kernel_optI12hip_bfloat16fLi64ELb0ELi0EEEvPKT_PKT0_PfPimiif,"axG",@progbits,_ZN5aiter24topk_softplus_kernel_optI12hip_bfloat16fLi64ELb0ELi0EEEvPKT_PKT0_PfPimiif,comdat
.Lfunc_end226:
	.size	_ZN5aiter24topk_softplus_kernel_optI12hip_bfloat16fLi64ELb0ELi0EEEvPKT_PKT0_PfPimiif, .Lfunc_end226-_ZN5aiter24topk_softplus_kernel_optI12hip_bfloat16fLi64ELb0ELi0EEEvPKT_PKT0_PfPimiif
                                        ; -- End function
	.section	.AMDGPU.csdata,"",@progbits
; Kernel info:
; codeLenInByte = 724
; NumSgprs: 17
; NumVgprs: 13
; NumAgprs: 0
; TotalNumVgprs: 13
; ScratchSize: 0
; MemoryBound: 0
; FloatMode: 240
; IeeeMode: 1
; LDSByteSize: 0 bytes/workgroup (compile time only)
; SGPRBlocks: 2
; VGPRBlocks: 1
; NumSGPRsForWavesPerEU: 17
; NumVGPRsForWavesPerEU: 13
; AccumOffset: 16
; Occupancy: 8
; WaveLimiterHint : 0
; COMPUTE_PGM_RSRC2:SCRATCH_EN: 0
; COMPUTE_PGM_RSRC2:USER_SGPR: 6
; COMPUTE_PGM_RSRC2:TRAP_HANDLER: 0
; COMPUTE_PGM_RSRC2:TGID_X_EN: 1
; COMPUTE_PGM_RSRC2:TGID_Y_EN: 0
; COMPUTE_PGM_RSRC2:TGID_Z_EN: 0
; COMPUTE_PGM_RSRC2:TIDIG_COMP_CNT: 0
; COMPUTE_PGM_RSRC3_GFX90A:ACCUM_OFFSET: 3
; COMPUTE_PGM_RSRC3_GFX90A:TG_SPLIT: 0
	.section	.text._ZN5aiter24topk_softplus_kernel_optI12hip_bfloat16fLi128ELb1ELi0EEEvPKT_PKT0_PfPimiif,"axG",@progbits,_ZN5aiter24topk_softplus_kernel_optI12hip_bfloat16fLi128ELb1ELi0EEEvPKT_PKT0_PfPimiif,comdat
	.protected	_ZN5aiter24topk_softplus_kernel_optI12hip_bfloat16fLi128ELb1ELi0EEEvPKT_PKT0_PfPimiif ; -- Begin function _ZN5aiter24topk_softplus_kernel_optI12hip_bfloat16fLi128ELb1ELi0EEEvPKT_PKT0_PfPimiif
	.globl	_ZN5aiter24topk_softplus_kernel_optI12hip_bfloat16fLi128ELb1ELi0EEEvPKT_PKT0_PfPimiif
	.p2align	8
	.type	_ZN5aiter24topk_softplus_kernel_optI12hip_bfloat16fLi128ELb1ELi0EEEvPKT_PKT0_PfPimiif,@function
_ZN5aiter24topk_softplus_kernel_optI12hip_bfloat16fLi128ELb1ELi0EEEvPKT_PKT0_PfPimiif: ; @_ZN5aiter24topk_softplus_kernel_optI12hip_bfloat16fLi128ELb1ELi0EEEvPKT_PKT0_PfPimiif
; %bb.0:
	s_load_dwordx4 s[8:11], s[4:5], 0x0
	s_lshl_b32 s0, s6, 7
	s_ashr_i32 s1, s0, 31
	s_lshl_b64 s[0:1], s[0:1], 1
	v_lshlrev_b32_e32 v2, 1, v0
	s_waitcnt lgkmcnt(0)
	s_add_u32 s0, s8, s0
	s_addc_u32 s1, s9, s1
	global_load_ushort v3, v2, s[0:1]
	s_mov_b32 s12, 0xc2fc0000
	v_mov_b32_e32 v4, 0x42800000
	v_mov_b32_e32 v5, 0x1f800000
	s_mov_b32 s13, 0x800000
	v_mov_b32_e32 v8, 0x4f800000
	v_mov_b32_e32 v9, 0x42000000
	s_mov_b32 s7, 0x41a00000
	s_mov_b32 s14, 0xf800000
	v_mov_b32_e32 v1, 0x260
	s_cmp_lg_u64 s[10:11], 0
	s_cselect_b64 s[8:9], -1, 0
	v_lshlrev_b32_e32 v7, 2, v0
	s_waitcnt vmcnt(0)
	v_lshlrev_b32_e32 v3, 16, v3
	v_mul_f32_e32 v6, 0x3fb8aa3b, v3
	v_cmp_gt_f32_e32 vcc, s12, v6
	v_cndmask_b32_e32 v6, 0, v4, vcc
	v_fmac_f32_e32 v6, 0x3fb8aa3b, v3
	v_exp_f32_e32 v6, v6
	v_cndmask_b32_e32 v10, 1.0, v5, vcc
	v_fma_f32 v6, v6, v10, 1.0
	v_cmp_gt_f32_e32 vcc, s13, v6
	v_cndmask_b32_e32 v10, 1.0, v8, vcc
	v_mul_f32_e32 v6, v6, v10
	v_log_f32_e32 v6, v6
	v_cndmask_b32_e32 v11, 0, v9, vcc
	v_cmp_lt_f32_e32 vcc, s7, v3
	v_mov_b32_e32 v10, s1
	v_sub_f32_e32 v6, v6, v11
	v_mul_f32_e32 v6, 0x3f317218, v6
	v_cndmask_b32_e32 v3, v6, v3, vcc
	v_mul_f32_e32 v6, 0x4f800000, v3
	v_cmp_gt_f32_e32 vcc, s14, v3
	v_cndmask_b32_e32 v6, v3, v6, vcc
	v_sqrt_f32_e32 v11, v6
	v_add_co_u32_e64 v2, s[0:1], s0, v2
	v_addc_co_u32_e64 v3, s[0:1], 0, v10, s[0:1]
	v_add_u32_e32 v10, -1, v11
	v_add_u32_e32 v12, 1, v11
	v_fma_f32 v13, -v10, v11, v6
	v_fma_f32 v14, -v12, v11, v6
	v_cmp_ge_f32_e64 s[2:3], 0, v13
	v_cndmask_b32_e64 v10, v11, v10, s[2:3]
	v_cmp_lt_f32_e64 s[2:3], 0, v14
	v_cndmask_b32_e64 v10, v10, v12, s[2:3]
	v_mul_f32_e32 v11, 0x37800000, v10
	v_cndmask_b32_e32 v10, v10, v11, vcc
	v_cmp_class_f32_e32 vcc, v6, v1
	s_and_b64 s[0:1], exec, s[8:9]
	v_cndmask_b32_e32 v6, v10, v6, vcc
	v_mov_b32_e32 v11, v6
	s_mov_b64 vcc, s[0:1]
	s_cbranch_vccz .LBB227_2
; %bb.1:
	global_load_dword v10, v7, s[10:11]
	s_waitcnt vmcnt(0)
	v_add_f32_e32 v11, v6, v10
.LBB227_2:
	global_load_ushort v2, v[2:3], off offset:128
	s_waitcnt vmcnt(0)
	v_lshlrev_b32_e32 v2, 16, v2
	v_mul_f32_e32 v3, 0x3fb8aa3b, v2
	v_cmp_gt_f32_e32 vcc, s12, v3
	v_cndmask_b32_e32 v3, 0, v4, vcc
	v_fmac_f32_e32 v3, 0x3fb8aa3b, v2
	v_exp_f32_e32 v3, v3
	v_cndmask_b32_e32 v4, 1.0, v5, vcc
	v_fma_f32 v3, v3, v4, 1.0
	v_cmp_gt_f32_e32 vcc, s13, v3
	v_cndmask_b32_e32 v4, 1.0, v8, vcc
	v_mul_f32_e32 v3, v3, v4
	v_log_f32_e32 v3, v3
	v_cndmask_b32_e32 v4, 0, v9, vcc
	v_cmp_lt_f32_e32 vcc, s7, v2
	v_sub_f32_e32 v3, v3, v4
	v_mul_f32_e32 v3, 0x3f317218, v3
	v_cndmask_b32_e32 v2, v3, v2, vcc
	v_mul_f32_e32 v3, 0x4f800000, v2
	v_cmp_gt_f32_e32 vcc, s14, v2
	v_cndmask_b32_e32 v2, v2, v3, vcc
	v_sqrt_f32_e32 v3, v2
	v_add_u32_e32 v4, -1, v3
	v_add_u32_e32 v5, 1, v3
	v_fma_f32 v8, -v4, v3, v2
	v_fma_f32 v9, -v5, v3, v2
	v_cmp_ge_f32_e64 s[0:1], 0, v8
	v_cndmask_b32_e64 v3, v3, v4, s[0:1]
	v_cmp_lt_f32_e64 s[0:1], 0, v9
	v_cndmask_b32_e64 v3, v3, v5, s[0:1]
	v_mul_f32_e32 v4, 0x37800000, v3
	v_cndmask_b32_e32 v3, v3, v4, vcc
	v_cmp_class_f32_e32 vcc, v2, v1
	v_cndmask_b32_e32 v12, v3, v2, vcc
	s_andn2_b64 vcc, exec, s[8:9]
	v_mov_b32_e32 v4, v12
	s_cbranch_vccnz .LBB227_4
; %bb.3:
	global_load_dword v1, v7, s[10:11] offset:256
	s_waitcnt vmcnt(0)
	v_add_f32_e32 v4, v12, v1
.LBB227_4:
	s_load_dword s2, s[4:5], 0x28
	s_load_dwordx4 s[8:11], s[4:5], 0x10
	v_mov_b32_e32 v10, 0
	v_mov_b32_e32 v8, 0
	;; [unrolled: 1-line block ×3, first 2 shown]
	s_waitcnt lgkmcnt(0)
	s_cmp_gt_i32 s2, 0
	s_cbranch_scc0 .LBB227_7
; %bb.5:
	v_mbcnt_lo_u32_b32 v8, -1, 0
	v_add_u32_e32 v2, 64, v0
	v_cmp_lt_f32_e32 vcc, v11, v4
	v_mbcnt_hi_u32_b32 v8, -1, v8
	v_bfrev_b32_e32 v9, 0.5
	v_cndmask_b32_e32 v1, v2, v0, vcc
	v_cndmask_b32_e32 v2, v0, v2, vcc
	;; [unrolled: 1-line block ×6, first 2 shown]
	v_mov_b32_e32 v10, 0
	v_mov_b32_e32 v11, 0
	;; [unrolled: 1-line block ×3, first 2 shown]
	v_lshl_or_b32 v13, v8, 2, v9
	v_mov_b32_e32 v14, v0
	s_mov_b32 s3, s2
	v_mov_b32_e32 v8, 0
	v_mov_b32_e32 v9, 0
.LBB227_6:                              ; =>This Inner Loop Header: Depth=1
	v_cmp_eq_u32_e32 vcc, 1, v11
	v_cndmask_b32_e32 v15, v4, v3, vcc
	v_cmp_gt_u32_e64 s[0:1], 2, v11
	v_cndmask_b32_e64 v15, v12, v15, s[0:1]
	;;#ASMSTART
	v_max_f32 v19, v15, v15 quad_perm:[1,0,3,2] row_mask:0xf bank_mask:0xf bound_ctrl:1
	;;#ASMEND
	;;#ASMSTART
	v_max_f32 v20, v19, v19 quad_perm:[2,3,0,1] row_mask:0xf bank_mask:0xf bound_ctrl:1
	;;#ASMEND
	;;#ASMSTART
	v_max_f32 v19, v20, v20 row_half_mirror row_mask:0xf bank_mask:0xf bound_ctrl:1
	;;#ASMEND
	;;#ASMSTART
	v_max_f32 v20, v19, v19 row_mirror row_mask:0xf bank_mask:0xf bound_ctrl:1
	;;#ASMEND
	;;#ASMSTART
	v_max_f32 v19, v20, v20 row_ror:4 row_mask:0xf bank_mask:0xf bound_ctrl:1
	;;#ASMEND
	;;#ASMSTART
	v_max_f32 v20, v19, v19 row_ror:8 row_mask:0xf bank_mask:0xf bound_ctrl:1
	;;#ASMEND
	;;#ASMSTART
	v_max_f32 v19, v20, v20 row_bcast:15 row_mask:0xf bank_mask:0xf bound_ctrl:1
	;;#ASMEND
	;;#ASMSTART
	v_max_f32 v20, v19, v19 row_bcast:31 row_mask:0xf bank_mask:0xf bound_ctrl:1
	;;#ASMEND
	ds_bpermute_b32 v19, v13, v20
	v_cndmask_b32_e32 v16, v2, v1, vcc
	v_cndmask_b32_e32 v17, v6, v5, vcc
	v_cndmask_b32_e64 v18, 0, v16, s[0:1]
	s_waitcnt lgkmcnt(0)
	v_cmp_eq_f32_e32 vcc, v15, v19
	s_ff1_i32_b64 s7, vcc
	s_cmp_lg_u64 vcc, 0
	s_cselect_b32 s7, s7, 0
	v_readlane_b32 s7, v18, s7
	v_cmp_eq_u32_e32 vcc, s7, v16
	s_and_b64 vcc, s[0:1], vcc
	s_and_b32 s12, s7, 63
	v_cndmask_b32_e32 v16, 0, v17, vcc
	v_addc_co_u32_e32 v11, vcc, 0, v11, vcc
	v_readlane_b32 s0, v16, s12
	s_add_i32 s3, s3, -1
	v_mov_b32_e32 v15, s7
	v_mov_b32_e32 v16, s0
	v_cmp_eq_u32_e32 vcc, 0, v14
	s_cmp_eq_u32 s3, 0
	v_add_f32_e32 v10, s0, v10
	v_add_u32_e32 v14, -1, v14
	v_cndmask_b32_e32 v9, v9, v16, vcc
	v_cndmask_b32_e32 v8, v8, v15, vcc
	s_cbranch_scc0 .LBB227_6
.LBB227_7:
	v_cmp_gt_i32_e32 vcc, s2, v0
	s_and_saveexec_b64 s[0:1], vcc
	s_cbranch_execz .LBB227_9
; %bb.8:
	s_load_dword s2, s[4:5], 0x30
	v_max_f32_e32 v0, v10, v10
	v_max_f32_e32 v0, 0x1e3ce508, v0
	s_waitcnt lgkmcnt(0)
	v_div_scale_f32 v1, s[0:1], v0, v0, s2
	v_rcp_f32_e32 v2, v1
	v_div_scale_f32 v3, vcc, s2, v0, s2
	s_load_dwordx2 s[0:1], s[4:5], 0x20
	v_fma_f32 v4, -v1, v2, 1.0
	v_fmac_f32_e32 v2, v4, v2
	v_mul_f32_e32 v4, v3, v2
	v_fma_f32 v5, -v1, v4, v3
	v_fmac_f32_e32 v4, v5, v2
	v_fma_f32 v1, -v1, v4, v3
	v_div_fmas_f32 v1, v1, v2, v4
	v_div_fixup_f32 v0, v1, v0, s2
	s_ashr_i32 s2, s6, 31
	s_waitcnt lgkmcnt(0)
	s_mul_i32 s1, s6, s1
	s_mul_hi_u32 s3, s6, s0
	s_add_i32 s1, s3, s1
	s_mul_i32 s2, s2, s0
	s_add_i32 s1, s1, s2
	s_mul_i32 s0, s6, s0
	s_lshl_b64 s[0:1], s[0:1], 2
	s_add_u32 s2, s8, s0
	s_addc_u32 s3, s9, s1
	s_add_u32 s0, s10, s0
	v_mul_f32_e32 v0, v9, v0
	s_addc_u32 s1, s11, s1
	global_store_dword v7, v0, s[2:3]
	global_store_dword v7, v8, s[0:1]
.LBB227_9:
	s_endpgm
	.section	.rodata,"a",@progbits
	.p2align	6, 0x0
	.amdhsa_kernel _ZN5aiter24topk_softplus_kernel_optI12hip_bfloat16fLi128ELb1ELi0EEEvPKT_PKT0_PfPimiif
		.amdhsa_group_segment_fixed_size 0
		.amdhsa_private_segment_fixed_size 0
		.amdhsa_kernarg_size 52
		.amdhsa_user_sgpr_count 6
		.amdhsa_user_sgpr_private_segment_buffer 1
		.amdhsa_user_sgpr_dispatch_ptr 0
		.amdhsa_user_sgpr_queue_ptr 0
		.amdhsa_user_sgpr_kernarg_segment_ptr 1
		.amdhsa_user_sgpr_dispatch_id 0
		.amdhsa_user_sgpr_flat_scratch_init 0
		.amdhsa_user_sgpr_kernarg_preload_length 0
		.amdhsa_user_sgpr_kernarg_preload_offset 0
		.amdhsa_user_sgpr_private_segment_size 0
		.amdhsa_uses_dynamic_stack 0
		.amdhsa_system_sgpr_private_segment_wavefront_offset 0
		.amdhsa_system_sgpr_workgroup_id_x 1
		.amdhsa_system_sgpr_workgroup_id_y 0
		.amdhsa_system_sgpr_workgroup_id_z 0
		.amdhsa_system_sgpr_workgroup_info 0
		.amdhsa_system_vgpr_workitem_id 0
		.amdhsa_next_free_vgpr 21
		.amdhsa_next_free_sgpr 15
		.amdhsa_accum_offset 24
		.amdhsa_reserve_vcc 1
		.amdhsa_reserve_flat_scratch 0
		.amdhsa_float_round_mode_32 0
		.amdhsa_float_round_mode_16_64 0
		.amdhsa_float_denorm_mode_32 3
		.amdhsa_float_denorm_mode_16_64 3
		.amdhsa_dx10_clamp 1
		.amdhsa_ieee_mode 1
		.amdhsa_fp16_overflow 0
		.amdhsa_tg_split 0
		.amdhsa_exception_fp_ieee_invalid_op 0
		.amdhsa_exception_fp_denorm_src 0
		.amdhsa_exception_fp_ieee_div_zero 0
		.amdhsa_exception_fp_ieee_overflow 0
		.amdhsa_exception_fp_ieee_underflow 0
		.amdhsa_exception_fp_ieee_inexact 0
		.amdhsa_exception_int_div_zero 0
	.end_amdhsa_kernel
	.section	.text._ZN5aiter24topk_softplus_kernel_optI12hip_bfloat16fLi128ELb1ELi0EEEvPKT_PKT0_PfPimiif,"axG",@progbits,_ZN5aiter24topk_softplus_kernel_optI12hip_bfloat16fLi128ELb1ELi0EEEvPKT_PKT0_PfPimiif,comdat
.Lfunc_end227:
	.size	_ZN5aiter24topk_softplus_kernel_optI12hip_bfloat16fLi128ELb1ELi0EEEvPKT_PKT0_PfPimiif, .Lfunc_end227-_ZN5aiter24topk_softplus_kernel_optI12hip_bfloat16fLi128ELb1ELi0EEEvPKT_PKT0_PfPimiif
                                        ; -- End function
	.section	.AMDGPU.csdata,"",@progbits
; Kernel info:
; codeLenInByte = 1116
; NumSgprs: 19
; NumVgprs: 21
; NumAgprs: 0
; TotalNumVgprs: 21
; ScratchSize: 0
; MemoryBound: 0
; FloatMode: 240
; IeeeMode: 1
; LDSByteSize: 0 bytes/workgroup (compile time only)
; SGPRBlocks: 2
; VGPRBlocks: 2
; NumSGPRsForWavesPerEU: 19
; NumVGPRsForWavesPerEU: 21
; AccumOffset: 24
; Occupancy: 8
; WaveLimiterHint : 0
; COMPUTE_PGM_RSRC2:SCRATCH_EN: 0
; COMPUTE_PGM_RSRC2:USER_SGPR: 6
; COMPUTE_PGM_RSRC2:TRAP_HANDLER: 0
; COMPUTE_PGM_RSRC2:TGID_X_EN: 1
; COMPUTE_PGM_RSRC2:TGID_Y_EN: 0
; COMPUTE_PGM_RSRC2:TGID_Z_EN: 0
; COMPUTE_PGM_RSRC2:TIDIG_COMP_CNT: 0
; COMPUTE_PGM_RSRC3_GFX90A:ACCUM_OFFSET: 5
; COMPUTE_PGM_RSRC3_GFX90A:TG_SPLIT: 0
	.section	.text._ZN5aiter24topk_softplus_kernel_optI12hip_bfloat16fLi128ELb0ELi0EEEvPKT_PKT0_PfPimiif,"axG",@progbits,_ZN5aiter24topk_softplus_kernel_optI12hip_bfloat16fLi128ELb0ELi0EEEvPKT_PKT0_PfPimiif,comdat
	.protected	_ZN5aiter24topk_softplus_kernel_optI12hip_bfloat16fLi128ELb0ELi0EEEvPKT_PKT0_PfPimiif ; -- Begin function _ZN5aiter24topk_softplus_kernel_optI12hip_bfloat16fLi128ELb0ELi0EEEvPKT_PKT0_PfPimiif
	.globl	_ZN5aiter24topk_softplus_kernel_optI12hip_bfloat16fLi128ELb0ELi0EEEvPKT_PKT0_PfPimiif
	.p2align	8
	.type	_ZN5aiter24topk_softplus_kernel_optI12hip_bfloat16fLi128ELb0ELi0EEEvPKT_PKT0_PfPimiif,@function
_ZN5aiter24topk_softplus_kernel_optI12hip_bfloat16fLi128ELb0ELi0EEEvPKT_PKT0_PfPimiif: ; @_ZN5aiter24topk_softplus_kernel_optI12hip_bfloat16fLi128ELb0ELi0EEEvPKT_PKT0_PfPimiif
; %bb.0:
	s_load_dwordx4 s[8:11], s[4:5], 0x0
	s_lshl_b32 s0, s6, 7
	s_ashr_i32 s1, s0, 31
	s_lshl_b64 s[0:1], s[0:1], 1
	v_lshlrev_b32_e32 v2, 1, v0
	s_waitcnt lgkmcnt(0)
	s_add_u32 s0, s8, s0
	s_addc_u32 s1, s9, s1
	global_load_ushort v3, v2, s[0:1]
	s_mov_b32 s12, 0xc2fc0000
	v_mov_b32_e32 v4, 0x42800000
	v_mov_b32_e32 v5, 0x1f800000
	s_mov_b32 s13, 0x800000
	v_mov_b32_e32 v8, 0x4f800000
	v_mov_b32_e32 v9, 0x42000000
	s_mov_b32 s7, 0x41a00000
	s_mov_b32 s14, 0xf800000
	v_mov_b32_e32 v1, 0x260
	s_cmp_lg_u64 s[10:11], 0
	s_cselect_b64 s[8:9], -1, 0
	v_lshlrev_b32_e32 v7, 2, v0
	s_waitcnt vmcnt(0)
	v_lshlrev_b32_e32 v3, 16, v3
	v_mul_f32_e32 v6, 0x3fb8aa3b, v3
	v_cmp_gt_f32_e32 vcc, s12, v6
	v_cndmask_b32_e32 v6, 0, v4, vcc
	v_fmac_f32_e32 v6, 0x3fb8aa3b, v3
	v_exp_f32_e32 v6, v6
	v_cndmask_b32_e32 v10, 1.0, v5, vcc
	v_fma_f32 v6, v6, v10, 1.0
	v_cmp_gt_f32_e32 vcc, s13, v6
	v_cndmask_b32_e32 v10, 1.0, v8, vcc
	v_mul_f32_e32 v6, v6, v10
	v_log_f32_e32 v6, v6
	v_cndmask_b32_e32 v11, 0, v9, vcc
	v_cmp_lt_f32_e32 vcc, s7, v3
	v_mov_b32_e32 v10, s1
	v_sub_f32_e32 v6, v6, v11
	v_mul_f32_e32 v6, 0x3f317218, v6
	v_cndmask_b32_e32 v3, v6, v3, vcc
	v_mul_f32_e32 v6, 0x4f800000, v3
	v_cmp_gt_f32_e32 vcc, s14, v3
	v_cndmask_b32_e32 v6, v3, v6, vcc
	v_sqrt_f32_e32 v11, v6
	v_add_co_u32_e64 v2, s[0:1], s0, v2
	v_addc_co_u32_e64 v3, s[0:1], 0, v10, s[0:1]
	v_add_u32_e32 v10, -1, v11
	v_add_u32_e32 v12, 1, v11
	v_fma_f32 v13, -v10, v11, v6
	v_fma_f32 v14, -v12, v11, v6
	v_cmp_ge_f32_e64 s[2:3], 0, v13
	v_cndmask_b32_e64 v10, v11, v10, s[2:3]
	v_cmp_lt_f32_e64 s[2:3], 0, v14
	v_cndmask_b32_e64 v10, v10, v12, s[2:3]
	v_mul_f32_e32 v11, 0x37800000, v10
	v_cndmask_b32_e32 v10, v10, v11, vcc
	v_cmp_class_f32_e32 vcc, v6, v1
	s_and_b64 s[0:1], exec, s[8:9]
	v_cndmask_b32_e32 v6, v10, v6, vcc
	v_mov_b32_e32 v10, v6
	s_mov_b64 vcc, s[0:1]
	s_cbranch_vccz .LBB228_2
; %bb.1:
	global_load_dword v10, v7, s[10:11]
	s_waitcnt vmcnt(0)
	v_add_f32_e32 v10, v6, v10
.LBB228_2:
	global_load_ushort v2, v[2:3], off offset:128
	s_waitcnt vmcnt(0)
	v_lshlrev_b32_e32 v2, 16, v2
	v_mul_f32_e32 v3, 0x3fb8aa3b, v2
	v_cmp_gt_f32_e32 vcc, s12, v3
	v_cndmask_b32_e32 v3, 0, v4, vcc
	v_fmac_f32_e32 v3, 0x3fb8aa3b, v2
	v_exp_f32_e32 v3, v3
	v_cndmask_b32_e32 v4, 1.0, v5, vcc
	v_fma_f32 v3, v3, v4, 1.0
	v_cmp_gt_f32_e32 vcc, s13, v3
	v_cndmask_b32_e32 v4, 1.0, v8, vcc
	v_mul_f32_e32 v3, v3, v4
	v_log_f32_e32 v3, v3
	v_cndmask_b32_e32 v4, 0, v9, vcc
	v_cmp_lt_f32_e32 vcc, s7, v2
	v_sub_f32_e32 v3, v3, v4
	v_mul_f32_e32 v3, 0x3f317218, v3
	v_cndmask_b32_e32 v2, v3, v2, vcc
	v_mul_f32_e32 v3, 0x4f800000, v2
	v_cmp_gt_f32_e32 vcc, s14, v2
	v_cndmask_b32_e32 v2, v2, v3, vcc
	v_sqrt_f32_e32 v3, v2
	v_add_u32_e32 v4, -1, v3
	v_add_u32_e32 v5, 1, v3
	v_fma_f32 v8, -v4, v3, v2
	v_fma_f32 v9, -v5, v3, v2
	v_cmp_ge_f32_e64 s[0:1], 0, v8
	v_cndmask_b32_e64 v3, v3, v4, s[0:1]
	v_cmp_lt_f32_e64 s[0:1], 0, v9
	v_cndmask_b32_e64 v3, v3, v5, s[0:1]
	v_mul_f32_e32 v4, 0x37800000, v3
	v_cndmask_b32_e32 v3, v3, v4, vcc
	v_cmp_class_f32_e32 vcc, v2, v1
	v_cndmask_b32_e32 v9, v3, v2, vcc
	s_andn2_b64 vcc, exec, s[8:9]
	v_mov_b32_e32 v4, v9
	s_cbranch_vccnz .LBB228_4
; %bb.3:
	global_load_dword v1, v7, s[10:11] offset:256
	s_waitcnt vmcnt(0)
	v_add_f32_e32 v4, v9, v1
.LBB228_4:
	s_load_dword s2, s[4:5], 0x28
	s_load_dwordx4 s[8:11], s[4:5], 0x10
	v_mov_b32_e32 v8, 0
	s_waitcnt lgkmcnt(0)
	s_cmp_gt_i32 s2, 0
	s_cbranch_scc0 .LBB228_10
; %bb.5:
	v_mbcnt_lo_u32_b32 v8, -1, 0
	v_add_u32_e32 v2, 64, v0
	v_cmp_lt_f32_e32 vcc, v10, v4
	v_mbcnt_hi_u32_b32 v8, -1, v8
	v_bfrev_b32_e32 v12, 0.5
	v_cndmask_b32_e32 v1, v2, v0, vcc
	v_cndmask_b32_e32 v2, v0, v2, vcc
	;; [unrolled: 1-line block ×6, first 2 shown]
	v_mov_b32_e32 v10, 0
	v_mov_b32_e32 v9, 0
	;; [unrolled: 1-line block ×3, first 2 shown]
	v_lshl_or_b32 v12, v8, 2, v12
	v_mov_b32_e32 v13, v0
	s_mov_b32 s3, s2
	v_mov_b32_e32 v8, 0
.LBB228_6:                              ; =>This Inner Loop Header: Depth=1
	v_cmp_eq_u32_e32 vcc, 1, v10
	v_cndmask_b32_e32 v14, v4, v3, vcc
	v_cmp_gt_u32_e64 s[0:1], 2, v10
	v_cndmask_b32_e64 v14, v11, v14, s[0:1]
	;;#ASMSTART
	v_max_f32 v18, v14, v14 quad_perm:[1,0,3,2] row_mask:0xf bank_mask:0xf bound_ctrl:1
	;;#ASMEND
	;;#ASMSTART
	v_max_f32 v19, v18, v18 quad_perm:[2,3,0,1] row_mask:0xf bank_mask:0xf bound_ctrl:1
	;;#ASMEND
	;;#ASMSTART
	v_max_f32 v18, v19, v19 row_half_mirror row_mask:0xf bank_mask:0xf bound_ctrl:1
	;;#ASMEND
	;;#ASMSTART
	v_max_f32 v19, v18, v18 row_mirror row_mask:0xf bank_mask:0xf bound_ctrl:1
	;;#ASMEND
	;;#ASMSTART
	v_max_f32 v18, v19, v19 row_ror:4 row_mask:0xf bank_mask:0xf bound_ctrl:1
	;;#ASMEND
	;;#ASMSTART
	v_max_f32 v19, v18, v18 row_ror:8 row_mask:0xf bank_mask:0xf bound_ctrl:1
	;;#ASMEND
	;;#ASMSTART
	v_max_f32 v18, v19, v19 row_bcast:15 row_mask:0xf bank_mask:0xf bound_ctrl:1
	;;#ASMEND
	;;#ASMSTART
	v_max_f32 v19, v18, v18 row_bcast:31 row_mask:0xf bank_mask:0xf bound_ctrl:1
	;;#ASMEND
	ds_bpermute_b32 v18, v12, v19
	v_cndmask_b32_e32 v15, v2, v1, vcc
	v_cndmask_b32_e32 v16, v6, v5, vcc
	v_cndmask_b32_e64 v17, 0, v15, s[0:1]
	s_waitcnt lgkmcnt(0)
	v_cmp_eq_f32_e32 vcc, v14, v18
	s_ff1_i32_b64 s7, vcc
	s_cmp_lg_u64 vcc, 0
	s_cselect_b32 s7, s7, 0
	v_readlane_b32 s7, v17, s7
	v_cmp_eq_u32_e32 vcc, s7, v15
	s_and_b64 vcc, s[0:1], vcc
	s_and_b32 s12, s7, 63
	v_cndmask_b32_e32 v15, 0, v16, vcc
	v_addc_co_u32_e32 v10, vcc, 0, v10, vcc
	v_readlane_b32 s0, v15, s12
	s_add_i32 s3, s3, -1
	v_mov_b32_e32 v14, s7
	v_mov_b32_e32 v15, s0
	v_cmp_eq_u32_e32 vcc, 0, v13
	s_cmp_eq_u32 s3, 0
	v_add_u32_e32 v13, -1, v13
	v_cndmask_b32_e32 v9, v9, v15, vcc
	v_cndmask_b32_e32 v8, v8, v14, vcc
	s_cbranch_scc0 .LBB228_6
; %bb.7:
	v_cmp_gt_i32_e32 vcc, s2, v0
	s_and_saveexec_b64 s[0:1], vcc
	s_cbranch_execz .LBB228_9
.LBB228_8:
	s_load_dword s2, s[4:5], 0x30
	s_load_dwordx2 s[0:1], s[4:5], 0x20
	s_ashr_i32 s3, s6, 31
	s_waitcnt lgkmcnt(0)
	v_mul_f32_e32 v0, s2, v9
	s_mul_i32 s1, s6, s1
	s_mul_hi_u32 s2, s6, s0
	s_add_i32 s1, s2, s1
	s_mul_i32 s3, s3, s0
	s_add_i32 s1, s1, s3
	s_mul_i32 s0, s6, s0
	s_lshl_b64 s[0:1], s[0:1], 2
	s_add_u32 s2, s8, s0
	s_addc_u32 s3, s9, s1
	s_add_u32 s0, s10, s0
	s_addc_u32 s1, s11, s1
	global_store_dword v7, v0, s[2:3]
	global_store_dword v7, v8, s[0:1]
.LBB228_9:
	s_endpgm
.LBB228_10:
	v_mov_b32_e32 v9, 0
	v_cmp_gt_i32_e32 vcc, s2, v0
	s_and_saveexec_b64 s[0:1], vcc
	s_cbranch_execnz .LBB228_8
	s_branch .LBB228_9
	.section	.rodata,"a",@progbits
	.p2align	6, 0x0
	.amdhsa_kernel _ZN5aiter24topk_softplus_kernel_optI12hip_bfloat16fLi128ELb0ELi0EEEvPKT_PKT0_PfPimiif
		.amdhsa_group_segment_fixed_size 0
		.amdhsa_private_segment_fixed_size 0
		.amdhsa_kernarg_size 52
		.amdhsa_user_sgpr_count 6
		.amdhsa_user_sgpr_private_segment_buffer 1
		.amdhsa_user_sgpr_dispatch_ptr 0
		.amdhsa_user_sgpr_queue_ptr 0
		.amdhsa_user_sgpr_kernarg_segment_ptr 1
		.amdhsa_user_sgpr_dispatch_id 0
		.amdhsa_user_sgpr_flat_scratch_init 0
		.amdhsa_user_sgpr_kernarg_preload_length 0
		.amdhsa_user_sgpr_kernarg_preload_offset 0
		.amdhsa_user_sgpr_private_segment_size 0
		.amdhsa_uses_dynamic_stack 0
		.amdhsa_system_sgpr_private_segment_wavefront_offset 0
		.amdhsa_system_sgpr_workgroup_id_x 1
		.amdhsa_system_sgpr_workgroup_id_y 0
		.amdhsa_system_sgpr_workgroup_id_z 0
		.amdhsa_system_sgpr_workgroup_info 0
		.amdhsa_system_vgpr_workitem_id 0
		.amdhsa_next_free_vgpr 20
		.amdhsa_next_free_sgpr 15
		.amdhsa_accum_offset 20
		.amdhsa_reserve_vcc 1
		.amdhsa_reserve_flat_scratch 0
		.amdhsa_float_round_mode_32 0
		.amdhsa_float_round_mode_16_64 0
		.amdhsa_float_denorm_mode_32 3
		.amdhsa_float_denorm_mode_16_64 3
		.amdhsa_dx10_clamp 1
		.amdhsa_ieee_mode 1
		.amdhsa_fp16_overflow 0
		.amdhsa_tg_split 0
		.amdhsa_exception_fp_ieee_invalid_op 0
		.amdhsa_exception_fp_denorm_src 0
		.amdhsa_exception_fp_ieee_div_zero 0
		.amdhsa_exception_fp_ieee_overflow 0
		.amdhsa_exception_fp_ieee_underflow 0
		.amdhsa_exception_fp_ieee_inexact 0
		.amdhsa_exception_int_div_zero 0
	.end_amdhsa_kernel
	.section	.text._ZN5aiter24topk_softplus_kernel_optI12hip_bfloat16fLi128ELb0ELi0EEEvPKT_PKT0_PfPimiif,"axG",@progbits,_ZN5aiter24topk_softplus_kernel_optI12hip_bfloat16fLi128ELb0ELi0EEEvPKT_PKT0_PfPimiif,comdat
.Lfunc_end228:
	.size	_ZN5aiter24topk_softplus_kernel_optI12hip_bfloat16fLi128ELb0ELi0EEEvPKT_PKT0_PfPimiif, .Lfunc_end228-_ZN5aiter24topk_softplus_kernel_optI12hip_bfloat16fLi128ELb0ELi0EEEvPKT_PKT0_PfPimiif
                                        ; -- End function
	.section	.AMDGPU.csdata,"",@progbits
; Kernel info:
; codeLenInByte = 1032
; NumSgprs: 19
; NumVgprs: 20
; NumAgprs: 0
; TotalNumVgprs: 20
; ScratchSize: 0
; MemoryBound: 0
; FloatMode: 240
; IeeeMode: 1
; LDSByteSize: 0 bytes/workgroup (compile time only)
; SGPRBlocks: 2
; VGPRBlocks: 2
; NumSGPRsForWavesPerEU: 19
; NumVGPRsForWavesPerEU: 20
; AccumOffset: 20
; Occupancy: 8
; WaveLimiterHint : 0
; COMPUTE_PGM_RSRC2:SCRATCH_EN: 0
; COMPUTE_PGM_RSRC2:USER_SGPR: 6
; COMPUTE_PGM_RSRC2:TRAP_HANDLER: 0
; COMPUTE_PGM_RSRC2:TGID_X_EN: 1
; COMPUTE_PGM_RSRC2:TGID_Y_EN: 0
; COMPUTE_PGM_RSRC2:TGID_Z_EN: 0
; COMPUTE_PGM_RSRC2:TIDIG_COMP_CNT: 0
; COMPUTE_PGM_RSRC3_GFX90A:ACCUM_OFFSET: 4
; COMPUTE_PGM_RSRC3_GFX90A:TG_SPLIT: 0
	.section	.text._ZN5aiter24topk_softplus_kernel_optI12hip_bfloat16fLi256ELb1ELi0EEEvPKT_PKT0_PfPimiif,"axG",@progbits,_ZN5aiter24topk_softplus_kernel_optI12hip_bfloat16fLi256ELb1ELi0EEEvPKT_PKT0_PfPimiif,comdat
	.protected	_ZN5aiter24topk_softplus_kernel_optI12hip_bfloat16fLi256ELb1ELi0EEEvPKT_PKT0_PfPimiif ; -- Begin function _ZN5aiter24topk_softplus_kernel_optI12hip_bfloat16fLi256ELb1ELi0EEEvPKT_PKT0_PfPimiif
	.globl	_ZN5aiter24topk_softplus_kernel_optI12hip_bfloat16fLi256ELb1ELi0EEEvPKT_PKT0_PfPimiif
	.p2align	8
	.type	_ZN5aiter24topk_softplus_kernel_optI12hip_bfloat16fLi256ELb1ELi0EEEvPKT_PKT0_PfPimiif,@function
_ZN5aiter24topk_softplus_kernel_optI12hip_bfloat16fLi256ELb1ELi0EEEvPKT_PKT0_PfPimiif: ; @_ZN5aiter24topk_softplus_kernel_optI12hip_bfloat16fLi256ELb1ELi0EEEvPKT_PKT0_PfPimiif
; %bb.0:
	s_load_dwordx4 s[8:11], s[4:5], 0x0
	s_lshl_b32 s0, s6, 8
	s_ashr_i32 s1, s0, 31
	s_lshl_b64 s[0:1], s[0:1], 1
	v_lshlrev_b32_e32 v1, 1, v0
	s_waitcnt lgkmcnt(0)
	s_add_u32 s0, s8, s0
	s_addc_u32 s1, s9, s1
	global_load_ushort v2, v1, s[0:1]
	s_mov_b32 s12, 0xc2fc0000
	v_mov_b32_e32 v6, 0x42800000
	v_mov_b32_e32 v7, 0x1f800000
	s_mov_b32 s13, 0x800000
	v_mov_b32_e32 v8, 0x4f800000
	v_mov_b32_e32 v9, 0x42000000
	s_mov_b32 s7, 0x41a00000
	s_mov_b32 s14, 0xf800000
	v_mov_b32_e32 v3, 0x260
	s_cmp_lg_u64 s[10:11], 0
	s_cselect_b64 s[8:9], -1, 0
	v_lshlrev_b32_e32 v13, 2, v0
	s_waitcnt vmcnt(0)
	v_lshlrev_b32_e32 v2, 16, v2
	v_mul_f32_e32 v4, 0x3fb8aa3b, v2
	v_cmp_gt_f32_e32 vcc, s12, v4
	v_cndmask_b32_e32 v4, 0, v6, vcc
	v_fmac_f32_e32 v4, 0x3fb8aa3b, v2
	v_exp_f32_e32 v4, v4
	v_cndmask_b32_e32 v5, 1.0, v7, vcc
	v_fma_f32 v4, v4, v5, 1.0
	v_cmp_gt_f32_e32 vcc, s13, v4
	v_cndmask_b32_e32 v5, 1.0, v8, vcc
	v_mul_f32_e32 v4, v4, v5
	v_log_f32_e32 v4, v4
	v_cndmask_b32_e32 v10, 0, v9, vcc
	v_cmp_lt_f32_e32 vcc, s7, v2
	v_mov_b32_e32 v5, s1
	v_sub_f32_e32 v4, v4, v10
	v_mul_f32_e32 v4, 0x3f317218, v4
	v_cndmask_b32_e32 v2, v4, v2, vcc
	v_mul_f32_e32 v4, 0x4f800000, v2
	v_cmp_gt_f32_e32 vcc, s14, v2
	v_cndmask_b32_e32 v2, v2, v4, vcc
	v_sqrt_f32_e32 v10, v2
	v_add_co_u32_e64 v4, s[0:1], s0, v1
	v_addc_co_u32_e64 v5, s[0:1], 0, v5, s[0:1]
	v_add_u32_e32 v1, -1, v10
	v_add_u32_e32 v11, 1, v10
	v_fma_f32 v12, -v1, v10, v2
	v_fma_f32 v14, -v11, v10, v2
	v_cmp_ge_f32_e64 s[2:3], 0, v12
	v_cndmask_b32_e64 v1, v10, v1, s[2:3]
	v_cmp_lt_f32_e64 s[2:3], 0, v14
	v_cndmask_b32_e64 v1, v1, v11, s[2:3]
	v_mul_f32_e32 v10, 0x37800000, v1
	v_cndmask_b32_e32 v1, v1, v10, vcc
	v_cmp_class_f32_e32 vcc, v2, v3
	s_and_b64 s[0:1], exec, s[8:9]
	v_cndmask_b32_e32 v2, v1, v2, vcc
	v_mov_b32_e32 v1, v2
	s_mov_b64 vcc, s[0:1]
	s_cbranch_vccz .LBB229_2
; %bb.1:
	global_load_dword v1, v13, s[10:11]
	s_waitcnt vmcnt(0)
	v_add_f32_e32 v1, v2, v1
.LBB229_2:
	global_load_ushort v10, v[4:5], off offset:128
	s_waitcnt vmcnt(0)
	v_lshlrev_b32_e32 v10, 16, v10
	v_mul_f32_e32 v11, 0x3fb8aa3b, v10
	v_cmp_gt_f32_e32 vcc, s12, v11
	v_cndmask_b32_e32 v6, 0, v6, vcc
	v_fmac_f32_e32 v6, 0x3fb8aa3b, v10
	v_exp_f32_e32 v6, v6
	v_cndmask_b32_e32 v7, 1.0, v7, vcc
	v_fma_f32 v6, v6, v7, 1.0
	v_cmp_gt_f32_e32 vcc, s13, v6
	v_cndmask_b32_e32 v7, 1.0, v8, vcc
	v_mul_f32_e32 v6, v6, v7
	v_log_f32_e32 v6, v6
	v_cndmask_b32_e32 v7, 0, v9, vcc
	v_cmp_lt_f32_e32 vcc, s7, v10
	v_cndmask_b32_e64 v8, 0, 1, s[8:9]
	v_sub_f32_e32 v6, v6, v7
	v_mul_f32_e32 v6, 0x3f317218, v6
	v_cndmask_b32_e32 v6, v6, v10, vcc
	v_mul_f32_e32 v7, 0x4f800000, v6
	v_cmp_gt_f32_e32 vcc, s14, v6
	v_cndmask_b32_e32 v6, v6, v7, vcc
	v_sqrt_f32_e32 v7, v6
	v_cmp_ne_u32_e64 s[0:1], 1, v8
	v_add_u32_e32 v8, -1, v7
	v_add_u32_e32 v9, 1, v7
	v_fma_f32 v10, -v8, v7, v6
	v_fma_f32 v11, -v9, v7, v6
	v_cmp_ge_f32_e64 s[2:3], 0, v10
	v_cndmask_b32_e64 v7, v7, v8, s[2:3]
	v_cmp_lt_f32_e64 s[2:3], 0, v11
	v_cndmask_b32_e64 v7, v7, v9, s[2:3]
	v_mul_f32_e32 v8, 0x37800000, v7
	v_cndmask_b32_e32 v7, v7, v8, vcc
	v_cmp_class_f32_e32 vcc, v6, v3
	v_cndmask_b32_e32 v8, v7, v6, vcc
	s_andn2_b64 vcc, exec, s[8:9]
	v_mov_b32_e32 v6, v8
	s_cbranch_vccnz .LBB229_4
; %bb.3:
	global_load_dword v3, v13, s[10:11] offset:256
	s_waitcnt vmcnt(0)
	v_add_f32_e32 v6, v8, v3
.LBB229_4:
	global_load_ushort v9, v[4:5], off offset:256
	s_mov_b32 s8, 0xc2fc0000
	v_mov_b32_e32 v7, 0x42800000
	v_mov_b32_e32 v3, 0x1f800000
	s_mov_b32 s9, 0x800000
	s_mov_b32 s12, 0xf800000
	s_waitcnt vmcnt(0)
	v_lshlrev_b32_e32 v11, 16, v9
	v_mul_f32_e32 v9, 0x3fb8aa3b, v11
	v_cmp_gt_f32_e32 vcc, s8, v9
	v_cndmask_b32_e32 v9, 0, v7, vcc
	v_fmac_f32_e32 v9, 0x3fb8aa3b, v11
	v_exp_f32_e32 v10, v9
	v_cndmask_b32_e32 v12, 1.0, v3, vcc
	v_mov_b32_e32 v9, 0x4f800000
	v_fma_f32 v10, v10, v12, 1.0
	v_cmp_gt_f32_e32 vcc, s9, v10
	v_cndmask_b32_e32 v12, 1.0, v9, vcc
	v_mul_f32_e32 v10, v10, v12
	v_log_f32_e32 v12, v10
	v_mov_b32_e32 v10, 0x42000000
	v_cndmask_b32_e32 v14, 0, v10, vcc
	v_cmp_lt_f32_e32 vcc, s7, v11
	v_sub_f32_e32 v12, v12, v14
	v_mul_f32_e32 v12, 0x3f317218, v12
	v_cndmask_b32_e32 v11, v12, v11, vcc
	v_mul_f32_e32 v12, 0x4f800000, v11
	v_cmp_gt_f32_e32 vcc, s12, v11
	v_cndmask_b32_e32 v12, v11, v12, vcc
	v_sqrt_f32_e32 v14, v12
	v_mov_b32_e32 v11, 0x260
	v_add_u32_e32 v15, -1, v14
	v_add_u32_e32 v16, 1, v14
	v_fma_f32 v17, -v15, v14, v12
	v_fma_f32 v18, -v16, v14, v12
	v_cmp_ge_f32_e64 s[2:3], 0, v17
	v_cndmask_b32_e64 v14, v14, v15, s[2:3]
	v_cmp_lt_f32_e64 s[2:3], 0, v18
	v_cndmask_b32_e64 v14, v14, v16, s[2:3]
	v_mul_f32_e32 v15, 0x37800000, v14
	v_cndmask_b32_e32 v14, v14, v15, vcc
	v_cmp_class_f32_e32 vcc, v12, v11
	v_cndmask_b32_e32 v14, v14, v12, vcc
	s_and_b64 vcc, exec, s[0:1]
	v_mov_b32_e32 v12, v14
	s_cbranch_vccnz .LBB229_6
; %bb.5:
	global_load_dword v12, v13, s[10:11] offset:512
	s_waitcnt vmcnt(0)
	v_add_f32_e32 v12, v14, v12
.LBB229_6:
	global_load_ushort v4, v[4:5], off offset:384
	s_waitcnt vmcnt(0)
	v_lshlrev_b32_e32 v4, 16, v4
	v_mul_f32_e32 v5, 0x3fb8aa3b, v4
	v_cmp_gt_f32_e32 vcc, s8, v5
	v_cndmask_b32_e32 v5, 0, v7, vcc
	v_fmac_f32_e32 v5, 0x3fb8aa3b, v4
	v_exp_f32_e32 v5, v5
	v_cndmask_b32_e32 v3, 1.0, v3, vcc
	v_fma_f32 v3, v5, v3, 1.0
	v_cmp_gt_f32_e32 vcc, s9, v3
	v_cndmask_b32_e32 v5, 1.0, v9, vcc
	v_mul_f32_e32 v3, v3, v5
	v_log_f32_e32 v3, v3
	v_cndmask_b32_e32 v5, 0, v10, vcc
	v_cmp_lt_f32_e32 vcc, s7, v4
	v_sub_f32_e32 v3, v3, v5
	v_mul_f32_e32 v3, 0x3f317218, v3
	v_cndmask_b32_e32 v3, v3, v4, vcc
	v_mul_f32_e32 v4, 0x4f800000, v3
	v_cmp_gt_f32_e32 vcc, s12, v3
	v_cndmask_b32_e32 v3, v3, v4, vcc
	v_sqrt_f32_e32 v4, v3
	v_add_u32_e32 v5, -1, v4
	v_add_u32_e32 v7, 1, v4
	v_fma_f32 v9, -v5, v4, v3
	v_fma_f32 v10, -v7, v4, v3
	v_cmp_ge_f32_e64 s[2:3], 0, v9
	v_cndmask_b32_e64 v4, v4, v5, s[2:3]
	v_cmp_lt_f32_e64 s[2:3], 0, v10
	v_cndmask_b32_e64 v4, v4, v7, s[2:3]
	v_mul_f32_e32 v5, 0x37800000, v4
	v_cndmask_b32_e32 v4, v4, v5, vcc
	v_cmp_class_f32_e32 vcc, v3, v11
	v_cndmask_b32_e32 v3, v4, v3, vcc
	s_and_b64 vcc, exec, s[0:1]
	v_mov_b32_e32 v5, v3
	s_cbranch_vccnz .LBB229_8
; %bb.7:
	global_load_dword v4, v13, s[10:11] offset:768
	s_waitcnt vmcnt(0)
	v_add_f32_e32 v5, v3, v4
.LBB229_8:
	v_add_u32_e32 v4, 64, v0
	v_cmp_lt_f32_e32 vcc, v1, v6
	v_add_u32_e32 v16, 0x80, v0
	v_add_u32_e32 v7, 0xc0, v0
	v_cndmask_b32_e32 v11, v8, v2, vcc
	v_cndmask_b32_e32 v2, v2, v8, vcc
	;; [unrolled: 1-line block ×6, first 2 shown]
	v_cmp_lt_f32_e32 vcc, v12, v5
	v_mov_b32_e32 v8, v12
	s_and_saveexec_b64 s[0:1], vcc
	s_xor_b64 s[0:1], exec, s[0:1]
; %bb.9:
	v_mov_b32_e32 v8, v16
	v_mov_b32_e32 v15, v12
	;; [unrolled: 1-line block ×4, first 2 shown]
	v_swap_b32 v14, v3
	v_swap_b32 v16, v7
	v_mov_b32_e32 v8, v5
	v_mov_b32_e32 v5, v15
; %bb.10:
	s_or_b64 exec, exec, s[0:1]
	v_cmp_lt_f32_e32 vcc, v6, v12
	v_cndmask_b32_e32 v15, v14, v2, vcc
	v_cndmask_b32_e32 v2, v2, v14, vcc
	;; [unrolled: 1-line block ×6, first 2 shown]
	v_cmp_lt_f32_e32 vcc, v9, v5
	v_mov_b32_e32 v12, v9
	s_and_saveexec_b64 s[0:1], vcc
; %bb.11:
	v_mov_b32_e32 v12, v10
	v_mov_b32_e32 v16, v9
	;; [unrolled: 1-line block ×4, first 2 shown]
	v_swap_b32 v11, v3
	v_swap_b32 v10, v7
	v_mov_b32_e32 v12, v5
	v_mov_b32_e32 v5, v16
; %bb.12:
	s_or_b64 exec, exec, s[0:1]
	s_load_dword s2, s[4:5], 0x28
	s_load_dwordx4 s[8:11], s[4:5], 0x10
	v_mov_b32_e32 v16, 0
	s_waitcnt lgkmcnt(0)
	s_cmp_lt_i32 s2, 1
	s_cbranch_scc1 .LBB229_18
; %bb.13:
	v_cmp_lt_f32_e32 vcc, v9, v14
	v_cndmask_b32_e32 v8, v1, v10, vcc
	v_cndmask_b32_e32 v1, v10, v1, vcc
	;; [unrolled: 1-line block ×4, first 2 shown]
	v_mbcnt_lo_u32_b32 v14, -1, 0
	v_cndmask_b32_e32 v12, v15, v11, vcc
	v_cndmask_b32_e32 v11, v11, v15, vcc
	v_mbcnt_hi_u32_b32 v14, -1, v14
	v_bfrev_b32_e32 v15, 0.5
	v_mov_b32_e32 v16, 0
	v_mov_b32_e32 v17, 0
	;; [unrolled: 1-line block ×3, first 2 shown]
	v_lshl_or_b32 v19, v14, 2, v15
	v_mov_b32_e32 v20, v0
	s_mov_b32 s3, s2
	v_mov_b32_e32 v14, 0
	v_mov_b32_e32 v15, 0
.LBB229_14:                             ; =>This Inner Loop Header: Depth=1
	v_cmp_eq_u32_e32 vcc, 1, v17
	v_cndmask_b32_e32 v21, v6, v9, vcc
	v_cmp_eq_u32_e64 s[0:1], 2, v17
	v_cndmask_b32_e64 v21, v21, v10, s[0:1]
	v_cndmask_b32_e32 v22, v4, v1, vcc
	v_cndmask_b32_e32 v23, v2, v11, vcc
	v_cmp_eq_u32_e32 vcc, 3, v17
	v_cndmask_b32_e32 v21, v21, v5, vcc
	v_cndmask_b32_e64 v22, v22, v8, s[0:1]
	v_cndmask_b32_e64 v23, v23, v12, s[0:1]
	v_cmp_gt_u32_e64 s[0:1], 4, v17
	v_cndmask_b32_e64 v21, v18, v21, s[0:1]
	;;#ASMSTART
	v_max_f32 v25, v21, v21 quad_perm:[1,0,3,2] row_mask:0xf bank_mask:0xf bound_ctrl:1
	;;#ASMEND
	;;#ASMSTART
	v_max_f32 v26, v25, v25 quad_perm:[2,3,0,1] row_mask:0xf bank_mask:0xf bound_ctrl:1
	;;#ASMEND
	;;#ASMSTART
	v_max_f32 v25, v26, v26 row_half_mirror row_mask:0xf bank_mask:0xf bound_ctrl:1
	;;#ASMEND
	;;#ASMSTART
	v_max_f32 v26, v25, v25 row_mirror row_mask:0xf bank_mask:0xf bound_ctrl:1
	;;#ASMEND
	;;#ASMSTART
	v_max_f32 v25, v26, v26 row_ror:4 row_mask:0xf bank_mask:0xf bound_ctrl:1
	;;#ASMEND
	;;#ASMSTART
	v_max_f32 v26, v25, v25 row_ror:8 row_mask:0xf bank_mask:0xf bound_ctrl:1
	;;#ASMEND
	;;#ASMSTART
	v_max_f32 v25, v26, v26 row_bcast:15 row_mask:0xf bank_mask:0xf bound_ctrl:1
	;;#ASMEND
	;;#ASMSTART
	v_max_f32 v26, v25, v25 row_bcast:31 row_mask:0xf bank_mask:0xf bound_ctrl:1
	;;#ASMEND
	ds_bpermute_b32 v25, v19, v26
	v_cndmask_b32_e32 v22, v22, v7, vcc
	v_cndmask_b32_e32 v23, v23, v3, vcc
	v_cndmask_b32_e64 v24, 0, v22, s[0:1]
	s_waitcnt lgkmcnt(0)
	v_cmp_eq_f32_e32 vcc, v21, v25
	s_ff1_i32_b64 s7, vcc
	s_cmp_lg_u64 vcc, 0
	s_cselect_b32 s7, s7, 0
	v_readlane_b32 s7, v24, s7
	v_cmp_eq_u32_e32 vcc, s7, v22
	s_and_b64 vcc, s[0:1], vcc
	s_and_b32 s12, s7, 63
	v_cndmask_b32_e32 v22, 0, v23, vcc
	v_addc_co_u32_e32 v17, vcc, 0, v17, vcc
	v_readlane_b32 s0, v22, s12
	s_add_i32 s3, s3, -1
	v_mov_b32_e32 v21, s7
	v_mov_b32_e32 v22, s0
	v_cmp_eq_u32_e32 vcc, 0, v20
	s_cmp_eq_u32 s3, 0
	v_add_f32_e32 v16, s0, v16
	v_add_u32_e32 v20, -1, v20
	v_cndmask_b32_e32 v15, v15, v22, vcc
	v_cndmask_b32_e32 v14, v14, v21, vcc
	s_cbranch_scc0 .LBB229_14
; %bb.15:
	v_cmp_gt_i32_e32 vcc, s2, v0
	s_and_saveexec_b64 s[0:1], vcc
	s_cbranch_execz .LBB229_17
.LBB229_16:
	s_load_dword s2, s[4:5], 0x30
	v_max_f32_e32 v0, v16, v16
	v_max_f32_e32 v0, 0x1e3ce508, v0
	s_waitcnt lgkmcnt(0)
	v_div_scale_f32 v1, s[0:1], v0, v0, s2
	v_rcp_f32_e32 v2, v1
	v_div_scale_f32 v3, vcc, s2, v0, s2
	s_load_dwordx2 s[0:1], s[4:5], 0x20
	v_fma_f32 v4, -v1, v2, 1.0
	v_fmac_f32_e32 v2, v4, v2
	v_mul_f32_e32 v4, v3, v2
	v_fma_f32 v5, -v1, v4, v3
	v_fmac_f32_e32 v4, v5, v2
	v_fma_f32 v1, -v1, v4, v3
	v_div_fmas_f32 v1, v1, v2, v4
	v_div_fixup_f32 v0, v1, v0, s2
	s_ashr_i32 s2, s6, 31
	s_waitcnt lgkmcnt(0)
	s_mul_i32 s1, s6, s1
	s_mul_hi_u32 s3, s6, s0
	s_add_i32 s1, s3, s1
	s_mul_i32 s2, s2, s0
	s_add_i32 s1, s1, s2
	s_mul_i32 s0, s6, s0
	s_lshl_b64 s[0:1], s[0:1], 2
	s_add_u32 s2, s8, s0
	s_addc_u32 s3, s9, s1
	s_add_u32 s0, s10, s0
	v_mul_f32_e32 v0, v15, v0
	s_addc_u32 s1, s11, s1
	global_store_dword v13, v0, s[2:3]
	global_store_dword v13, v14, s[0:1]
.LBB229_17:
	s_endpgm
.LBB229_18:
	v_mov_b32_e32 v14, 0
	v_mov_b32_e32 v15, 0
	v_cmp_gt_i32_e32 vcc, s2, v0
	s_and_saveexec_b64 s[0:1], vcc
	s_cbranch_execnz .LBB229_16
	s_branch .LBB229_17
	.section	.rodata,"a",@progbits
	.p2align	6, 0x0
	.amdhsa_kernel _ZN5aiter24topk_softplus_kernel_optI12hip_bfloat16fLi256ELb1ELi0EEEvPKT_PKT0_PfPimiif
		.amdhsa_group_segment_fixed_size 0
		.amdhsa_private_segment_fixed_size 0
		.amdhsa_kernarg_size 52
		.amdhsa_user_sgpr_count 6
		.amdhsa_user_sgpr_private_segment_buffer 1
		.amdhsa_user_sgpr_dispatch_ptr 0
		.amdhsa_user_sgpr_queue_ptr 0
		.amdhsa_user_sgpr_kernarg_segment_ptr 1
		.amdhsa_user_sgpr_dispatch_id 0
		.amdhsa_user_sgpr_flat_scratch_init 0
		.amdhsa_user_sgpr_kernarg_preload_length 0
		.amdhsa_user_sgpr_kernarg_preload_offset 0
		.amdhsa_user_sgpr_private_segment_size 0
		.amdhsa_uses_dynamic_stack 0
		.amdhsa_system_sgpr_private_segment_wavefront_offset 0
		.amdhsa_system_sgpr_workgroup_id_x 1
		.amdhsa_system_sgpr_workgroup_id_y 0
		.amdhsa_system_sgpr_workgroup_id_z 0
		.amdhsa_system_sgpr_workgroup_info 0
		.amdhsa_system_vgpr_workitem_id 0
		.amdhsa_next_free_vgpr 27
		.amdhsa_next_free_sgpr 15
		.amdhsa_accum_offset 28
		.amdhsa_reserve_vcc 1
		.amdhsa_reserve_flat_scratch 0
		.amdhsa_float_round_mode_32 0
		.amdhsa_float_round_mode_16_64 0
		.amdhsa_float_denorm_mode_32 3
		.amdhsa_float_denorm_mode_16_64 3
		.amdhsa_dx10_clamp 1
		.amdhsa_ieee_mode 1
		.amdhsa_fp16_overflow 0
		.amdhsa_tg_split 0
		.amdhsa_exception_fp_ieee_invalid_op 0
		.amdhsa_exception_fp_denorm_src 0
		.amdhsa_exception_fp_ieee_div_zero 0
		.amdhsa_exception_fp_ieee_overflow 0
		.amdhsa_exception_fp_ieee_underflow 0
		.amdhsa_exception_fp_ieee_inexact 0
		.amdhsa_exception_int_div_zero 0
	.end_amdhsa_kernel
	.section	.text._ZN5aiter24topk_softplus_kernel_optI12hip_bfloat16fLi256ELb1ELi0EEEvPKT_PKT0_PfPimiif,"axG",@progbits,_ZN5aiter24topk_softplus_kernel_optI12hip_bfloat16fLi256ELb1ELi0EEEvPKT_PKT0_PfPimiif,comdat
.Lfunc_end229:
	.size	_ZN5aiter24topk_softplus_kernel_optI12hip_bfloat16fLi256ELb1ELi0EEEvPKT_PKT0_PfPimiif, .Lfunc_end229-_ZN5aiter24topk_softplus_kernel_optI12hip_bfloat16fLi256ELb1ELi0EEEvPKT_PKT0_PfPimiif
                                        ; -- End function
	.section	.AMDGPU.csdata,"",@progbits
; Kernel info:
; codeLenInByte = 1872
; NumSgprs: 19
; NumVgprs: 27
; NumAgprs: 0
; TotalNumVgprs: 27
; ScratchSize: 0
; MemoryBound: 0
; FloatMode: 240
; IeeeMode: 1
; LDSByteSize: 0 bytes/workgroup (compile time only)
; SGPRBlocks: 2
; VGPRBlocks: 3
; NumSGPRsForWavesPerEU: 19
; NumVGPRsForWavesPerEU: 27
; AccumOffset: 28
; Occupancy: 8
; WaveLimiterHint : 0
; COMPUTE_PGM_RSRC2:SCRATCH_EN: 0
; COMPUTE_PGM_RSRC2:USER_SGPR: 6
; COMPUTE_PGM_RSRC2:TRAP_HANDLER: 0
; COMPUTE_PGM_RSRC2:TGID_X_EN: 1
; COMPUTE_PGM_RSRC2:TGID_Y_EN: 0
; COMPUTE_PGM_RSRC2:TGID_Z_EN: 0
; COMPUTE_PGM_RSRC2:TIDIG_COMP_CNT: 0
; COMPUTE_PGM_RSRC3_GFX90A:ACCUM_OFFSET: 6
; COMPUTE_PGM_RSRC3_GFX90A:TG_SPLIT: 0
	.section	.text._ZN5aiter24topk_softplus_kernel_optI12hip_bfloat16fLi256ELb0ELi0EEEvPKT_PKT0_PfPimiif,"axG",@progbits,_ZN5aiter24topk_softplus_kernel_optI12hip_bfloat16fLi256ELb0ELi0EEEvPKT_PKT0_PfPimiif,comdat
	.protected	_ZN5aiter24topk_softplus_kernel_optI12hip_bfloat16fLi256ELb0ELi0EEEvPKT_PKT0_PfPimiif ; -- Begin function _ZN5aiter24topk_softplus_kernel_optI12hip_bfloat16fLi256ELb0ELi0EEEvPKT_PKT0_PfPimiif
	.globl	_ZN5aiter24topk_softplus_kernel_optI12hip_bfloat16fLi256ELb0ELi0EEEvPKT_PKT0_PfPimiif
	.p2align	8
	.type	_ZN5aiter24topk_softplus_kernel_optI12hip_bfloat16fLi256ELb0ELi0EEEvPKT_PKT0_PfPimiif,@function
_ZN5aiter24topk_softplus_kernel_optI12hip_bfloat16fLi256ELb0ELi0EEEvPKT_PKT0_PfPimiif: ; @_ZN5aiter24topk_softplus_kernel_optI12hip_bfloat16fLi256ELb0ELi0EEEvPKT_PKT0_PfPimiif
; %bb.0:
	s_load_dwordx4 s[8:11], s[4:5], 0x0
	s_lshl_b32 s0, s6, 8
	s_ashr_i32 s1, s0, 31
	s_lshl_b64 s[0:1], s[0:1], 1
	v_lshlrev_b32_e32 v1, 1, v0
	s_waitcnt lgkmcnt(0)
	s_add_u32 s0, s8, s0
	s_addc_u32 s1, s9, s1
	global_load_ushort v2, v1, s[0:1]
	s_mov_b32 s12, 0xc2fc0000
	v_mov_b32_e32 v6, 0x42800000
	v_mov_b32_e32 v7, 0x1f800000
	s_mov_b32 s13, 0x800000
	v_mov_b32_e32 v8, 0x4f800000
	v_mov_b32_e32 v9, 0x42000000
	s_mov_b32 s7, 0x41a00000
	s_mov_b32 s14, 0xf800000
	v_mov_b32_e32 v3, 0x260
	s_cmp_lg_u64 s[10:11], 0
	s_cselect_b64 s[8:9], -1, 0
	v_lshlrev_b32_e32 v13, 2, v0
	s_waitcnt vmcnt(0)
	v_lshlrev_b32_e32 v2, 16, v2
	v_mul_f32_e32 v4, 0x3fb8aa3b, v2
	v_cmp_gt_f32_e32 vcc, s12, v4
	v_cndmask_b32_e32 v4, 0, v6, vcc
	v_fmac_f32_e32 v4, 0x3fb8aa3b, v2
	v_exp_f32_e32 v4, v4
	v_cndmask_b32_e32 v5, 1.0, v7, vcc
	v_fma_f32 v4, v4, v5, 1.0
	v_cmp_gt_f32_e32 vcc, s13, v4
	v_cndmask_b32_e32 v5, 1.0, v8, vcc
	v_mul_f32_e32 v4, v4, v5
	v_log_f32_e32 v4, v4
	v_cndmask_b32_e32 v10, 0, v9, vcc
	v_cmp_lt_f32_e32 vcc, s7, v2
	v_mov_b32_e32 v5, s1
	v_sub_f32_e32 v4, v4, v10
	v_mul_f32_e32 v4, 0x3f317218, v4
	v_cndmask_b32_e32 v2, v4, v2, vcc
	v_mul_f32_e32 v4, 0x4f800000, v2
	v_cmp_gt_f32_e32 vcc, s14, v2
	v_cndmask_b32_e32 v2, v2, v4, vcc
	v_sqrt_f32_e32 v10, v2
	v_add_co_u32_e64 v4, s[0:1], s0, v1
	v_addc_co_u32_e64 v5, s[0:1], 0, v5, s[0:1]
	v_add_u32_e32 v1, -1, v10
	v_add_u32_e32 v11, 1, v10
	v_fma_f32 v12, -v1, v10, v2
	v_fma_f32 v14, -v11, v10, v2
	v_cmp_ge_f32_e64 s[2:3], 0, v12
	v_cndmask_b32_e64 v1, v10, v1, s[2:3]
	v_cmp_lt_f32_e64 s[2:3], 0, v14
	v_cndmask_b32_e64 v1, v1, v11, s[2:3]
	v_mul_f32_e32 v10, 0x37800000, v1
	v_cndmask_b32_e32 v1, v1, v10, vcc
	v_cmp_class_f32_e32 vcc, v2, v3
	s_and_b64 s[0:1], exec, s[8:9]
	v_cndmask_b32_e32 v2, v1, v2, vcc
	v_mov_b32_e32 v1, v2
	s_mov_b64 vcc, s[0:1]
	s_cbranch_vccz .LBB230_2
; %bb.1:
	global_load_dword v1, v13, s[10:11]
	s_waitcnt vmcnt(0)
	v_add_f32_e32 v1, v2, v1
.LBB230_2:
	global_load_ushort v10, v[4:5], off offset:128
	s_waitcnt vmcnt(0)
	v_lshlrev_b32_e32 v10, 16, v10
	v_mul_f32_e32 v11, 0x3fb8aa3b, v10
	v_cmp_gt_f32_e32 vcc, s12, v11
	v_cndmask_b32_e32 v6, 0, v6, vcc
	v_fmac_f32_e32 v6, 0x3fb8aa3b, v10
	v_exp_f32_e32 v6, v6
	v_cndmask_b32_e32 v7, 1.0, v7, vcc
	v_fma_f32 v6, v6, v7, 1.0
	v_cmp_gt_f32_e32 vcc, s13, v6
	v_cndmask_b32_e32 v7, 1.0, v8, vcc
	v_mul_f32_e32 v6, v6, v7
	v_log_f32_e32 v6, v6
	v_cndmask_b32_e32 v7, 0, v9, vcc
	v_cmp_lt_f32_e32 vcc, s7, v10
	v_cndmask_b32_e64 v8, 0, 1, s[8:9]
	v_sub_f32_e32 v6, v6, v7
	v_mul_f32_e32 v6, 0x3f317218, v6
	v_cndmask_b32_e32 v6, v6, v10, vcc
	v_mul_f32_e32 v7, 0x4f800000, v6
	v_cmp_gt_f32_e32 vcc, s14, v6
	v_cndmask_b32_e32 v6, v6, v7, vcc
	v_sqrt_f32_e32 v7, v6
	v_cmp_ne_u32_e64 s[0:1], 1, v8
	v_add_u32_e32 v8, -1, v7
	v_add_u32_e32 v9, 1, v7
	v_fma_f32 v10, -v8, v7, v6
	v_fma_f32 v11, -v9, v7, v6
	v_cmp_ge_f32_e64 s[2:3], 0, v10
	v_cndmask_b32_e64 v7, v7, v8, s[2:3]
	v_cmp_lt_f32_e64 s[2:3], 0, v11
	v_cndmask_b32_e64 v7, v7, v9, s[2:3]
	v_mul_f32_e32 v8, 0x37800000, v7
	v_cndmask_b32_e32 v7, v7, v8, vcc
	v_cmp_class_f32_e32 vcc, v6, v3
	v_cndmask_b32_e32 v8, v7, v6, vcc
	s_andn2_b64 vcc, exec, s[8:9]
	v_mov_b32_e32 v6, v8
	s_cbranch_vccnz .LBB230_4
; %bb.3:
	global_load_dword v3, v13, s[10:11] offset:256
	s_waitcnt vmcnt(0)
	v_add_f32_e32 v6, v8, v3
.LBB230_4:
	global_load_ushort v9, v[4:5], off offset:256
	s_mov_b32 s8, 0xc2fc0000
	v_mov_b32_e32 v7, 0x42800000
	v_mov_b32_e32 v3, 0x1f800000
	s_mov_b32 s9, 0x800000
	s_mov_b32 s12, 0xf800000
	s_waitcnt vmcnt(0)
	v_lshlrev_b32_e32 v11, 16, v9
	v_mul_f32_e32 v9, 0x3fb8aa3b, v11
	v_cmp_gt_f32_e32 vcc, s8, v9
	v_cndmask_b32_e32 v9, 0, v7, vcc
	v_fmac_f32_e32 v9, 0x3fb8aa3b, v11
	v_exp_f32_e32 v10, v9
	v_cndmask_b32_e32 v12, 1.0, v3, vcc
	v_mov_b32_e32 v9, 0x4f800000
	v_fma_f32 v10, v10, v12, 1.0
	v_cmp_gt_f32_e32 vcc, s9, v10
	v_cndmask_b32_e32 v12, 1.0, v9, vcc
	v_mul_f32_e32 v10, v10, v12
	v_log_f32_e32 v12, v10
	v_mov_b32_e32 v10, 0x42000000
	v_cndmask_b32_e32 v14, 0, v10, vcc
	v_cmp_lt_f32_e32 vcc, s7, v11
	v_sub_f32_e32 v12, v12, v14
	v_mul_f32_e32 v12, 0x3f317218, v12
	v_cndmask_b32_e32 v11, v12, v11, vcc
	v_mul_f32_e32 v12, 0x4f800000, v11
	v_cmp_gt_f32_e32 vcc, s12, v11
	v_cndmask_b32_e32 v12, v11, v12, vcc
	v_sqrt_f32_e32 v14, v12
	v_mov_b32_e32 v11, 0x260
	v_add_u32_e32 v15, -1, v14
	v_add_u32_e32 v16, 1, v14
	v_fma_f32 v17, -v15, v14, v12
	v_fma_f32 v18, -v16, v14, v12
	v_cmp_ge_f32_e64 s[2:3], 0, v17
	v_cndmask_b32_e64 v14, v14, v15, s[2:3]
	v_cmp_lt_f32_e64 s[2:3], 0, v18
	v_cndmask_b32_e64 v14, v14, v16, s[2:3]
	v_mul_f32_e32 v15, 0x37800000, v14
	v_cndmask_b32_e32 v14, v14, v15, vcc
	v_cmp_class_f32_e32 vcc, v12, v11
	v_cndmask_b32_e32 v14, v14, v12, vcc
	s_and_b64 vcc, exec, s[0:1]
	v_mov_b32_e32 v12, v14
	s_cbranch_vccnz .LBB230_6
; %bb.5:
	global_load_dword v12, v13, s[10:11] offset:512
	s_waitcnt vmcnt(0)
	v_add_f32_e32 v12, v14, v12
.LBB230_6:
	global_load_ushort v4, v[4:5], off offset:384
	s_waitcnt vmcnt(0)
	v_lshlrev_b32_e32 v4, 16, v4
	v_mul_f32_e32 v5, 0x3fb8aa3b, v4
	v_cmp_gt_f32_e32 vcc, s8, v5
	v_cndmask_b32_e32 v5, 0, v7, vcc
	v_fmac_f32_e32 v5, 0x3fb8aa3b, v4
	v_exp_f32_e32 v5, v5
	v_cndmask_b32_e32 v3, 1.0, v3, vcc
	v_fma_f32 v3, v5, v3, 1.0
	v_cmp_gt_f32_e32 vcc, s9, v3
	v_cndmask_b32_e32 v5, 1.0, v9, vcc
	v_mul_f32_e32 v3, v3, v5
	v_log_f32_e32 v3, v3
	v_cndmask_b32_e32 v5, 0, v10, vcc
	v_cmp_lt_f32_e32 vcc, s7, v4
	v_sub_f32_e32 v3, v3, v5
	v_mul_f32_e32 v3, 0x3f317218, v3
	v_cndmask_b32_e32 v3, v3, v4, vcc
	v_mul_f32_e32 v4, 0x4f800000, v3
	v_cmp_gt_f32_e32 vcc, s12, v3
	v_cndmask_b32_e32 v3, v3, v4, vcc
	v_sqrt_f32_e32 v4, v3
	v_add_u32_e32 v5, -1, v4
	v_add_u32_e32 v7, 1, v4
	v_fma_f32 v9, -v5, v4, v3
	v_fma_f32 v10, -v7, v4, v3
	v_cmp_ge_f32_e64 s[2:3], 0, v9
	v_cndmask_b32_e64 v4, v4, v5, s[2:3]
	v_cmp_lt_f32_e64 s[2:3], 0, v10
	v_cndmask_b32_e64 v4, v4, v7, s[2:3]
	v_mul_f32_e32 v5, 0x37800000, v4
	v_cndmask_b32_e32 v4, v4, v5, vcc
	v_cmp_class_f32_e32 vcc, v3, v11
	v_cndmask_b32_e32 v3, v4, v3, vcc
	s_and_b64 vcc, exec, s[0:1]
	v_mov_b32_e32 v5, v3
	s_cbranch_vccnz .LBB230_8
; %bb.7:
	global_load_dword v4, v13, s[10:11] offset:768
	s_waitcnt vmcnt(0)
	v_add_f32_e32 v5, v3, v4
.LBB230_8:
	v_add_u32_e32 v4, 64, v0
	v_cmp_lt_f32_e32 vcc, v1, v6
	v_add_u32_e32 v16, 0x80, v0
	v_add_u32_e32 v7, 0xc0, v0
	v_cndmask_b32_e32 v11, v8, v2, vcc
	v_cndmask_b32_e32 v2, v2, v8, vcc
	;; [unrolled: 1-line block ×6, first 2 shown]
	v_cmp_lt_f32_e32 vcc, v12, v5
	v_mov_b32_e32 v8, v12
	s_and_saveexec_b64 s[0:1], vcc
	s_xor_b64 s[0:1], exec, s[0:1]
; %bb.9:
	v_mov_b32_e32 v8, v16
	v_mov_b32_e32 v15, v12
	;; [unrolled: 1-line block ×4, first 2 shown]
	v_swap_b32 v14, v3
	v_swap_b32 v16, v7
	v_mov_b32_e32 v8, v5
	v_mov_b32_e32 v5, v15
; %bb.10:
	s_or_b64 exec, exec, s[0:1]
	v_cmp_lt_f32_e32 vcc, v6, v12
	v_cndmask_b32_e32 v15, v14, v2, vcc
	v_cndmask_b32_e32 v2, v2, v14, vcc
	;; [unrolled: 1-line block ×6, first 2 shown]
	v_cmp_lt_f32_e32 vcc, v9, v5
	v_mov_b32_e32 v12, v9
	s_and_saveexec_b64 s[0:1], vcc
; %bb.11:
	v_mov_b32_e32 v12, v10
	v_mov_b32_e32 v16, v9
	;; [unrolled: 1-line block ×4, first 2 shown]
	v_swap_b32 v11, v3
	v_swap_b32 v10, v7
	v_mov_b32_e32 v12, v5
	v_mov_b32_e32 v5, v16
; %bb.12:
	s_or_b64 exec, exec, s[0:1]
	s_load_dword s2, s[4:5], 0x28
	s_load_dwordx4 s[8:11], s[4:5], 0x10
	s_waitcnt lgkmcnt(0)
	s_cmp_lt_i32 s2, 1
	s_cbranch_scc1 .LBB230_18
; %bb.13:
	v_cmp_lt_f32_e32 vcc, v9, v14
	v_cndmask_b32_e32 v8, v1, v10, vcc
	v_cndmask_b32_e32 v1, v10, v1, vcc
	;; [unrolled: 1-line block ×4, first 2 shown]
	v_mbcnt_lo_u32_b32 v14, -1, 0
	v_mbcnt_hi_u32_b32 v14, -1, v14
	v_bfrev_b32_e32 v18, 0.5
	v_cndmask_b32_e32 v12, v15, v11, vcc
	v_cndmask_b32_e32 v11, v11, v15, vcc
	v_mov_b32_e32 v16, 0
	v_mov_b32_e32 v15, 0
	;; [unrolled: 1-line block ×3, first 2 shown]
	v_lshl_or_b32 v18, v14, 2, v18
	v_mov_b32_e32 v19, v0
	s_mov_b32 s3, s2
	v_mov_b32_e32 v14, 0
.LBB230_14:                             ; =>This Inner Loop Header: Depth=1
	v_cmp_eq_u32_e32 vcc, 1, v16
	v_cndmask_b32_e32 v20, v6, v9, vcc
	v_cmp_eq_u32_e64 s[0:1], 2, v16
	v_cndmask_b32_e64 v20, v20, v10, s[0:1]
	v_cndmask_b32_e32 v21, v4, v1, vcc
	v_cndmask_b32_e32 v22, v2, v11, vcc
	v_cmp_eq_u32_e32 vcc, 3, v16
	v_cndmask_b32_e32 v20, v20, v5, vcc
	v_cndmask_b32_e64 v21, v21, v8, s[0:1]
	v_cndmask_b32_e64 v22, v22, v12, s[0:1]
	v_cmp_gt_u32_e64 s[0:1], 4, v16
	v_cndmask_b32_e64 v20, v17, v20, s[0:1]
	;;#ASMSTART
	v_max_f32 v24, v20, v20 quad_perm:[1,0,3,2] row_mask:0xf bank_mask:0xf bound_ctrl:1
	;;#ASMEND
	;;#ASMSTART
	v_max_f32 v25, v24, v24 quad_perm:[2,3,0,1] row_mask:0xf bank_mask:0xf bound_ctrl:1
	;;#ASMEND
	;;#ASMSTART
	v_max_f32 v24, v25, v25 row_half_mirror row_mask:0xf bank_mask:0xf bound_ctrl:1
	;;#ASMEND
	;;#ASMSTART
	v_max_f32 v25, v24, v24 row_mirror row_mask:0xf bank_mask:0xf bound_ctrl:1
	;;#ASMEND
	;;#ASMSTART
	v_max_f32 v24, v25, v25 row_ror:4 row_mask:0xf bank_mask:0xf bound_ctrl:1
	;;#ASMEND
	;;#ASMSTART
	v_max_f32 v25, v24, v24 row_ror:8 row_mask:0xf bank_mask:0xf bound_ctrl:1
	;;#ASMEND
	;;#ASMSTART
	v_max_f32 v24, v25, v25 row_bcast:15 row_mask:0xf bank_mask:0xf bound_ctrl:1
	;;#ASMEND
	;;#ASMSTART
	v_max_f32 v25, v24, v24 row_bcast:31 row_mask:0xf bank_mask:0xf bound_ctrl:1
	;;#ASMEND
	ds_bpermute_b32 v24, v18, v25
	v_cndmask_b32_e32 v21, v21, v7, vcc
	v_cndmask_b32_e32 v22, v22, v3, vcc
	v_cndmask_b32_e64 v23, 0, v21, s[0:1]
	s_waitcnt lgkmcnt(0)
	v_cmp_eq_f32_e32 vcc, v20, v24
	s_ff1_i32_b64 s7, vcc
	s_cmp_lg_u64 vcc, 0
	s_cselect_b32 s7, s7, 0
	v_readlane_b32 s7, v23, s7
	v_cmp_eq_u32_e32 vcc, s7, v21
	s_and_b64 vcc, s[0:1], vcc
	s_and_b32 s12, s7, 63
	v_cndmask_b32_e32 v21, 0, v22, vcc
	v_addc_co_u32_e32 v16, vcc, 0, v16, vcc
	v_readlane_b32 s0, v21, s12
	s_add_i32 s3, s3, -1
	v_mov_b32_e32 v20, s7
	v_mov_b32_e32 v21, s0
	v_cmp_eq_u32_e32 vcc, 0, v19
	s_cmp_eq_u32 s3, 0
	v_add_u32_e32 v19, -1, v19
	v_cndmask_b32_e32 v15, v15, v21, vcc
	v_cndmask_b32_e32 v14, v14, v20, vcc
	s_cbranch_scc0 .LBB230_14
; %bb.15:
	v_cmp_gt_i32_e32 vcc, s2, v0
	s_and_saveexec_b64 s[0:1], vcc
	s_cbranch_execz .LBB230_17
.LBB230_16:
	s_load_dword s2, s[4:5], 0x30
	s_load_dwordx2 s[0:1], s[4:5], 0x20
	s_ashr_i32 s3, s6, 31
	s_waitcnt lgkmcnt(0)
	v_mul_f32_e32 v0, s2, v15
	s_mul_i32 s1, s6, s1
	s_mul_hi_u32 s2, s6, s0
	s_add_i32 s1, s2, s1
	s_mul_i32 s3, s3, s0
	s_add_i32 s1, s1, s3
	s_mul_i32 s0, s6, s0
	s_lshl_b64 s[0:1], s[0:1], 2
	s_add_u32 s2, s8, s0
	s_addc_u32 s3, s9, s1
	s_add_u32 s0, s10, s0
	s_addc_u32 s1, s11, s1
	global_store_dword v13, v0, s[2:3]
	global_store_dword v13, v14, s[0:1]
.LBB230_17:
	s_endpgm
.LBB230_18:
	v_mov_b32_e32 v14, 0
	v_mov_b32_e32 v15, 0
	v_cmp_gt_i32_e32 vcc, s2, v0
	s_and_saveexec_b64 s[0:1], vcc
	s_cbranch_execnz .LBB230_16
	s_branch .LBB230_17
	.section	.rodata,"a",@progbits
	.p2align	6, 0x0
	.amdhsa_kernel _ZN5aiter24topk_softplus_kernel_optI12hip_bfloat16fLi256ELb0ELi0EEEvPKT_PKT0_PfPimiif
		.amdhsa_group_segment_fixed_size 0
		.amdhsa_private_segment_fixed_size 0
		.amdhsa_kernarg_size 52
		.amdhsa_user_sgpr_count 6
		.amdhsa_user_sgpr_private_segment_buffer 1
		.amdhsa_user_sgpr_dispatch_ptr 0
		.amdhsa_user_sgpr_queue_ptr 0
		.amdhsa_user_sgpr_kernarg_segment_ptr 1
		.amdhsa_user_sgpr_dispatch_id 0
		.amdhsa_user_sgpr_flat_scratch_init 0
		.amdhsa_user_sgpr_kernarg_preload_length 0
		.amdhsa_user_sgpr_kernarg_preload_offset 0
		.amdhsa_user_sgpr_private_segment_size 0
		.amdhsa_uses_dynamic_stack 0
		.amdhsa_system_sgpr_private_segment_wavefront_offset 0
		.amdhsa_system_sgpr_workgroup_id_x 1
		.amdhsa_system_sgpr_workgroup_id_y 0
		.amdhsa_system_sgpr_workgroup_id_z 0
		.amdhsa_system_sgpr_workgroup_info 0
		.amdhsa_system_vgpr_workitem_id 0
		.amdhsa_next_free_vgpr 26
		.amdhsa_next_free_sgpr 15
		.amdhsa_accum_offset 28
		.amdhsa_reserve_vcc 1
		.amdhsa_reserve_flat_scratch 0
		.amdhsa_float_round_mode_32 0
		.amdhsa_float_round_mode_16_64 0
		.amdhsa_float_denorm_mode_32 3
		.amdhsa_float_denorm_mode_16_64 3
		.amdhsa_dx10_clamp 1
		.amdhsa_ieee_mode 1
		.amdhsa_fp16_overflow 0
		.amdhsa_tg_split 0
		.amdhsa_exception_fp_ieee_invalid_op 0
		.amdhsa_exception_fp_denorm_src 0
		.amdhsa_exception_fp_ieee_div_zero 0
		.amdhsa_exception_fp_ieee_overflow 0
		.amdhsa_exception_fp_ieee_underflow 0
		.amdhsa_exception_fp_ieee_inexact 0
		.amdhsa_exception_int_div_zero 0
	.end_amdhsa_kernel
	.section	.text._ZN5aiter24topk_softplus_kernel_optI12hip_bfloat16fLi256ELb0ELi0EEEvPKT_PKT0_PfPimiif,"axG",@progbits,_ZN5aiter24topk_softplus_kernel_optI12hip_bfloat16fLi256ELb0ELi0EEEvPKT_PKT0_PfPimiif,comdat
.Lfunc_end230:
	.size	_ZN5aiter24topk_softplus_kernel_optI12hip_bfloat16fLi256ELb0ELi0EEEvPKT_PKT0_PfPimiif, .Lfunc_end230-_ZN5aiter24topk_softplus_kernel_optI12hip_bfloat16fLi256ELb0ELi0EEEvPKT_PKT0_PfPimiif
                                        ; -- End function
	.section	.AMDGPU.csdata,"",@progbits
; Kernel info:
; codeLenInByte = 1772
; NumSgprs: 19
; NumVgprs: 26
; NumAgprs: 0
; TotalNumVgprs: 26
; ScratchSize: 0
; MemoryBound: 0
; FloatMode: 240
; IeeeMode: 1
; LDSByteSize: 0 bytes/workgroup (compile time only)
; SGPRBlocks: 2
; VGPRBlocks: 3
; NumSGPRsForWavesPerEU: 19
; NumVGPRsForWavesPerEU: 26
; AccumOffset: 28
; Occupancy: 8
; WaveLimiterHint : 0
; COMPUTE_PGM_RSRC2:SCRATCH_EN: 0
; COMPUTE_PGM_RSRC2:USER_SGPR: 6
; COMPUTE_PGM_RSRC2:TRAP_HANDLER: 0
; COMPUTE_PGM_RSRC2:TGID_X_EN: 1
; COMPUTE_PGM_RSRC2:TGID_Y_EN: 0
; COMPUTE_PGM_RSRC2:TGID_Z_EN: 0
; COMPUTE_PGM_RSRC2:TIDIG_COMP_CNT: 0
; COMPUTE_PGM_RSRC3_GFX90A:ACCUM_OFFSET: 6
; COMPUTE_PGM_RSRC3_GFX90A:TG_SPLIT: 0
	.section	.text._ZN5aiter24topk_softplus_kernel_optI12hip_bfloat16fLi384ELb1ELi0EEEvPKT_PKT0_PfPimiif,"axG",@progbits,_ZN5aiter24topk_softplus_kernel_optI12hip_bfloat16fLi384ELb1ELi0EEEvPKT_PKT0_PfPimiif,comdat
	.protected	_ZN5aiter24topk_softplus_kernel_optI12hip_bfloat16fLi384ELb1ELi0EEEvPKT_PKT0_PfPimiif ; -- Begin function _ZN5aiter24topk_softplus_kernel_optI12hip_bfloat16fLi384ELb1ELi0EEEvPKT_PKT0_PfPimiif
	.globl	_ZN5aiter24topk_softplus_kernel_optI12hip_bfloat16fLi384ELb1ELi0EEEvPKT_PKT0_PfPimiif
	.p2align	8
	.type	_ZN5aiter24topk_softplus_kernel_optI12hip_bfloat16fLi384ELb1ELi0EEEvPKT_PKT0_PfPimiif,@function
_ZN5aiter24topk_softplus_kernel_optI12hip_bfloat16fLi384ELb1ELi0EEEvPKT_PKT0_PfPimiif: ; @_ZN5aiter24topk_softplus_kernel_optI12hip_bfloat16fLi384ELb1ELi0EEEvPKT_PKT0_PfPimiif
; %bb.0:
	s_load_dwordx4 s[8:11], s[4:5], 0x0
	s_mul_i32 s0, s6, 0x180
	s_ashr_i32 s1, s0, 31
	s_lshl_b64 s[0:1], s[0:1], 1
	v_lshlrev_b32_e32 v1, 1, v0
	s_waitcnt lgkmcnt(0)
	s_add_u32 s0, s8, s0
	s_addc_u32 s1, s9, s1
	global_load_ushort v2, v1, s[0:1]
	s_mov_b32 s12, 0xc2fc0000
	v_mov_b32_e32 v6, 0x42800000
	v_mov_b32_e32 v7, 0x1f800000
	s_mov_b32 s13, 0x800000
	v_mov_b32_e32 v8, 0x4f800000
	v_mov_b32_e32 v9, 0x42000000
	s_mov_b32 s7, 0x41a00000
	s_mov_b32 s14, 0xf800000
	v_mov_b32_e32 v5, 0x260
	s_cmp_lg_u64 s[10:11], 0
	s_cselect_b64 s[8:9], -1, 0
	v_lshlrev_b32_e32 v19, 2, v0
	s_waitcnt vmcnt(0)
	v_lshlrev_b32_e32 v2, 16, v2
	v_mul_f32_e32 v3, 0x3fb8aa3b, v2
	v_cmp_gt_f32_e32 vcc, s12, v3
	v_cndmask_b32_e32 v3, 0, v6, vcc
	v_fmac_f32_e32 v3, 0x3fb8aa3b, v2
	v_exp_f32_e32 v3, v3
	v_cndmask_b32_e32 v4, 1.0, v7, vcc
	v_fma_f32 v3, v3, v4, 1.0
	v_cmp_gt_f32_e32 vcc, s13, v3
	v_cndmask_b32_e32 v4, 1.0, v8, vcc
	v_mul_f32_e32 v3, v3, v4
	v_log_f32_e32 v3, v3
	v_cndmask_b32_e32 v10, 0, v9, vcc
	v_cmp_lt_f32_e32 vcc, s7, v2
	v_mov_b32_e32 v4, s1
	v_sub_f32_e32 v3, v3, v10
	v_mul_f32_e32 v3, 0x3f317218, v3
	v_cndmask_b32_e32 v2, v3, v2, vcc
	v_mul_f32_e32 v3, 0x4f800000, v2
	v_cmp_gt_f32_e32 vcc, s14, v2
	v_cndmask_b32_e32 v10, v2, v3, vcc
	v_sqrt_f32_e32 v11, v10
	v_add_co_u32_e64 v2, s[0:1], s0, v1
	v_addc_co_u32_e64 v3, s[0:1], 0, v4, s[0:1]
	v_add_u32_e32 v1, -1, v11
	v_add_u32_e32 v4, 1, v11
	v_fma_f32 v12, -v1, v11, v10
	v_fma_f32 v13, -v4, v11, v10
	v_cmp_ge_f32_e64 s[2:3], 0, v12
	v_cndmask_b32_e64 v1, v11, v1, s[2:3]
	v_cmp_lt_f32_e64 s[2:3], 0, v13
	v_cndmask_b32_e64 v1, v1, v4, s[2:3]
	v_mul_f32_e32 v4, 0x37800000, v1
	v_cndmask_b32_e32 v1, v1, v4, vcc
	v_cmp_class_f32_e32 vcc, v10, v5
	s_and_b64 s[0:1], exec, s[8:9]
	v_cndmask_b32_e32 v4, v1, v10, vcc
	v_mov_b32_e32 v1, v4
	s_mov_b64 vcc, s[0:1]
	s_cbranch_vccz .LBB231_2
; %bb.1:
	global_load_dword v1, v19, s[10:11]
	s_waitcnt vmcnt(0)
	v_add_f32_e32 v1, v4, v1
.LBB231_2:
	global_load_ushort v10, v[2:3], off offset:128
	s_waitcnt vmcnt(0)
	v_lshlrev_b32_e32 v10, 16, v10
	v_mul_f32_e32 v11, 0x3fb8aa3b, v10
	v_cmp_gt_f32_e32 vcc, s12, v11
	v_cndmask_b32_e32 v6, 0, v6, vcc
	v_fmac_f32_e32 v6, 0x3fb8aa3b, v10
	v_exp_f32_e32 v6, v6
	v_cndmask_b32_e32 v7, 1.0, v7, vcc
	v_fma_f32 v6, v6, v7, 1.0
	v_cmp_gt_f32_e32 vcc, s13, v6
	v_cndmask_b32_e32 v7, 1.0, v8, vcc
	v_mul_f32_e32 v6, v6, v7
	v_log_f32_e32 v6, v6
	v_cndmask_b32_e32 v7, 0, v9, vcc
	v_cmp_lt_f32_e32 vcc, s7, v10
	v_cndmask_b32_e64 v8, 0, 1, s[8:9]
	v_sub_f32_e32 v6, v6, v7
	v_mul_f32_e32 v6, 0x3f317218, v6
	v_cndmask_b32_e32 v6, v6, v10, vcc
	v_mul_f32_e32 v7, 0x4f800000, v6
	v_cmp_gt_f32_e32 vcc, s14, v6
	v_cndmask_b32_e32 v6, v6, v7, vcc
	v_sqrt_f32_e32 v7, v6
	v_cmp_ne_u32_e64 s[0:1], 1, v8
	v_add_u32_e32 v8, -1, v7
	v_add_u32_e32 v9, 1, v7
	v_fma_f32 v10, -v8, v7, v6
	v_fma_f32 v11, -v9, v7, v6
	v_cmp_ge_f32_e64 s[2:3], 0, v10
	v_cndmask_b32_e64 v7, v7, v8, s[2:3]
	v_cmp_lt_f32_e64 s[2:3], 0, v11
	v_cndmask_b32_e64 v7, v7, v9, s[2:3]
	v_mul_f32_e32 v8, 0x37800000, v7
	v_cndmask_b32_e32 v7, v7, v8, vcc
	v_cmp_class_f32_e32 vcc, v6, v5
	v_cndmask_b32_e32 v5, v7, v6, vcc
	s_andn2_b64 vcc, exec, s[8:9]
	v_mov_b32_e32 v6, v5
	s_cbranch_vccnz .LBB231_4
; %bb.3:
	global_load_dword v6, v19, s[10:11] offset:256
	s_waitcnt vmcnt(0)
	v_add_f32_e32 v6, v5, v6
.LBB231_4:
	global_load_ushort v7, v[2:3], off offset:256
	s_mov_b32 s8, 0xc2fc0000
	v_mov_b32_e32 v10, 0x42800000
	v_mov_b32_e32 v9, 0x1f800000
	s_mov_b32 s9, 0x800000
	v_mov_b32_e32 v11, 0x4f800000
	s_mov_b32 s12, 0xf800000
	s_waitcnt vmcnt(0)
	v_lshlrev_b32_e32 v7, 16, v7
	v_mul_f32_e32 v8, 0x3fb8aa3b, v7
	v_cmp_gt_f32_e32 vcc, s8, v8
	v_cndmask_b32_e32 v8, 0, v10, vcc
	v_fmac_f32_e32 v8, 0x3fb8aa3b, v7
	v_exp_f32_e32 v8, v8
	v_cndmask_b32_e32 v12, 1.0, v9, vcc
	v_fma_f32 v8, v8, v12, 1.0
	v_cmp_gt_f32_e32 vcc, s9, v8
	v_cndmask_b32_e32 v12, 1.0, v11, vcc
	v_mul_f32_e32 v8, v8, v12
	v_log_f32_e32 v8, v8
	v_mov_b32_e32 v12, 0x42000000
	v_cndmask_b32_e32 v13, 0, v12, vcc
	v_cmp_lt_f32_e32 vcc, s7, v7
	v_sub_f32_e32 v8, v8, v13
	v_mul_f32_e32 v8, 0x3f317218, v8
	v_cndmask_b32_e32 v7, v8, v7, vcc
	v_mul_f32_e32 v8, 0x4f800000, v7
	v_cmp_gt_f32_e32 vcc, s12, v7
	v_cndmask_b32_e32 v7, v7, v8, vcc
	v_sqrt_f32_e32 v8, v7
	v_mov_b32_e32 v13, 0x260
	v_add_u32_e32 v14, -1, v8
	v_add_u32_e32 v15, 1, v8
	v_fma_f32 v16, -v14, v8, v7
	v_fma_f32 v17, -v15, v8, v7
	v_cmp_ge_f32_e64 s[2:3], 0, v16
	v_cndmask_b32_e64 v8, v8, v14, s[2:3]
	v_cmp_lt_f32_e64 s[2:3], 0, v17
	v_cndmask_b32_e64 v8, v8, v15, s[2:3]
	v_mul_f32_e32 v14, 0x37800000, v8
	v_cndmask_b32_e32 v8, v8, v14, vcc
	v_cmp_class_f32_e32 vcc, v7, v13
	v_cndmask_b32_e32 v7, v8, v7, vcc
	s_and_b64 vcc, exec, s[0:1]
	v_mov_b32_e32 v8, v7
	s_cbranch_vccnz .LBB231_6
; %bb.5:
	global_load_dword v8, v19, s[10:11] offset:512
	s_waitcnt vmcnt(0)
	v_add_f32_e32 v8, v7, v8
.LBB231_6:
	global_load_ushort v14, v[2:3], off offset:384
	s_waitcnt vmcnt(0)
	v_lshlrev_b32_e32 v14, 16, v14
	v_mul_f32_e32 v15, 0x3fb8aa3b, v14
	v_cmp_gt_f32_e32 vcc, s8, v15
	v_cndmask_b32_e32 v10, 0, v10, vcc
	v_fmac_f32_e32 v10, 0x3fb8aa3b, v14
	v_exp_f32_e32 v10, v10
	v_cndmask_b32_e32 v9, 1.0, v9, vcc
	v_fma_f32 v9, v10, v9, 1.0
	v_cmp_gt_f32_e32 vcc, s9, v9
	v_cndmask_b32_e32 v10, 1.0, v11, vcc
	v_mul_f32_e32 v9, v9, v10
	v_log_f32_e32 v9, v9
	v_cndmask_b32_e32 v10, 0, v12, vcc
	v_cmp_lt_f32_e32 vcc, s7, v14
	v_sub_f32_e32 v9, v9, v10
	v_mul_f32_e32 v9, 0x3f317218, v9
	v_cndmask_b32_e32 v9, v9, v14, vcc
	v_mul_f32_e32 v10, 0x4f800000, v9
	v_cmp_gt_f32_e32 vcc, s12, v9
	v_cndmask_b32_e32 v9, v9, v10, vcc
	v_sqrt_f32_e32 v10, v9
	v_add_u32_e32 v11, -1, v10
	v_add_u32_e32 v12, 1, v10
	v_fma_f32 v14, -v11, v10, v9
	v_fma_f32 v15, -v12, v10, v9
	v_cmp_ge_f32_e64 s[2:3], 0, v14
	v_cndmask_b32_e64 v10, v10, v11, s[2:3]
	v_cmp_lt_f32_e64 s[2:3], 0, v15
	v_cndmask_b32_e64 v10, v10, v12, s[2:3]
	v_mul_f32_e32 v11, 0x37800000, v10
	v_cndmask_b32_e32 v10, v10, v11, vcc
	v_cmp_class_f32_e32 vcc, v9, v13
	v_cndmask_b32_e32 v9, v10, v9, vcc
	s_and_b64 vcc, exec, s[0:1]
	v_mov_b32_e32 v10, v9
	s_cbranch_vccnz .LBB231_8
; %bb.7:
	global_load_dword v10, v19, s[10:11] offset:768
	s_waitcnt vmcnt(0)
	v_add_f32_e32 v10, v9, v10
.LBB231_8:
	global_load_ushort v11, v[2:3], off offset:512
	v_mov_b32_e32 v14, 0x42800000
	v_mov_b32_e32 v13, 0x1f800000
	v_mov_b32_e32 v15, 0x4f800000
	s_waitcnt vmcnt(0)
	v_lshlrev_b32_e32 v11, 16, v11
	v_mul_f32_e32 v12, 0x3fb8aa3b, v11
	v_cmp_gt_f32_e32 vcc, s8, v12
	v_cndmask_b32_e32 v12, 0, v14, vcc
	v_fmac_f32_e32 v12, 0x3fb8aa3b, v11
	v_exp_f32_e32 v12, v12
	v_cndmask_b32_e32 v16, 1.0, v13, vcc
	v_fma_f32 v12, v12, v16, 1.0
	v_cmp_gt_f32_e32 vcc, s9, v12
	v_cndmask_b32_e32 v16, 1.0, v15, vcc
	v_mul_f32_e32 v12, v12, v16
	v_log_f32_e32 v12, v12
	v_mov_b32_e32 v16, 0x42000000
	v_cndmask_b32_e32 v17, 0, v16, vcc
	v_cmp_lt_f32_e32 vcc, s7, v11
	v_sub_f32_e32 v12, v12, v17
	v_mul_f32_e32 v12, 0x3f317218, v12
	v_cndmask_b32_e32 v11, v12, v11, vcc
	v_mul_f32_e32 v12, 0x4f800000, v11
	v_cmp_gt_f32_e32 vcc, s12, v11
	v_cndmask_b32_e32 v11, v11, v12, vcc
	v_sqrt_f32_e32 v12, v11
	v_mov_b32_e32 v17, 0x260
	v_add_u32_e32 v18, -1, v12
	v_add_u32_e32 v20, 1, v12
	v_fma_f32 v21, -v18, v12, v11
	v_fma_f32 v22, -v20, v12, v11
	v_cmp_ge_f32_e64 s[2:3], 0, v21
	v_cndmask_b32_e64 v12, v12, v18, s[2:3]
	v_cmp_lt_f32_e64 s[2:3], 0, v22
	v_cndmask_b32_e64 v12, v12, v20, s[2:3]
	v_mul_f32_e32 v18, 0x37800000, v12
	v_cndmask_b32_e32 v12, v12, v18, vcc
	v_cmp_class_f32_e32 vcc, v11, v17
	v_cndmask_b32_e32 v11, v12, v11, vcc
	s_and_b64 vcc, exec, s[0:1]
	v_mov_b32_e32 v12, v11
	s_cbranch_vccnz .LBB231_10
; %bb.9:
	global_load_dword v12, v19, s[10:11] offset:1024
	s_waitcnt vmcnt(0)
	v_add_f32_e32 v12, v11, v12
.LBB231_10:
	global_load_ushort v2, v[2:3], off offset:640
	s_waitcnt vmcnt(0)
	v_lshlrev_b32_e32 v2, 16, v2
	v_mul_f32_e32 v3, 0x3fb8aa3b, v2
	v_cmp_gt_f32_e32 vcc, s8, v3
	v_cndmask_b32_e32 v3, 0, v14, vcc
	v_fmac_f32_e32 v3, 0x3fb8aa3b, v2
	v_exp_f32_e32 v3, v3
	v_cndmask_b32_e32 v13, 1.0, v13, vcc
	v_fma_f32 v3, v3, v13, 1.0
	v_cmp_gt_f32_e32 vcc, s9, v3
	v_cndmask_b32_e32 v13, 1.0, v15, vcc
	v_mul_f32_e32 v3, v3, v13
	v_log_f32_e32 v3, v3
	v_cndmask_b32_e32 v13, 0, v16, vcc
	v_cmp_lt_f32_e32 vcc, s7, v2
	v_sub_f32_e32 v3, v3, v13
	v_mul_f32_e32 v3, 0x3f317218, v3
	v_cndmask_b32_e32 v2, v3, v2, vcc
	v_mul_f32_e32 v3, 0x4f800000, v2
	v_cmp_gt_f32_e32 vcc, s12, v2
	v_cndmask_b32_e32 v2, v2, v3, vcc
	v_sqrt_f32_e32 v3, v2
	v_add_u32_e32 v13, -1, v3
	v_add_u32_e32 v14, 1, v3
	v_fma_f32 v15, -v13, v3, v2
	v_fma_f32 v16, -v14, v3, v2
	v_cmp_ge_f32_e64 s[2:3], 0, v15
	v_cndmask_b32_e64 v3, v3, v13, s[2:3]
	v_cmp_lt_f32_e64 s[2:3], 0, v16
	v_cndmask_b32_e64 v3, v3, v14, s[2:3]
	v_mul_f32_e32 v13, 0x37800000, v3
	v_cndmask_b32_e32 v3, v3, v13, vcc
	v_cmp_class_f32_e32 vcc, v2, v17
	v_cndmask_b32_e32 v2, v3, v2, vcc
	s_and_b64 vcc, exec, s[0:1]
	v_mov_b32_e32 v3, v2
	s_cbranch_vccnz .LBB231_12
; %bb.11:
	global_load_dword v3, v19, s[10:11] offset:1280
	s_waitcnt vmcnt(0)
	v_add_f32_e32 v3, v2, v3
.LBB231_12:
	v_add_u32_e32 v13, 64, v0
	v_cmp_lt_f32_e32 vcc, v1, v6
	v_add_u32_e32 v14, 0x80, v0
	v_add_u32_e32 v15, 0xc0, v0
	v_cndmask_b32_e32 v18, v5, v4, vcc
	v_cndmask_b32_e32 v4, v4, v5, vcc
	;; [unrolled: 1-line block ×6, first 2 shown]
	v_cmp_lt_f32_e32 vcc, v8, v10
	v_add_u32_e32 v16, 0x100, v0
	v_add_u32_e32 v17, 0x140, v0
	v_cndmask_b32_e32 v6, v9, v7, vcc
	v_cndmask_b32_e32 v7, v7, v9, vcc
	v_cndmask_b32_e32 v9, v15, v14, vcc
	v_cndmask_b32_e32 v14, v14, v15, vcc
	v_cndmask_b32_e32 v15, v10, v8, vcc
	v_cndmask_b32_e32 v8, v8, v10, vcc
	v_cmp_lt_f32_e32 vcc, v12, v3
	v_cndmask_b32_e32 v10, v2, v11, vcc
	v_cndmask_b32_e32 v2, v11, v2, vcc
	v_cndmask_b32_e32 v11, v17, v16, vcc
	v_cndmask_b32_e32 v16, v16, v17, vcc
	v_cndmask_b32_e32 v17, v3, v12, vcc
	v_cndmask_b32_e32 v3, v12, v3, vcc
	v_cmp_lt_f32_e32 vcc, v1, v8
	;; [unrolled: 7-line block ×7, first 2 shown]
	v_cndmask_b32_e32 v12, v22, v11, vcc
	v_cmp_lt_f32_e64 s[0:1], v26, v27
	v_cndmask_b32_e32 v5, v23, v8, vcc
	v_cndmask_b32_e32 v8, v8, v23, vcc
	;; [unrolled: 1-line block ×3, first 2 shown]
	v_cndmask_b32_e64 v18, v1, v25, s[0:1]
	v_cndmask_b32_e64 v14, v3, v13, s[0:1]
	;; [unrolled: 1-line block ×3, first 2 shown]
	v_cmp_lt_f32_e64 s[2:3], v16, v12
	v_cndmask_b32_e32 v10, v21, v24, vcc
	v_cndmask_b32_e32 v9, v11, v22, vcc
	v_cndmask_b32_e64 v1, v25, v1, s[0:1]
	v_cndmask_b32_e64 v3, v13, v3, s[0:1]
	;; [unrolled: 1-line block ×3, first 2 shown]
	s_and_saveexec_b64 s[0:1], s[2:3]
	s_xor_b64 s[0:1], exec, s[0:1]
; %bb.13:
	v_mov_b32_e32 v13, v20
	v_mov_b32_e32 v21, v15
	v_mov_b32_e32 v22, v16
	v_swap_b32 v16, v12
	v_swap_b32 v20, v8
	;; [unrolled: 1-line block ×3, first 2 shown]
; %bb.14:
	s_or_b64 exec, exec, s[0:1]
	s_load_dword s7, s[4:5], 0x28
	s_load_dwordx4 s[16:19], s[4:5], 0x10
	v_mov_b32_e32 v22, 0
	s_waitcnt lgkmcnt(0)
	s_cmp_lt_i32 s7, 1
	s_cbranch_scc1 .LBB231_20
; %bb.15:
	v_cmp_lt_f32_e32 vcc, v17, v16
	v_cndmask_b32_e32 v13, v15, v14, vcc
	v_cndmask_b32_e32 v14, v14, v15, vcc
	;; [unrolled: 1-line block ×6, first 2 shown]
	v_mbcnt_lo_u32_b32 v20, -1, 0
	v_mbcnt_hi_u32_b32 v20, -1, v20
	v_bfrev_b32_e32 v21, 0.5
	v_mov_b32_e32 v22, 0
	v_mov_b32_e32 v23, 0
	;; [unrolled: 1-line block ×3, first 2 shown]
	v_lshl_or_b32 v25, v20, 2, v21
	v_mov_b32_e32 v26, v0
	s_mov_b32 s20, s7
	v_mov_b32_e32 v20, 0
	v_mov_b32_e32 v21, 0
.LBB231_16:                             ; =>This Inner Loop Header: Depth=1
	v_cmp_eq_u32_e32 vcc, 1, v23
	v_cndmask_b32_e32 v27, v6, v11, vcc
	v_cmp_eq_u32_e64 s[0:1], 2, v23
	v_cndmask_b32_e64 v27, v27, v16, s[0:1]
	v_cmp_eq_u32_e64 s[2:3], 3, v23
	v_cndmask_b32_e64 v27, v27, v15, s[2:3]
	;; [unrolled: 2-line block ×4, first 2 shown]
	v_cmp_gt_u32_e64 s[12:13], 6, v23
	v_cndmask_b32_e64 v27, v24, v27, s[12:13]
	;;#ASMSTART
	v_max_f32 v28, v27, v27 quad_perm:[1,0,3,2] row_mask:0xf bank_mask:0xf bound_ctrl:1
	;;#ASMEND
	;;#ASMSTART
	v_max_f32 v29, v28, v28 quad_perm:[2,3,0,1] row_mask:0xf bank_mask:0xf bound_ctrl:1
	;;#ASMEND
	;;#ASMSTART
	v_max_f32 v28, v29, v29 row_half_mirror row_mask:0xf bank_mask:0xf bound_ctrl:1
	;;#ASMEND
	;;#ASMSTART
	v_max_f32 v29, v28, v28 row_mirror row_mask:0xf bank_mask:0xf bound_ctrl:1
	;;#ASMEND
	;;#ASMSTART
	v_max_f32 v28, v29, v29 row_ror:4 row_mask:0xf bank_mask:0xf bound_ctrl:1
	;;#ASMEND
	;;#ASMSTART
	v_max_f32 v29, v28, v28 row_ror:8 row_mask:0xf bank_mask:0xf bound_ctrl:1
	;;#ASMEND
	;;#ASMSTART
	v_max_f32 v28, v29, v29 row_bcast:15 row_mask:0xf bank_mask:0xf bound_ctrl:1
	;;#ASMEND
	;;#ASMSTART
	v_max_f32 v29, v28, v28 row_bcast:31 row_mask:0xf bank_mask:0xf bound_ctrl:1
	;;#ASMEND
	ds_bpermute_b32 v28, v25, v29
	s_waitcnt lgkmcnt(0)
	v_cmp_eq_f32_e64 s[14:15], v27, v28
	v_cndmask_b32_e32 v27, v4, v3, vcc
	v_cndmask_b32_e64 v27, v27, v14, s[0:1]
	v_cndmask_b32_e64 v27, v27, v13, s[2:3]
	;; [unrolled: 1-line block ×4, first 2 shown]
	s_ff1_i32_b64 s21, s[14:15]
	s_cmp_lg_u64 s[14:15], 0
	s_cselect_b32 s14, s21, 0
	v_cndmask_b32_e64 v28, 0, v27, s[12:13]
	v_readlane_b32 s21, v28, s14
	v_cmp_eq_u32_e64 s[14:15], s21, v27
	v_cndmask_b32_e32 v27, v2, v1, vcc
	v_cndmask_b32_e64 v27, v27, v18, s[0:1]
	v_cndmask_b32_e64 v27, v27, v17, s[2:3]
	;; [unrolled: 1-line block ×4, first 2 shown]
	s_and_b64 vcc, s[12:13], s[14:15]
	s_and_b32 s0, s21, 63
	v_cndmask_b32_e32 v27, 0, v27, vcc
	v_readlane_b32 s2, v27, s0
	v_mov_b32_e32 v27, s2
	v_cmp_eq_u32_e64 s[0:1], 0, v26
	v_cndmask_b32_e64 v21, v21, v27, s[0:1]
	v_mov_b32_e32 v27, s21
	s_add_i32 s20, s20, -1
	v_cndmask_b32_e64 v20, v20, v27, s[0:1]
	v_addc_co_u32_e32 v23, vcc, 0, v23, vcc
	s_cmp_eq_u32 s20, 0
	v_add_f32_e32 v22, s2, v22
	v_add_u32_e32 v26, -1, v26
	s_cbranch_scc0 .LBB231_16
; %bb.17:
	v_cmp_gt_i32_e32 vcc, s7, v0
	s_and_saveexec_b64 s[0:1], vcc
	s_cbranch_execz .LBB231_19
.LBB231_18:
	s_load_dword s2, s[4:5], 0x30
	v_max_f32_e32 v0, v22, v22
	v_max_f32_e32 v0, 0x1e3ce508, v0
	s_waitcnt lgkmcnt(0)
	v_div_scale_f32 v1, s[0:1], v0, v0, s2
	v_rcp_f32_e32 v2, v1
	v_div_scale_f32 v3, vcc, s2, v0, s2
	s_load_dwordx2 s[0:1], s[4:5], 0x20
	v_fma_f32 v4, -v1, v2, 1.0
	v_fmac_f32_e32 v2, v4, v2
	v_mul_f32_e32 v4, v3, v2
	v_fma_f32 v5, -v1, v4, v3
	v_fmac_f32_e32 v4, v5, v2
	v_fma_f32 v1, -v1, v4, v3
	v_div_fmas_f32 v1, v1, v2, v4
	v_div_fixup_f32 v0, v1, v0, s2
	s_ashr_i32 s2, s6, 31
	s_waitcnt lgkmcnt(0)
	s_mul_i32 s1, s6, s1
	s_mul_hi_u32 s3, s6, s0
	s_add_i32 s1, s3, s1
	s_mul_i32 s2, s2, s0
	s_add_i32 s1, s1, s2
	s_mul_i32 s0, s6, s0
	s_lshl_b64 s[0:1], s[0:1], 2
	s_add_u32 s2, s16, s0
	s_addc_u32 s3, s17, s1
	s_add_u32 s0, s18, s0
	v_mul_f32_e32 v0, v21, v0
	s_addc_u32 s1, s19, s1
	global_store_dword v19, v0, s[2:3]
	global_store_dword v19, v20, s[0:1]
.LBB231_19:
	s_endpgm
.LBB231_20:
	v_mov_b32_e32 v20, 0
	v_mov_b32_e32 v21, 0
	v_cmp_gt_i32_e32 vcc, s7, v0
	s_and_saveexec_b64 s[0:1], vcc
	s_cbranch_execnz .LBB231_18
	s_branch .LBB231_19
	.section	.rodata,"a",@progbits
	.p2align	6, 0x0
	.amdhsa_kernel _ZN5aiter24topk_softplus_kernel_optI12hip_bfloat16fLi384ELb1ELi0EEEvPKT_PKT0_PfPimiif
		.amdhsa_group_segment_fixed_size 0
		.amdhsa_private_segment_fixed_size 0
		.amdhsa_kernarg_size 52
		.amdhsa_user_sgpr_count 6
		.amdhsa_user_sgpr_private_segment_buffer 1
		.amdhsa_user_sgpr_dispatch_ptr 0
		.amdhsa_user_sgpr_queue_ptr 0
		.amdhsa_user_sgpr_kernarg_segment_ptr 1
		.amdhsa_user_sgpr_dispatch_id 0
		.amdhsa_user_sgpr_flat_scratch_init 0
		.amdhsa_user_sgpr_kernarg_preload_length 0
		.amdhsa_user_sgpr_kernarg_preload_offset 0
		.amdhsa_user_sgpr_private_segment_size 0
		.amdhsa_uses_dynamic_stack 0
		.amdhsa_system_sgpr_private_segment_wavefront_offset 0
		.amdhsa_system_sgpr_workgroup_id_x 1
		.amdhsa_system_sgpr_workgroup_id_y 0
		.amdhsa_system_sgpr_workgroup_id_z 0
		.amdhsa_system_sgpr_workgroup_info 0
		.amdhsa_system_vgpr_workitem_id 0
		.amdhsa_next_free_vgpr 30
		.amdhsa_next_free_sgpr 22
		.amdhsa_accum_offset 32
		.amdhsa_reserve_vcc 1
		.amdhsa_reserve_flat_scratch 0
		.amdhsa_float_round_mode_32 0
		.amdhsa_float_round_mode_16_64 0
		.amdhsa_float_denorm_mode_32 3
		.amdhsa_float_denorm_mode_16_64 3
		.amdhsa_dx10_clamp 1
		.amdhsa_ieee_mode 1
		.amdhsa_fp16_overflow 0
		.amdhsa_tg_split 0
		.amdhsa_exception_fp_ieee_invalid_op 0
		.amdhsa_exception_fp_denorm_src 0
		.amdhsa_exception_fp_ieee_div_zero 0
		.amdhsa_exception_fp_ieee_overflow 0
		.amdhsa_exception_fp_ieee_underflow 0
		.amdhsa_exception_fp_ieee_inexact 0
		.amdhsa_exception_int_div_zero 0
	.end_amdhsa_kernel
	.section	.text._ZN5aiter24topk_softplus_kernel_optI12hip_bfloat16fLi384ELb1ELi0EEEvPKT_PKT0_PfPimiif,"axG",@progbits,_ZN5aiter24topk_softplus_kernel_optI12hip_bfloat16fLi384ELb1ELi0EEEvPKT_PKT0_PfPimiif,comdat
.Lfunc_end231:
	.size	_ZN5aiter24topk_softplus_kernel_optI12hip_bfloat16fLi384ELb1ELi0EEEvPKT_PKT0_PfPimiif, .Lfunc_end231-_ZN5aiter24topk_softplus_kernel_optI12hip_bfloat16fLi384ELb1ELi0EEEvPKT_PKT0_PfPimiif
                                        ; -- End function
	.section	.AMDGPU.csdata,"",@progbits
; Kernel info:
; codeLenInByte = 2668
; NumSgprs: 26
; NumVgprs: 30
; NumAgprs: 0
; TotalNumVgprs: 30
; ScratchSize: 0
; MemoryBound: 0
; FloatMode: 240
; IeeeMode: 1
; LDSByteSize: 0 bytes/workgroup (compile time only)
; SGPRBlocks: 3
; VGPRBlocks: 3
; NumSGPRsForWavesPerEU: 26
; NumVGPRsForWavesPerEU: 30
; AccumOffset: 32
; Occupancy: 8
; WaveLimiterHint : 0
; COMPUTE_PGM_RSRC2:SCRATCH_EN: 0
; COMPUTE_PGM_RSRC2:USER_SGPR: 6
; COMPUTE_PGM_RSRC2:TRAP_HANDLER: 0
; COMPUTE_PGM_RSRC2:TGID_X_EN: 1
; COMPUTE_PGM_RSRC2:TGID_Y_EN: 0
; COMPUTE_PGM_RSRC2:TGID_Z_EN: 0
; COMPUTE_PGM_RSRC2:TIDIG_COMP_CNT: 0
; COMPUTE_PGM_RSRC3_GFX90A:ACCUM_OFFSET: 7
; COMPUTE_PGM_RSRC3_GFX90A:TG_SPLIT: 0
	.section	.text._ZN5aiter24topk_softplus_kernel_optI12hip_bfloat16fLi384ELb0ELi0EEEvPKT_PKT0_PfPimiif,"axG",@progbits,_ZN5aiter24topk_softplus_kernel_optI12hip_bfloat16fLi384ELb0ELi0EEEvPKT_PKT0_PfPimiif,comdat
	.protected	_ZN5aiter24topk_softplus_kernel_optI12hip_bfloat16fLi384ELb0ELi0EEEvPKT_PKT0_PfPimiif ; -- Begin function _ZN5aiter24topk_softplus_kernel_optI12hip_bfloat16fLi384ELb0ELi0EEEvPKT_PKT0_PfPimiif
	.globl	_ZN5aiter24topk_softplus_kernel_optI12hip_bfloat16fLi384ELb0ELi0EEEvPKT_PKT0_PfPimiif
	.p2align	8
	.type	_ZN5aiter24topk_softplus_kernel_optI12hip_bfloat16fLi384ELb0ELi0EEEvPKT_PKT0_PfPimiif,@function
_ZN5aiter24topk_softplus_kernel_optI12hip_bfloat16fLi384ELb0ELi0EEEvPKT_PKT0_PfPimiif: ; @_ZN5aiter24topk_softplus_kernel_optI12hip_bfloat16fLi384ELb0ELi0EEEvPKT_PKT0_PfPimiif
; %bb.0:
	s_load_dwordx4 s[8:11], s[4:5], 0x0
	s_mul_i32 s0, s6, 0x180
	s_ashr_i32 s1, s0, 31
	s_lshl_b64 s[0:1], s[0:1], 1
	v_lshlrev_b32_e32 v1, 1, v0
	s_waitcnt lgkmcnt(0)
	s_add_u32 s0, s8, s0
	s_addc_u32 s1, s9, s1
	global_load_ushort v2, v1, s[0:1]
	s_mov_b32 s12, 0xc2fc0000
	v_mov_b32_e32 v6, 0x42800000
	v_mov_b32_e32 v7, 0x1f800000
	s_mov_b32 s13, 0x800000
	v_mov_b32_e32 v8, 0x4f800000
	v_mov_b32_e32 v9, 0x42000000
	s_mov_b32 s7, 0x41a00000
	s_mov_b32 s14, 0xf800000
	v_mov_b32_e32 v5, 0x260
	s_cmp_lg_u64 s[10:11], 0
	s_cselect_b64 s[8:9], -1, 0
	v_lshlrev_b32_e32 v19, 2, v0
	s_waitcnt vmcnt(0)
	v_lshlrev_b32_e32 v2, 16, v2
	v_mul_f32_e32 v3, 0x3fb8aa3b, v2
	v_cmp_gt_f32_e32 vcc, s12, v3
	v_cndmask_b32_e32 v3, 0, v6, vcc
	v_fmac_f32_e32 v3, 0x3fb8aa3b, v2
	v_exp_f32_e32 v3, v3
	v_cndmask_b32_e32 v4, 1.0, v7, vcc
	v_fma_f32 v3, v3, v4, 1.0
	v_cmp_gt_f32_e32 vcc, s13, v3
	v_cndmask_b32_e32 v4, 1.0, v8, vcc
	v_mul_f32_e32 v3, v3, v4
	v_log_f32_e32 v3, v3
	v_cndmask_b32_e32 v10, 0, v9, vcc
	v_cmp_lt_f32_e32 vcc, s7, v2
	v_mov_b32_e32 v4, s1
	v_sub_f32_e32 v3, v3, v10
	v_mul_f32_e32 v3, 0x3f317218, v3
	v_cndmask_b32_e32 v2, v3, v2, vcc
	v_mul_f32_e32 v3, 0x4f800000, v2
	v_cmp_gt_f32_e32 vcc, s14, v2
	v_cndmask_b32_e32 v10, v2, v3, vcc
	v_sqrt_f32_e32 v11, v10
	v_add_co_u32_e64 v2, s[0:1], s0, v1
	v_addc_co_u32_e64 v3, s[0:1], 0, v4, s[0:1]
	v_add_u32_e32 v1, -1, v11
	v_add_u32_e32 v4, 1, v11
	v_fma_f32 v12, -v1, v11, v10
	v_fma_f32 v13, -v4, v11, v10
	v_cmp_ge_f32_e64 s[2:3], 0, v12
	v_cndmask_b32_e64 v1, v11, v1, s[2:3]
	v_cmp_lt_f32_e64 s[2:3], 0, v13
	v_cndmask_b32_e64 v1, v1, v4, s[2:3]
	v_mul_f32_e32 v4, 0x37800000, v1
	v_cndmask_b32_e32 v1, v1, v4, vcc
	v_cmp_class_f32_e32 vcc, v10, v5
	s_and_b64 s[0:1], exec, s[8:9]
	v_cndmask_b32_e32 v4, v1, v10, vcc
	v_mov_b32_e32 v1, v4
	s_mov_b64 vcc, s[0:1]
	s_cbranch_vccz .LBB232_2
; %bb.1:
	global_load_dword v1, v19, s[10:11]
	s_waitcnt vmcnt(0)
	v_add_f32_e32 v1, v4, v1
.LBB232_2:
	global_load_ushort v10, v[2:3], off offset:128
	s_waitcnt vmcnt(0)
	v_lshlrev_b32_e32 v10, 16, v10
	v_mul_f32_e32 v11, 0x3fb8aa3b, v10
	v_cmp_gt_f32_e32 vcc, s12, v11
	v_cndmask_b32_e32 v6, 0, v6, vcc
	v_fmac_f32_e32 v6, 0x3fb8aa3b, v10
	v_exp_f32_e32 v6, v6
	v_cndmask_b32_e32 v7, 1.0, v7, vcc
	v_fma_f32 v6, v6, v7, 1.0
	v_cmp_gt_f32_e32 vcc, s13, v6
	v_cndmask_b32_e32 v7, 1.0, v8, vcc
	v_mul_f32_e32 v6, v6, v7
	v_log_f32_e32 v6, v6
	v_cndmask_b32_e32 v7, 0, v9, vcc
	v_cmp_lt_f32_e32 vcc, s7, v10
	v_cndmask_b32_e64 v8, 0, 1, s[8:9]
	v_sub_f32_e32 v6, v6, v7
	v_mul_f32_e32 v6, 0x3f317218, v6
	v_cndmask_b32_e32 v6, v6, v10, vcc
	v_mul_f32_e32 v7, 0x4f800000, v6
	v_cmp_gt_f32_e32 vcc, s14, v6
	v_cndmask_b32_e32 v6, v6, v7, vcc
	v_sqrt_f32_e32 v7, v6
	v_cmp_ne_u32_e64 s[0:1], 1, v8
	v_add_u32_e32 v8, -1, v7
	v_add_u32_e32 v9, 1, v7
	v_fma_f32 v10, -v8, v7, v6
	v_fma_f32 v11, -v9, v7, v6
	v_cmp_ge_f32_e64 s[2:3], 0, v10
	v_cndmask_b32_e64 v7, v7, v8, s[2:3]
	v_cmp_lt_f32_e64 s[2:3], 0, v11
	v_cndmask_b32_e64 v7, v7, v9, s[2:3]
	v_mul_f32_e32 v8, 0x37800000, v7
	v_cndmask_b32_e32 v7, v7, v8, vcc
	v_cmp_class_f32_e32 vcc, v6, v5
	v_cndmask_b32_e32 v5, v7, v6, vcc
	s_andn2_b64 vcc, exec, s[8:9]
	v_mov_b32_e32 v6, v5
	s_cbranch_vccnz .LBB232_4
; %bb.3:
	global_load_dword v6, v19, s[10:11] offset:256
	s_waitcnt vmcnt(0)
	v_add_f32_e32 v6, v5, v6
.LBB232_4:
	global_load_ushort v7, v[2:3], off offset:256
	s_mov_b32 s8, 0xc2fc0000
	v_mov_b32_e32 v10, 0x42800000
	v_mov_b32_e32 v9, 0x1f800000
	s_mov_b32 s9, 0x800000
	v_mov_b32_e32 v11, 0x4f800000
	s_mov_b32 s12, 0xf800000
	s_waitcnt vmcnt(0)
	v_lshlrev_b32_e32 v7, 16, v7
	v_mul_f32_e32 v8, 0x3fb8aa3b, v7
	v_cmp_gt_f32_e32 vcc, s8, v8
	v_cndmask_b32_e32 v8, 0, v10, vcc
	v_fmac_f32_e32 v8, 0x3fb8aa3b, v7
	v_exp_f32_e32 v8, v8
	v_cndmask_b32_e32 v12, 1.0, v9, vcc
	v_fma_f32 v8, v8, v12, 1.0
	v_cmp_gt_f32_e32 vcc, s9, v8
	v_cndmask_b32_e32 v12, 1.0, v11, vcc
	v_mul_f32_e32 v8, v8, v12
	v_log_f32_e32 v8, v8
	v_mov_b32_e32 v12, 0x42000000
	v_cndmask_b32_e32 v13, 0, v12, vcc
	v_cmp_lt_f32_e32 vcc, s7, v7
	v_sub_f32_e32 v8, v8, v13
	v_mul_f32_e32 v8, 0x3f317218, v8
	v_cndmask_b32_e32 v7, v8, v7, vcc
	v_mul_f32_e32 v8, 0x4f800000, v7
	v_cmp_gt_f32_e32 vcc, s12, v7
	v_cndmask_b32_e32 v7, v7, v8, vcc
	v_sqrt_f32_e32 v8, v7
	v_mov_b32_e32 v13, 0x260
	v_add_u32_e32 v14, -1, v8
	v_add_u32_e32 v15, 1, v8
	v_fma_f32 v16, -v14, v8, v7
	v_fma_f32 v17, -v15, v8, v7
	v_cmp_ge_f32_e64 s[2:3], 0, v16
	v_cndmask_b32_e64 v8, v8, v14, s[2:3]
	v_cmp_lt_f32_e64 s[2:3], 0, v17
	v_cndmask_b32_e64 v8, v8, v15, s[2:3]
	v_mul_f32_e32 v14, 0x37800000, v8
	v_cndmask_b32_e32 v8, v8, v14, vcc
	v_cmp_class_f32_e32 vcc, v7, v13
	v_cndmask_b32_e32 v7, v8, v7, vcc
	s_and_b64 vcc, exec, s[0:1]
	v_mov_b32_e32 v8, v7
	s_cbranch_vccnz .LBB232_6
; %bb.5:
	global_load_dword v8, v19, s[10:11] offset:512
	s_waitcnt vmcnt(0)
	v_add_f32_e32 v8, v7, v8
.LBB232_6:
	global_load_ushort v14, v[2:3], off offset:384
	s_waitcnt vmcnt(0)
	v_lshlrev_b32_e32 v14, 16, v14
	v_mul_f32_e32 v15, 0x3fb8aa3b, v14
	v_cmp_gt_f32_e32 vcc, s8, v15
	v_cndmask_b32_e32 v10, 0, v10, vcc
	v_fmac_f32_e32 v10, 0x3fb8aa3b, v14
	v_exp_f32_e32 v10, v10
	v_cndmask_b32_e32 v9, 1.0, v9, vcc
	v_fma_f32 v9, v10, v9, 1.0
	v_cmp_gt_f32_e32 vcc, s9, v9
	v_cndmask_b32_e32 v10, 1.0, v11, vcc
	v_mul_f32_e32 v9, v9, v10
	v_log_f32_e32 v9, v9
	v_cndmask_b32_e32 v10, 0, v12, vcc
	v_cmp_lt_f32_e32 vcc, s7, v14
	v_sub_f32_e32 v9, v9, v10
	v_mul_f32_e32 v9, 0x3f317218, v9
	v_cndmask_b32_e32 v9, v9, v14, vcc
	v_mul_f32_e32 v10, 0x4f800000, v9
	v_cmp_gt_f32_e32 vcc, s12, v9
	v_cndmask_b32_e32 v9, v9, v10, vcc
	v_sqrt_f32_e32 v10, v9
	v_add_u32_e32 v11, -1, v10
	v_add_u32_e32 v12, 1, v10
	v_fma_f32 v14, -v11, v10, v9
	v_fma_f32 v15, -v12, v10, v9
	v_cmp_ge_f32_e64 s[2:3], 0, v14
	v_cndmask_b32_e64 v10, v10, v11, s[2:3]
	v_cmp_lt_f32_e64 s[2:3], 0, v15
	v_cndmask_b32_e64 v10, v10, v12, s[2:3]
	v_mul_f32_e32 v11, 0x37800000, v10
	v_cndmask_b32_e32 v10, v10, v11, vcc
	v_cmp_class_f32_e32 vcc, v9, v13
	v_cndmask_b32_e32 v9, v10, v9, vcc
	s_and_b64 vcc, exec, s[0:1]
	v_mov_b32_e32 v10, v9
	s_cbranch_vccnz .LBB232_8
; %bb.7:
	global_load_dword v10, v19, s[10:11] offset:768
	s_waitcnt vmcnt(0)
	v_add_f32_e32 v10, v9, v10
.LBB232_8:
	global_load_ushort v11, v[2:3], off offset:512
	v_mov_b32_e32 v14, 0x42800000
	v_mov_b32_e32 v13, 0x1f800000
	;; [unrolled: 1-line block ×3, first 2 shown]
	s_waitcnt vmcnt(0)
	v_lshlrev_b32_e32 v11, 16, v11
	v_mul_f32_e32 v12, 0x3fb8aa3b, v11
	v_cmp_gt_f32_e32 vcc, s8, v12
	v_cndmask_b32_e32 v12, 0, v14, vcc
	v_fmac_f32_e32 v12, 0x3fb8aa3b, v11
	v_exp_f32_e32 v12, v12
	v_cndmask_b32_e32 v16, 1.0, v13, vcc
	v_fma_f32 v12, v12, v16, 1.0
	v_cmp_gt_f32_e32 vcc, s9, v12
	v_cndmask_b32_e32 v16, 1.0, v15, vcc
	v_mul_f32_e32 v12, v12, v16
	v_log_f32_e32 v12, v12
	v_mov_b32_e32 v16, 0x42000000
	v_cndmask_b32_e32 v17, 0, v16, vcc
	v_cmp_lt_f32_e32 vcc, s7, v11
	v_sub_f32_e32 v12, v12, v17
	v_mul_f32_e32 v12, 0x3f317218, v12
	v_cndmask_b32_e32 v11, v12, v11, vcc
	v_mul_f32_e32 v12, 0x4f800000, v11
	v_cmp_gt_f32_e32 vcc, s12, v11
	v_cndmask_b32_e32 v11, v11, v12, vcc
	v_sqrt_f32_e32 v12, v11
	v_mov_b32_e32 v17, 0x260
	v_add_u32_e32 v18, -1, v12
	v_add_u32_e32 v20, 1, v12
	v_fma_f32 v21, -v18, v12, v11
	v_fma_f32 v22, -v20, v12, v11
	v_cmp_ge_f32_e64 s[2:3], 0, v21
	v_cndmask_b32_e64 v12, v12, v18, s[2:3]
	v_cmp_lt_f32_e64 s[2:3], 0, v22
	v_cndmask_b32_e64 v12, v12, v20, s[2:3]
	v_mul_f32_e32 v18, 0x37800000, v12
	v_cndmask_b32_e32 v12, v12, v18, vcc
	v_cmp_class_f32_e32 vcc, v11, v17
	v_cndmask_b32_e32 v11, v12, v11, vcc
	s_and_b64 vcc, exec, s[0:1]
	v_mov_b32_e32 v12, v11
	s_cbranch_vccnz .LBB232_10
; %bb.9:
	global_load_dword v12, v19, s[10:11] offset:1024
	s_waitcnt vmcnt(0)
	v_add_f32_e32 v12, v11, v12
.LBB232_10:
	global_load_ushort v2, v[2:3], off offset:640
	s_waitcnt vmcnt(0)
	v_lshlrev_b32_e32 v2, 16, v2
	v_mul_f32_e32 v3, 0x3fb8aa3b, v2
	v_cmp_gt_f32_e32 vcc, s8, v3
	v_cndmask_b32_e32 v3, 0, v14, vcc
	v_fmac_f32_e32 v3, 0x3fb8aa3b, v2
	v_exp_f32_e32 v3, v3
	v_cndmask_b32_e32 v13, 1.0, v13, vcc
	v_fma_f32 v3, v3, v13, 1.0
	v_cmp_gt_f32_e32 vcc, s9, v3
	v_cndmask_b32_e32 v13, 1.0, v15, vcc
	v_mul_f32_e32 v3, v3, v13
	v_log_f32_e32 v3, v3
	v_cndmask_b32_e32 v13, 0, v16, vcc
	v_cmp_lt_f32_e32 vcc, s7, v2
	v_sub_f32_e32 v3, v3, v13
	v_mul_f32_e32 v3, 0x3f317218, v3
	v_cndmask_b32_e32 v2, v3, v2, vcc
	v_mul_f32_e32 v3, 0x4f800000, v2
	v_cmp_gt_f32_e32 vcc, s12, v2
	v_cndmask_b32_e32 v2, v2, v3, vcc
	v_sqrt_f32_e32 v3, v2
	v_add_u32_e32 v13, -1, v3
	v_add_u32_e32 v14, 1, v3
	v_fma_f32 v15, -v13, v3, v2
	v_fma_f32 v16, -v14, v3, v2
	v_cmp_ge_f32_e64 s[2:3], 0, v15
	v_cndmask_b32_e64 v3, v3, v13, s[2:3]
	v_cmp_lt_f32_e64 s[2:3], 0, v16
	v_cndmask_b32_e64 v3, v3, v14, s[2:3]
	v_mul_f32_e32 v13, 0x37800000, v3
	v_cndmask_b32_e32 v3, v3, v13, vcc
	v_cmp_class_f32_e32 vcc, v2, v17
	v_cndmask_b32_e32 v2, v3, v2, vcc
	s_and_b64 vcc, exec, s[0:1]
	v_mov_b32_e32 v3, v2
	s_cbranch_vccnz .LBB232_12
; %bb.11:
	global_load_dword v3, v19, s[10:11] offset:1280
	s_waitcnt vmcnt(0)
	v_add_f32_e32 v3, v2, v3
.LBB232_12:
	v_add_u32_e32 v13, 64, v0
	v_cmp_lt_f32_e32 vcc, v1, v6
	v_add_u32_e32 v14, 0x80, v0
	v_add_u32_e32 v15, 0xc0, v0
	v_cndmask_b32_e32 v18, v5, v4, vcc
	v_cndmask_b32_e32 v4, v4, v5, vcc
	;; [unrolled: 1-line block ×6, first 2 shown]
	v_cmp_lt_f32_e32 vcc, v8, v10
	v_add_u32_e32 v16, 0x100, v0
	v_add_u32_e32 v17, 0x140, v0
	v_cndmask_b32_e32 v6, v9, v7, vcc
	v_cndmask_b32_e32 v7, v7, v9, vcc
	v_cndmask_b32_e32 v9, v15, v14, vcc
	v_cndmask_b32_e32 v14, v14, v15, vcc
	v_cndmask_b32_e32 v15, v10, v8, vcc
	v_cndmask_b32_e32 v8, v8, v10, vcc
	v_cmp_lt_f32_e32 vcc, v12, v3
	v_cndmask_b32_e32 v10, v2, v11, vcc
	v_cndmask_b32_e32 v2, v11, v2, vcc
	v_cndmask_b32_e32 v11, v17, v16, vcc
	v_cndmask_b32_e32 v16, v16, v17, vcc
	v_cndmask_b32_e32 v17, v3, v12, vcc
	v_cndmask_b32_e32 v3, v12, v3, vcc
	v_cmp_lt_f32_e32 vcc, v1, v8
	v_cndmask_b32_e32 v12, v7, v4, vcc
	v_cndmask_b32_e32 v4, v4, v7, vcc
	v_cndmask_b32_e32 v7, v14, v13, vcc
	v_cndmask_b32_e32 v13, v13, v14, vcc
	v_cndmask_b32_e32 v14, v8, v1, vcc
	v_cndmask_b32_e32 v1, v1, v8, vcc
	v_cmp_lt_f32_e32 vcc, v20, v3
	v_cndmask_b32_e32 v8, v2, v18, vcc
	v_cndmask_b32_e32 v18, v18, v2, vcc
	v_cndmask_b32_e32 v21, v16, v5, vcc
	v_cndmask_b32_e32 v5, v5, v16, vcc
	v_cndmask_b32_e32 v22, v3, v20, vcc
	v_cndmask_b32_e32 v3, v20, v3, vcc
	v_cmp_lt_f32_e32 vcc, v15, v17
	v_cndmask_b32_e32 v23, v10, v6, vcc
	v_cndmask_b32_e32 v10, v6, v10, vcc
	v_cndmask_b32_e32 v24, v11, v9, vcc
	v_cndmask_b32_e32 v9, v9, v11, vcc
	v_cndmask_b32_e32 v11, v17, v15, vcc
	v_cndmask_b32_e32 v17, v15, v17, vcc
	v_cmp_lt_f32_e32 vcc, v1, v3
	v_cndmask_b32_e32 v2, v4, v18, vcc
	v_cndmask_b32_e32 v25, v18, v4, vcc
	v_cndmask_b32_e32 v4, v13, v5, vcc
	v_cndmask_b32_e32 v13, v5, v13, vcc
	v_cndmask_b32_e32 v6, v1, v3, vcc
	v_cndmask_b32_e32 v26, v3, v1, vcc
	v_cmp_lt_f32_e32 vcc, v14, v17
	v_cndmask_b32_e32 v20, v10, v12, vcc
	v_cndmask_b32_e32 v1, v12, v10, vcc
	v_cndmask_b32_e32 v15, v9, v7, vcc
	v_cndmask_b32_e32 v3, v7, v9, vcc
	v_cndmask_b32_e32 v16, v17, v14, vcc
	v_cndmask_b32_e32 v27, v14, v17, vcc
	v_cmp_lt_f32_e32 vcc, v22, v11
	v_cndmask_b32_e32 v12, v22, v11, vcc
	v_cmp_lt_f32_e64 s[0:1], v26, v27
	v_cndmask_b32_e32 v5, v23, v8, vcc
	v_cndmask_b32_e32 v8, v8, v23, vcc
	;; [unrolled: 1-line block ×3, first 2 shown]
	v_cndmask_b32_e64 v18, v1, v25, s[0:1]
	v_cndmask_b32_e64 v14, v3, v13, s[0:1]
	;; [unrolled: 1-line block ×3, first 2 shown]
	v_cmp_lt_f32_e64 s[2:3], v16, v12
	v_cndmask_b32_e32 v10, v21, v24, vcc
	v_cndmask_b32_e32 v9, v11, v22, vcc
	v_cndmask_b32_e64 v1, v25, v1, s[0:1]
	v_cndmask_b32_e64 v3, v13, v3, s[0:1]
	v_cndmask_b32_e64 v11, v26, v27, s[0:1]
	s_and_saveexec_b64 s[0:1], s[2:3]
	s_xor_b64 s[0:1], exec, s[0:1]
; %bb.13:
	v_mov_b32_e32 v13, v20
	v_mov_b32_e32 v21, v15
	;; [unrolled: 1-line block ×3, first 2 shown]
	v_swap_b32 v16, v12
	v_swap_b32 v20, v8
	;; [unrolled: 1-line block ×3, first 2 shown]
; %bb.14:
	s_or_b64 exec, exec, s[0:1]
	s_load_dword s7, s[4:5], 0x28
	s_load_dwordx4 s[16:19], s[4:5], 0x10
	s_waitcnt lgkmcnt(0)
	s_cmp_lt_i32 s7, 1
	s_cbranch_scc1 .LBB232_20
; %bb.15:
	v_cmp_lt_f32_e32 vcc, v17, v16
	v_cndmask_b32_e32 v13, v15, v14, vcc
	v_cndmask_b32_e32 v14, v14, v15, vcc
	;; [unrolled: 1-line block ×6, first 2 shown]
	v_mbcnt_lo_u32_b32 v20, -1, 0
	v_mbcnt_hi_u32_b32 v20, -1, v20
	v_bfrev_b32_e32 v24, 0.5
	v_mov_b32_e32 v22, 0
	v_mov_b32_e32 v21, 0
	;; [unrolled: 1-line block ×3, first 2 shown]
	v_lshl_or_b32 v24, v20, 2, v24
	v_mov_b32_e32 v25, v0
	s_mov_b32 s20, s7
	v_mov_b32_e32 v20, 0
.LBB232_16:                             ; =>This Inner Loop Header: Depth=1
	v_cmp_eq_u32_e32 vcc, 1, v22
	v_cndmask_b32_e32 v26, v6, v11, vcc
	v_cmp_eq_u32_e64 s[0:1], 2, v22
	v_cndmask_b32_e64 v26, v26, v16, s[0:1]
	v_cmp_eq_u32_e64 s[2:3], 3, v22
	v_cndmask_b32_e64 v26, v26, v15, s[2:3]
	;; [unrolled: 2-line block ×4, first 2 shown]
	v_cmp_gt_u32_e64 s[12:13], 6, v22
	v_cndmask_b32_e64 v26, v23, v26, s[12:13]
	;;#ASMSTART
	v_max_f32 v27, v26, v26 quad_perm:[1,0,3,2] row_mask:0xf bank_mask:0xf bound_ctrl:1
	;;#ASMEND
	;;#ASMSTART
	v_max_f32 v28, v27, v27 quad_perm:[2,3,0,1] row_mask:0xf bank_mask:0xf bound_ctrl:1
	;;#ASMEND
	;;#ASMSTART
	v_max_f32 v27, v28, v28 row_half_mirror row_mask:0xf bank_mask:0xf bound_ctrl:1
	;;#ASMEND
	;;#ASMSTART
	v_max_f32 v28, v27, v27 row_mirror row_mask:0xf bank_mask:0xf bound_ctrl:1
	;;#ASMEND
	;;#ASMSTART
	v_max_f32 v27, v28, v28 row_ror:4 row_mask:0xf bank_mask:0xf bound_ctrl:1
	;;#ASMEND
	;;#ASMSTART
	v_max_f32 v28, v27, v27 row_ror:8 row_mask:0xf bank_mask:0xf bound_ctrl:1
	;;#ASMEND
	;;#ASMSTART
	v_max_f32 v27, v28, v28 row_bcast:15 row_mask:0xf bank_mask:0xf bound_ctrl:1
	;;#ASMEND
	;;#ASMSTART
	v_max_f32 v28, v27, v27 row_bcast:31 row_mask:0xf bank_mask:0xf bound_ctrl:1
	;;#ASMEND
	ds_bpermute_b32 v27, v24, v28
	s_waitcnt lgkmcnt(0)
	v_cmp_eq_f32_e64 s[14:15], v26, v27
	v_cndmask_b32_e32 v26, v4, v3, vcc
	v_cndmask_b32_e64 v26, v26, v14, s[0:1]
	v_cndmask_b32_e64 v26, v26, v13, s[2:3]
	;; [unrolled: 1-line block ×4, first 2 shown]
	s_ff1_i32_b64 s21, s[14:15]
	s_cmp_lg_u64 s[14:15], 0
	s_cselect_b32 s14, s21, 0
	v_cndmask_b32_e64 v27, 0, v26, s[12:13]
	v_readlane_b32 s21, v27, s14
	v_cmp_eq_u32_e64 s[14:15], s21, v26
	v_cndmask_b32_e32 v26, v2, v1, vcc
	v_cndmask_b32_e64 v26, v26, v18, s[0:1]
	v_cndmask_b32_e64 v26, v26, v17, s[2:3]
	v_cndmask_b32_e64 v26, v26, v8, s[8:9]
	v_cndmask_b32_e64 v26, v26, v5, s[10:11]
	s_and_b64 vcc, s[12:13], s[14:15]
	s_and_b32 s0, s21, 63
	v_cndmask_b32_e32 v26, 0, v26, vcc
	v_readlane_b32 s0, v26, s0
	v_mov_b32_e32 v26, s0
	v_cmp_eq_u32_e64 s[0:1], 0, v25
	v_cndmask_b32_e64 v21, v21, v26, s[0:1]
	v_mov_b32_e32 v26, s21
	s_add_i32 s20, s20, -1
	v_cndmask_b32_e64 v20, v20, v26, s[0:1]
	v_addc_co_u32_e32 v22, vcc, 0, v22, vcc
	s_cmp_eq_u32 s20, 0
	v_add_u32_e32 v25, -1, v25
	s_cbranch_scc0 .LBB232_16
; %bb.17:
	v_cmp_gt_i32_e32 vcc, s7, v0
	s_and_saveexec_b64 s[0:1], vcc
	s_cbranch_execz .LBB232_19
.LBB232_18:
	s_load_dword s2, s[4:5], 0x30
	s_load_dwordx2 s[0:1], s[4:5], 0x20
	s_ashr_i32 s3, s6, 31
	s_waitcnt lgkmcnt(0)
	v_mul_f32_e32 v0, s2, v21
	s_mul_i32 s1, s6, s1
	s_mul_hi_u32 s2, s6, s0
	s_add_i32 s1, s2, s1
	s_mul_i32 s3, s3, s0
	s_add_i32 s1, s1, s3
	s_mul_i32 s0, s6, s0
	s_lshl_b64 s[0:1], s[0:1], 2
	s_add_u32 s2, s16, s0
	s_addc_u32 s3, s17, s1
	s_add_u32 s0, s18, s0
	s_addc_u32 s1, s19, s1
	global_store_dword v19, v0, s[2:3]
	global_store_dword v19, v20, s[0:1]
.LBB232_19:
	s_endpgm
.LBB232_20:
	v_mov_b32_e32 v20, 0
	v_mov_b32_e32 v21, 0
	v_cmp_gt_i32_e32 vcc, s7, v0
	s_and_saveexec_b64 s[0:1], vcc
	s_cbranch_execnz .LBB232_18
	s_branch .LBB232_19
	.section	.rodata,"a",@progbits
	.p2align	6, 0x0
	.amdhsa_kernel _ZN5aiter24topk_softplus_kernel_optI12hip_bfloat16fLi384ELb0ELi0EEEvPKT_PKT0_PfPimiif
		.amdhsa_group_segment_fixed_size 0
		.amdhsa_private_segment_fixed_size 0
		.amdhsa_kernarg_size 52
		.amdhsa_user_sgpr_count 6
		.amdhsa_user_sgpr_private_segment_buffer 1
		.amdhsa_user_sgpr_dispatch_ptr 0
		.amdhsa_user_sgpr_queue_ptr 0
		.amdhsa_user_sgpr_kernarg_segment_ptr 1
		.amdhsa_user_sgpr_dispatch_id 0
		.amdhsa_user_sgpr_flat_scratch_init 0
		.amdhsa_user_sgpr_kernarg_preload_length 0
		.amdhsa_user_sgpr_kernarg_preload_offset 0
		.amdhsa_user_sgpr_private_segment_size 0
		.amdhsa_uses_dynamic_stack 0
		.amdhsa_system_sgpr_private_segment_wavefront_offset 0
		.amdhsa_system_sgpr_workgroup_id_x 1
		.amdhsa_system_sgpr_workgroup_id_y 0
		.amdhsa_system_sgpr_workgroup_id_z 0
		.amdhsa_system_sgpr_workgroup_info 0
		.amdhsa_system_vgpr_workitem_id 0
		.amdhsa_next_free_vgpr 29
		.amdhsa_next_free_sgpr 22
		.amdhsa_accum_offset 32
		.amdhsa_reserve_vcc 1
		.amdhsa_reserve_flat_scratch 0
		.amdhsa_float_round_mode_32 0
		.amdhsa_float_round_mode_16_64 0
		.amdhsa_float_denorm_mode_32 3
		.amdhsa_float_denorm_mode_16_64 3
		.amdhsa_dx10_clamp 1
		.amdhsa_ieee_mode 1
		.amdhsa_fp16_overflow 0
		.amdhsa_tg_split 0
		.amdhsa_exception_fp_ieee_invalid_op 0
		.amdhsa_exception_fp_denorm_src 0
		.amdhsa_exception_fp_ieee_div_zero 0
		.amdhsa_exception_fp_ieee_overflow 0
		.amdhsa_exception_fp_ieee_underflow 0
		.amdhsa_exception_fp_ieee_inexact 0
		.amdhsa_exception_int_div_zero 0
	.end_amdhsa_kernel
	.section	.text._ZN5aiter24topk_softplus_kernel_optI12hip_bfloat16fLi384ELb0ELi0EEEvPKT_PKT0_PfPimiif,"axG",@progbits,_ZN5aiter24topk_softplus_kernel_optI12hip_bfloat16fLi384ELb0ELi0EEEvPKT_PKT0_PfPimiif,comdat
.Lfunc_end232:
	.size	_ZN5aiter24topk_softplus_kernel_optI12hip_bfloat16fLi384ELb0ELi0EEEvPKT_PKT0_PfPimiif, .Lfunc_end232-_ZN5aiter24topk_softplus_kernel_optI12hip_bfloat16fLi384ELb0ELi0EEEvPKT_PKT0_PfPimiif
                                        ; -- End function
	.section	.AMDGPU.csdata,"",@progbits
; Kernel info:
; codeLenInByte = 2568
; NumSgprs: 26
; NumVgprs: 29
; NumAgprs: 0
; TotalNumVgprs: 29
; ScratchSize: 0
; MemoryBound: 0
; FloatMode: 240
; IeeeMode: 1
; LDSByteSize: 0 bytes/workgroup (compile time only)
; SGPRBlocks: 3
; VGPRBlocks: 3
; NumSGPRsForWavesPerEU: 26
; NumVGPRsForWavesPerEU: 29
; AccumOffset: 32
; Occupancy: 8
; WaveLimiterHint : 0
; COMPUTE_PGM_RSRC2:SCRATCH_EN: 0
; COMPUTE_PGM_RSRC2:USER_SGPR: 6
; COMPUTE_PGM_RSRC2:TRAP_HANDLER: 0
; COMPUTE_PGM_RSRC2:TGID_X_EN: 1
; COMPUTE_PGM_RSRC2:TGID_Y_EN: 0
; COMPUTE_PGM_RSRC2:TGID_Z_EN: 0
; COMPUTE_PGM_RSRC2:TIDIG_COMP_CNT: 0
; COMPUTE_PGM_RSRC3_GFX90A:ACCUM_OFFSET: 7
; COMPUTE_PGM_RSRC3_GFX90A:TG_SPLIT: 0
	.section	.text._ZN5aiter20topk_softplus_kernelI12hip_bfloat16fDv4_fLb1ELi0EEEvPKT_PKT0_PfPimiiif,"axG",@progbits,_ZN5aiter20topk_softplus_kernelI12hip_bfloat16fDv4_fLb1ELi0EEEvPKT_PKT0_PfPimiiif,comdat
	.protected	_ZN5aiter20topk_softplus_kernelI12hip_bfloat16fDv4_fLb1ELi0EEEvPKT_PKT0_PfPimiiif ; -- Begin function _ZN5aiter20topk_softplus_kernelI12hip_bfloat16fDv4_fLb1ELi0EEEvPKT_PKT0_PfPimiiif
	.globl	_ZN5aiter20topk_softplus_kernelI12hip_bfloat16fDv4_fLb1ELi0EEEvPKT_PKT0_PfPimiiif
	.p2align	8
	.type	_ZN5aiter20topk_softplus_kernelI12hip_bfloat16fDv4_fLb1ELi0EEEvPKT_PKT0_PfPimiiif,@function
_ZN5aiter20topk_softplus_kernelI12hip_bfloat16fDv4_fLb1ELi0EEEvPKT_PKT0_PfPimiiif: ; @_ZN5aiter20topk_softplus_kernelI12hip_bfloat16fDv4_fLb1ELi0EEEvPKT_PKT0_PfPimiiif
; %bb.0:
	s_load_dwordx2 s[20:21], s[4:5], 0x28
	s_load_dwordx8 s[12:19], s[4:5], 0x0
	v_lshlrev_b32_e32 v1, 2, v0
	v_lshl_add_u32 v12, v0, 4, 0
	s_waitcnt lgkmcnt(0)
	s_ashr_i32 s0, s20, 31
	s_lshr_b32 s0, s0, 30
	s_add_i32 s0, s20, s0
	s_mul_i32 s22, s6, s20
	s_ashr_i32 s7, s0, 2
	s_ashr_i32 s23, s22, 31
	v_cmp_gt_i32_e64 s[0:1], s7, v0
	s_and_saveexec_b64 s[24:25], s[0:1]
	s_cbranch_execz .LBB233_11
; %bb.1:
	s_load_dword s8, s[4:5], 0x44
	s_cmp_lg_u64 s[14:15], 0
	s_cselect_b64 s[2:3], -1, 0
	v_lshlrev_b32_e32 v2, 3, v0
	s_mov_b64 s[26:27], 0
	s_waitcnt lgkmcnt(0)
	s_and_b32 s28, s8, 0xffff
	s_add_u32 s29, s14, 4
	s_addc_u32 s30, s15, 0
	s_add_u32 s31, s14, 8
	s_addc_u32 s33, s15, 0
	;; [unrolled: 2-line block ×3, first 2 shown]
	s_lshl_b64 s[8:9], s[22:23], 1
	s_add_u32 s8, s12, s8
	s_addc_u32 s9, s13, s9
	v_mov_b32_e32 v3, s9
	v_add_co_u32_e32 v6, vcc, s8, v2
	v_cndmask_b32_e64 v2, 0, 1, s[2:3]
	s_mov_b32 s36, 0
	v_addc_co_u32_e32 v7, vcc, 0, v3, vcc
	s_lshl_b32 s37, s28, 3
	v_lshlrev_b32_e32 v8, 2, v0
	s_lshl_b32 s38, s28, 2
	v_lshl_add_u32 v13, v0, 4, 0
	s_lshl_b32 s39, s28, 4
	v_mov_b32_e32 v9, 0
	s_mov_b32 s40, 0xc2fc0000
	v_mov_b32_e32 v14, 0x42800000
	v_mov_b32_e32 v15, 0x1f800000
	s_mov_b32 s41, 0x800000
	v_mov_b32_e32 v16, 0x4f800000
	;; [unrolled: 3-line block ×3, first 2 shown]
	v_cmp_ne_u32_e64 s[2:3], 1, v2
	v_mov_b32_e32 v19, 20
	v_mov_b32_e32 v20, v0
	s_branch .LBB233_3
.LBB233_2:                              ;   in Loop: Header=BB233_3 Depth=1
	ds_write_b128 v13, v[2:5]
	v_mov_b32_e32 v2, s36
	v_add_co_u32_e32 v6, vcc, s37, v6
	v_add_u32_e32 v20, s28, v20
	v_addc_co_u32_e32 v7, vcc, v7, v2, vcc
	v_cmp_le_i32_e32 vcc, s7, v20
	v_add_u32_e32 v8, s38, v8
	s_or_b64 s[26:27], vcc, s[26:27]
	v_add_u32_e32 v13, s39, v13
	s_andn2_b64 exec, exec, s[26:27]
	s_cbranch_execz .LBB233_11
.LBB233_3:                              ; =>This Inner Loop Header: Depth=1
	global_load_dwordx2 v[4:5], v[6:7], off
	s_waitcnt vmcnt(0)
	v_cvt_f32_u32_sdwa v2, v4 dst_sel:DWORD dst_unused:UNUSED_PAD src0_sel:WORD_0
	v_mul_f32_e32 v3, 0x3fb8aa3b, v2
	v_cmp_gt_f32_e32 vcc, s40, v3
	v_cndmask_b32_e32 v3, 0, v14, vcc
	v_fmac_f32_e32 v3, 0x3fb8aa3b, v2
	v_exp_f32_e32 v3, v3
	v_cndmask_b32_e32 v10, 1.0, v15, vcc
	v_fma_f32 v3, v3, v10, 1.0
	v_cmp_gt_f32_e32 vcc, s41, v3
	v_cndmask_b32_e32 v10, 1.0, v16, vcc
	v_mul_f32_e32 v3, v3, v10
	v_log_f32_e32 v3, v3
	v_cndmask_b32_e32 v10, 0, v17, vcc
	v_cmp_lt_u16_e32 vcc, 20, v4
	v_sub_f32_e32 v3, v3, v10
	v_mul_f32_e32 v3, 0x3f317218, v3
	v_cndmask_b32_e32 v2, v3, v2, vcc
	v_mul_f32_e32 v3, 0x4f800000, v2
	v_cmp_gt_f32_e64 s[8:9], s42, v2
	v_cndmask_b32_e64 v2, v2, v3, s[8:9]
	v_sqrt_f32_e32 v3, v2
	s_and_b64 vcc, exec, s[2:3]
	v_add_u32_e32 v10, -1, v3
	v_add_u32_e32 v11, 1, v3
	v_fma_f32 v21, -v10, v3, v2
	v_fma_f32 v22, -v11, v3, v2
	v_cmp_ge_f32_e64 s[10:11], 0, v21
	v_cndmask_b32_e64 v3, v3, v10, s[10:11]
	v_cmp_lt_f32_e64 s[10:11], 0, v22
	v_cndmask_b32_e64 v3, v3, v11, s[10:11]
	v_mul_f32_e32 v10, 0x37800000, v3
	v_cndmask_b32_e64 v3, v3, v10, s[8:9]
	v_cmp_class_f32_e64 s[8:9], v2, v18
	v_cndmask_b32_e64 v2, v3, v2, s[8:9]
	v_lshlrev_b64 v[10:11], 2, v[8:9]
	s_cbranch_vccnz .LBB233_5
; %bb.4:                                ;   in Loop: Header=BB233_3 Depth=1
	v_mov_b32_e32 v3, s15
	v_add_co_u32_e32 v22, vcc, s14, v10
	v_addc_co_u32_e32 v23, vcc, v3, v11, vcc
	global_load_dword v3, v[22:23], off
	s_waitcnt vmcnt(0)
	v_add_f32_e32 v2, v2, v3
.LBB233_5:                              ;   in Loop: Header=BB233_3 Depth=1
	v_cvt_f32_u32_sdwa v3, v4 dst_sel:DWORD dst_unused:UNUSED_PAD src0_sel:WORD_1
	v_mul_f32_e32 v21, 0x3fb8aa3b, v3
	v_cmp_gt_f32_e32 vcc, s40, v21
	v_cndmask_b32_e32 v21, 0, v14, vcc
	v_fmac_f32_e32 v21, 0x3fb8aa3b, v3
	v_exp_f32_e32 v21, v21
	v_cndmask_b32_e32 v22, 1.0, v15, vcc
	v_fma_f32 v21, v21, v22, 1.0
	v_cmp_gt_f32_e32 vcc, s41, v21
	v_cndmask_b32_e32 v22, 1.0, v16, vcc
	v_mul_f32_e32 v21, v21, v22
	v_log_f32_e32 v21, v21
	v_cndmask_b32_e32 v22, 0, v17, vcc
	v_cmp_gt_u16_sdwa vcc, v4, v19 src0_sel:WORD_1 src1_sel:DWORD
	v_sub_f32_e32 v21, v21, v22
	v_mul_f32_e32 v21, 0x3f317218, v21
	v_cndmask_b32_e32 v3, v21, v3, vcc
	v_mul_f32_e32 v4, 0x4f800000, v3
	v_cmp_gt_f32_e64 s[8:9], s42, v3
	v_cndmask_b32_e64 v3, v3, v4, s[8:9]
	v_sqrt_f32_e32 v4, v3
	s_and_b64 vcc, exec, s[2:3]
	v_add_u32_e32 v21, -1, v4
	v_add_u32_e32 v22, 1, v4
	v_fma_f32 v23, -v21, v4, v3
	v_fma_f32 v24, -v22, v4, v3
	v_cmp_ge_f32_e64 s[10:11], 0, v23
	v_cndmask_b32_e64 v4, v4, v21, s[10:11]
	v_cmp_lt_f32_e64 s[10:11], 0, v24
	v_cndmask_b32_e64 v4, v4, v22, s[10:11]
	v_mul_f32_e32 v21, 0x37800000, v4
	v_cndmask_b32_e64 v4, v4, v21, s[8:9]
	v_cmp_class_f32_e64 s[8:9], v3, v18
	v_cndmask_b32_e64 v3, v4, v3, s[8:9]
	s_cbranch_vccnz .LBB233_7
; %bb.6:                                ;   in Loop: Header=BB233_3 Depth=1
	v_mov_b32_e32 v4, s30
	v_add_co_u32_e32 v22, vcc, s29, v10
	v_addc_co_u32_e32 v23, vcc, v4, v11, vcc
	global_load_dword v4, v[22:23], off
	s_waitcnt vmcnt(0)
	v_add_f32_e32 v3, v3, v4
.LBB233_7:                              ;   in Loop: Header=BB233_3 Depth=1
	v_cvt_f32_u32_sdwa v4, v5 dst_sel:DWORD dst_unused:UNUSED_PAD src0_sel:WORD_0
	v_mul_f32_e32 v21, 0x3fb8aa3b, v4
	v_cmp_gt_f32_e32 vcc, s40, v21
	v_cndmask_b32_e32 v21, 0, v14, vcc
	v_fmac_f32_e32 v21, 0x3fb8aa3b, v4
	v_exp_f32_e32 v21, v21
	v_cndmask_b32_e32 v22, 1.0, v15, vcc
	v_fma_f32 v21, v21, v22, 1.0
	v_cmp_gt_f32_e32 vcc, s41, v21
	v_cndmask_b32_e32 v22, 1.0, v16, vcc
	v_mul_f32_e32 v21, v21, v22
	v_log_f32_e32 v21, v21
	v_cndmask_b32_e32 v22, 0, v17, vcc
	v_cmp_lt_u16_e32 vcc, 20, v5
	v_sub_f32_e32 v21, v21, v22
	v_mul_f32_e32 v21, 0x3f317218, v21
	v_cndmask_b32_e32 v4, v21, v4, vcc
	v_mul_f32_e32 v21, 0x4f800000, v4
	v_cmp_gt_f32_e64 s[8:9], s42, v4
	v_cndmask_b32_e64 v4, v4, v21, s[8:9]
	v_sqrt_f32_e32 v21, v4
	s_and_b64 vcc, exec, s[2:3]
	v_add_u32_e32 v22, -1, v21
	v_add_u32_e32 v23, 1, v21
	v_fma_f32 v24, -v22, v21, v4
	v_fma_f32 v25, -v23, v21, v4
	v_cmp_ge_f32_e64 s[10:11], 0, v24
	v_cndmask_b32_e64 v21, v21, v22, s[10:11]
	v_cmp_lt_f32_e64 s[10:11], 0, v25
	v_cndmask_b32_e64 v21, v21, v23, s[10:11]
	v_mul_f32_e32 v22, 0x37800000, v21
	v_cndmask_b32_e64 v21, v21, v22, s[8:9]
	v_cmp_class_f32_e64 s[8:9], v4, v18
	v_cndmask_b32_e64 v4, v21, v4, s[8:9]
	s_cbranch_vccnz .LBB233_9
; %bb.8:                                ;   in Loop: Header=BB233_3 Depth=1
	v_mov_b32_e32 v21, s33
	v_add_co_u32_e32 v22, vcc, s31, v10
	v_addc_co_u32_e32 v23, vcc, v21, v11, vcc
	global_load_dword v21, v[22:23], off
	s_waitcnt vmcnt(0)
	v_add_f32_e32 v4, v4, v21
.LBB233_9:                              ;   in Loop: Header=BB233_3 Depth=1
	v_cvt_f32_u32_sdwa v21, v5 dst_sel:DWORD dst_unused:UNUSED_PAD src0_sel:WORD_1
	v_mul_f32_e32 v22, 0x3fb8aa3b, v21
	v_cmp_gt_f32_e32 vcc, s40, v22
	v_cndmask_b32_e32 v22, 0, v14, vcc
	v_fmac_f32_e32 v22, 0x3fb8aa3b, v21
	v_exp_f32_e32 v22, v22
	v_cndmask_b32_e32 v23, 1.0, v15, vcc
	v_fma_f32 v22, v22, v23, 1.0
	v_cmp_gt_f32_e32 vcc, s41, v22
	v_cndmask_b32_e32 v23, 1.0, v16, vcc
	v_mul_f32_e32 v22, v22, v23
	v_log_f32_e32 v22, v22
	v_cndmask_b32_e32 v23, 0, v17, vcc
	v_cmp_gt_u16_sdwa vcc, v5, v19 src0_sel:WORD_1 src1_sel:DWORD
	v_sub_f32_e32 v22, v22, v23
	v_mul_f32_e32 v22, 0x3f317218, v22
	v_cndmask_b32_e32 v5, v22, v21, vcc
	v_mul_f32_e32 v21, 0x4f800000, v5
	v_cmp_gt_f32_e64 s[8:9], s42, v5
	v_cndmask_b32_e64 v5, v5, v21, s[8:9]
	v_sqrt_f32_e32 v21, v5
	s_and_b64 vcc, exec, s[2:3]
	v_add_u32_e32 v22, -1, v21
	v_add_u32_e32 v23, 1, v21
	v_fma_f32 v24, -v22, v21, v5
	v_fma_f32 v25, -v23, v21, v5
	v_cmp_ge_f32_e64 s[10:11], 0, v24
	v_cndmask_b32_e64 v21, v21, v22, s[10:11]
	v_cmp_lt_f32_e64 s[10:11], 0, v25
	v_cndmask_b32_e64 v21, v21, v23, s[10:11]
	v_mul_f32_e32 v22, 0x37800000, v21
	v_cndmask_b32_e64 v21, v21, v22, s[8:9]
	v_cmp_class_f32_e64 s[8:9], v5, v18
	v_cndmask_b32_e64 v5, v21, v5, s[8:9]
	s_cbranch_vccnz .LBB233_2
; %bb.10:                               ;   in Loop: Header=BB233_3 Depth=1
	v_mov_b32_e32 v21, s35
	v_add_co_u32_e32 v10, vcc, s34, v10
	v_addc_co_u32_e32 v11, vcc, v21, v11, vcc
	global_load_dword v10, v[10:11], off
	s_waitcnt vmcnt(0)
	v_add_f32_e32 v5, v5, v10
	s_branch .LBB233_2
.LBB233_11:
	s_or_b64 exec, exec, s[24:25]
	v_lshl_add_u32 v2, s7, 2, v0
	v_cmp_gt_i32_e32 vcc, s20, v2
	s_and_saveexec_b64 s[10:11], vcc
	s_cbranch_execz .LBB233_16
; %bb.12:
	s_load_dword s8, s[4:5], 0x44
	s_lshl_b64 s[2:3], s[22:23], 1
	s_add_u32 s22, s12, s2
	s_addc_u32 s9, s13, s3
	s_cmp_lg_u64 s[14:15], 0
	s_cselect_b64 s[2:3], -1, 0
	s_waitcnt lgkmcnt(0)
	s_and_b32 s23, s8, 0xffff
	s_lshl_b32 s8, s7, 4
	s_add_i32 s8, s8, 0
	v_cndmask_b32_e64 v3, 0, 1, s[2:3]
	s_mov_b64 s[12:13], 0
	v_lshl_add_u32 v4, v0, 2, s8
	s_lshl_b32 s24, s23, 2
	v_mov_b32_e32 v5, s9
	s_mov_b32 s25, 0x41a00000
	s_mov_b32 s26, 0xc2fc0000
	v_mov_b32_e32 v6, 0x42800000
	v_mov_b32_e32 v7, 0x1f800000
	s_mov_b32 s27, 0x800000
	v_mov_b32_e32 v8, 0x4f800000
	v_mov_b32_e32 v9, 0x42000000
	s_mov_b32 s28, 0xf800000
	v_mov_b32_e32 v10, 0x260
	v_cmp_ne_u32_e64 s[2:3], 1, v3
	s_branch .LBB233_14
.LBB233_13:                             ;   in Loop: Header=BB233_14 Depth=1
	v_add_u32_e32 v2, s23, v2
	v_cmp_le_i32_e32 vcc, s20, v2
	s_or_b64 s[12:13], vcc, s[12:13]
	v_add_u32_e32 v4, s24, v4
	s_andn2_b64 exec, exec, s[12:13]
	s_cbranch_execz .LBB233_16
.LBB233_14:                             ; =>This Inner Loop Header: Depth=1
	v_ashrrev_i32_e32 v3, 31, v2
	v_lshlrev_b64 v[14:15], 1, v[2:3]
	v_add_co_u32_e32 v14, vcc, s22, v14
	v_addc_co_u32_e32 v15, vcc, v5, v15, vcc
	global_load_ushort v11, v[14:15], off
	s_waitcnt vmcnt(0)
	v_lshlrev_b32_e32 v11, 16, v11
	v_mul_f32_e32 v13, 0x3fb8aa3b, v11
	v_cmp_gt_f32_e32 vcc, s26, v13
	v_cndmask_b32_e32 v13, 0, v6, vcc
	v_fmac_f32_e32 v13, 0x3fb8aa3b, v11
	v_exp_f32_e32 v13, v13
	v_cndmask_b32_e32 v14, 1.0, v7, vcc
	v_fma_f32 v13, v13, v14, 1.0
	v_cmp_gt_f32_e32 vcc, s27, v13
	v_cndmask_b32_e32 v14, 1.0, v8, vcc
	v_mul_f32_e32 v13, v13, v14
	v_log_f32_e32 v13, v13
	v_cndmask_b32_e32 v14, 0, v9, vcc
	v_cmp_lt_f32_e32 vcc, s25, v11
	v_sub_f32_e32 v13, v13, v14
	v_mul_f32_e32 v13, 0x3f317218, v13
	v_cndmask_b32_e32 v11, v13, v11, vcc
	v_mul_f32_e32 v13, 0x4f800000, v11
	v_cmp_gt_f32_e32 vcc, s28, v11
	v_cndmask_b32_e32 v11, v11, v13, vcc
	v_sqrt_f32_e32 v13, v11
	v_add_u32_e32 v14, -1, v13
	v_add_u32_e32 v15, 1, v13
	v_fma_f32 v16, -v14, v13, v11
	v_fma_f32 v17, -v15, v13, v11
	v_cmp_ge_f32_e64 s[8:9], 0, v16
	v_cndmask_b32_e64 v13, v13, v14, s[8:9]
	v_cmp_lt_f32_e64 s[8:9], 0, v17
	v_cndmask_b32_e64 v13, v13, v15, s[8:9]
	v_mul_f32_e32 v14, 0x37800000, v13
	v_cndmask_b32_e32 v13, v13, v14, vcc
	v_cmp_class_f32_e32 vcc, v11, v10
	v_cndmask_b32_e32 v11, v13, v11, vcc
	s_and_b64 vcc, exec, s[2:3]
	ds_write_b32 v4, v11
	s_cbranch_vccnz .LBB233_13
; %bb.15:                               ;   in Loop: Header=BB233_14 Depth=1
	v_lshlrev_b64 v[14:15], 2, v[2:3]
	v_mov_b32_e32 v3, s15
	v_add_co_u32_e32 v14, vcc, s14, v14
	v_addc_co_u32_e32 v15, vcc, v3, v15, vcc
	global_load_dword v3, v[14:15], off
	s_waitcnt vmcnt(0)
	v_add_f32_e32 v3, v11, v3
	ds_write_b32 v4, v3
	s_branch .LBB233_13
.LBB233_16:
	s_or_b64 exec, exec, s[10:11]
	s_cmp_lt_i32 s21, 1
	v_mov_b32_e32 v3, 0
	s_waitcnt lgkmcnt(0)
	s_barrier
	s_cbranch_scc1 .LBB233_25
; %bb.17:
	s_add_u32 s2, s4, 56
	s_addc_u32 s3, s5, 0
	v_mbcnt_lo_u32_b32 v2, -1, 0
	s_cmp_lg_u64 s[14:15], 0
	v_mbcnt_hi_u32_b32 v2, -1, v2
	v_bfrev_b32_e32 v4, 0.5
	s_cselect_b64 s[8:9], -1, 0
	s_mov_b32 s20, 0
	v_mov_b32_e32 v3, 0
	v_lshl_or_b32 v5, v2, 2, v4
	v_mov_b32_e32 v6, 0xff800000
	v_mov_b32_e32 v2, 0
	;; [unrolled: 1-line block ×3, first 2 shown]
	s_branch .LBB233_19
.LBB233_18:                             ;   in Loop: Header=BB233_19 Depth=1
	s_lshl_b32 s11, s10, 2
	s_add_i32 s11, s11, 0
	v_mov_b32_e32 v7, s11
	ds_write_b32 v7, v6
	v_mov_b32_e32 v7, s10
	v_cmp_eq_u32_e32 vcc, s20, v0
	s_add_i32 s20, s20, 1
	v_cndmask_b32_e32 v2, v2, v7, vcc
	v_cndmask_b32_e32 v3, v3, v9, vcc
	s_cmp_eq_u32 s20, s21
	v_add_f32_e32 v4, v4, v9
	s_cbranch_scc1 .LBB233_26
.LBB233_19:                             ; =>This Loop Header: Depth=1
                                        ;     Child Loop BB233_21 Depth 2
	v_mov_b32_e32 v7, s20
	v_mov_b32_e32 v8, 0xff800000
	s_and_saveexec_b64 s[10:11], s[0:1]
	s_cbranch_execz .LBB233_23
; %bb.20:                               ;   in Loop: Header=BB233_19 Depth=1
	s_load_dword s22, s[2:3], 0xc
	s_mov_b64 s[12:13], 0
	v_mov_b32_e32 v7, s20
	v_mov_b32_e32 v8, 0xff800000
	;; [unrolled: 1-line block ×3, first 2 shown]
	s_waitcnt lgkmcnt(0)
	s_and_b32 s22, s22, 0xffff
	s_lshl_b32 s23, s22, 2
	s_lshl_b32 s24, s22, 4
	v_mov_b32_e32 v10, v1
	v_mov_b32_e32 v11, v0
.LBB233_21:                             ;   Parent Loop BB233_19 Depth=1
                                        ; =>  This Inner Loop Header: Depth=2
	ds_read_b128 v[14:17], v9
	v_add_u32_e32 v11, s22, v11
	v_cmp_le_i32_e32 vcc, s7, v11
	s_or_b64 s[12:13], vcc, s[12:13]
	v_add_u32_e32 v13, 1, v10
	s_waitcnt lgkmcnt(0)
	v_cmp_gt_f32_e32 vcc, v14, v8
	v_cndmask_b32_e32 v8, v8, v14, vcc
	v_cndmask_b32_e32 v7, v7, v10, vcc
	v_cmp_gt_f32_e32 vcc, v15, v8
	v_cndmask_b32_e32 v8, v8, v15, vcc
	v_cndmask_b32_e32 v7, v7, v13, vcc
	v_cmp_gt_f32_e32 vcc, v16, v8
	v_add_u32_e32 v18, 2, v10
	v_cndmask_b32_e32 v8, v8, v16, vcc
	v_add_u32_e32 v19, 3, v10
	v_cndmask_b32_e32 v7, v7, v18, vcc
	v_cmp_gt_f32_e32 vcc, v17, v8
	v_add_u32_e32 v9, s24, v9
	v_add_u32_e32 v10, s23, v10
	v_cndmask_b32_e32 v8, v8, v17, vcc
	v_cndmask_b32_e32 v7, v7, v19, vcc
	s_andn2_b64 exec, exec, s[12:13]
	s_cbranch_execnz .LBB233_21
; %bb.22:                               ;   in Loop: Header=BB233_19 Depth=1
	s_or_b64 exec, exec, s[12:13]
.LBB233_23:                             ;   in Loop: Header=BB233_19 Depth=1
	s_or_b64 exec, exec, s[10:11]
	;;#ASMSTART
	v_max_f32 v9, v8, v8 quad_perm:[1,0,3,2] row_mask:0xf bank_mask:0xf bound_ctrl:1
	;;#ASMEND
	;;#ASMSTART
	v_max_f32 v10, v9, v9 quad_perm:[2,3,0,1] row_mask:0xf bank_mask:0xf bound_ctrl:1
	;;#ASMEND
	;;#ASMSTART
	v_max_f32 v9, v10, v10 row_half_mirror row_mask:0xf bank_mask:0xf bound_ctrl:1
	;;#ASMEND
	;;#ASMSTART
	v_max_f32 v10, v9, v9 row_mirror row_mask:0xf bank_mask:0xf bound_ctrl:1
	;;#ASMEND
	;;#ASMSTART
	v_max_f32 v9, v10, v10 row_ror:4 row_mask:0xf bank_mask:0xf bound_ctrl:1
	;;#ASMEND
	;;#ASMSTART
	v_max_f32 v10, v9, v9 row_ror:8 row_mask:0xf bank_mask:0xf bound_ctrl:1
	;;#ASMEND
	;;#ASMSTART
	v_max_f32 v9, v10, v10 row_bcast:15 row_mask:0xf bank_mask:0xf bound_ctrl:1
	;;#ASMEND
	;;#ASMSTART
	v_max_f32 v10, v9, v9 row_bcast:31 row_mask:0xf bank_mask:0xf bound_ctrl:1
	;;#ASMEND
	ds_bpermute_b32 v9, v5, v10
	s_waitcnt lgkmcnt(0)
	v_cmp_eq_f32_e32 vcc, v8, v9
	s_ff1_i32_b64 s10, vcc
	s_cmp_lg_u64 vcc, 0
	s_cselect_b32 s10, s10, 0
	s_and_b64 vcc, exec, s[8:9]
	v_readlane_b32 s10, v7, s10
	s_cbranch_vccz .LBB233_18
; %bb.24:                               ;   in Loop: Header=BB233_19 Depth=1
	s_ashr_i32 s11, s10, 31
	s_lshl_b64 s[12:13], s[10:11], 2
	s_add_u32 s12, s14, s12
	s_addc_u32 s13, s15, s13
	s_load_dword s11, s[12:13], 0x0
	s_waitcnt lgkmcnt(0)
	v_subrev_f32_e32 v9, s11, v9
	s_branch .LBB233_18
.LBB233_25:
	v_mov_b32_e32 v2, 0
	v_mov_b32_e32 v4, 0
.LBB233_26:
	v_cmp_gt_i32_e32 vcc, s21, v0
	s_and_saveexec_b64 s[0:1], vcc
	s_cbranch_execz .LBB233_29
; %bb.27:
	s_load_dword s2, s[4:5], 0x34
	v_max_f32_e32 v1, v4, v4
	v_max_f32_e32 v1, 0x1e3ce508, v1
	s_load_dword s3, s[4:5], 0x44
	s_waitcnt lgkmcnt(0)
	v_div_scale_f32 v4, s[0:1], v1, v1, s2
	s_load_dwordx2 s[0:1], s[4:5], 0x20
	v_rcp_f32_e32 v5, v4
	v_div_scale_f32 v6, vcc, s2, v1, s2
	s_and_b32 s3, s3, 0xffff
	v_fma_f32 v7, -v4, v5, 1.0
	v_fmac_f32_e32 v5, v7, v5
	v_mul_f32_e32 v7, v6, v5
	v_fma_f32 v8, -v4, v7, v6
	v_fmac_f32_e32 v7, v8, v5
	v_fma_f32 v4, -v4, v7, v6
	v_div_fmas_f32 v4, v4, v5, v7
	v_div_fixup_f32 v1, v4, v1, s2
	s_ashr_i32 s2, s6, 31
	s_waitcnt lgkmcnt(0)
	s_mul_i32 s1, s6, s1
	s_mul_hi_u32 s4, s6, s0
	s_add_i32 s1, s4, s1
	s_mul_i32 s2, s2, s0
	s_add_i32 s4, s1, s2
	v_mul_f32_e32 v1, v3, v1
	s_mul_i32 s2, s6, s0
	s_mov_b64 s[0:1], 0
	v_mov_b32_e32 v3, s4
	v_mov_b32_e32 v4, s17
	;; [unrolled: 1-line block ×3, first 2 shown]
.LBB233_28:                             ; =>This Inner Loop Header: Depth=1
	v_ashrrev_i32_e32 v7, 31, v0
	v_add_co_u32_e32 v6, vcc, s2, v0
	v_addc_co_u32_e32 v7, vcc, v3, v7, vcc
	v_add_u32_e32 v0, s3, v0
	v_cmp_le_i32_e32 vcc, s21, v0
	v_lshlrev_b64 v[6:7], 2, v[6:7]
	s_or_b64 s[0:1], vcc, s[0:1]
	v_add_co_u32_e32 v8, vcc, s16, v6
	v_addc_co_u32_e32 v9, vcc, v4, v7, vcc
	v_add_co_u32_e32 v6, vcc, s18, v6
	v_addc_co_u32_e32 v7, vcc, v5, v7, vcc
	global_store_dword v[8:9], v1, off
	global_store_dword v[6:7], v2, off
	s_andn2_b64 exec, exec, s[0:1]
	s_cbranch_execnz .LBB233_28
.LBB233_29:
	s_endpgm
	.section	.rodata,"a",@progbits
	.p2align	6, 0x0
	.amdhsa_kernel _ZN5aiter20topk_softplus_kernelI12hip_bfloat16fDv4_fLb1ELi0EEEvPKT_PKT0_PfPimiiif
		.amdhsa_group_segment_fixed_size 0
		.amdhsa_private_segment_fixed_size 0
		.amdhsa_kernarg_size 312
		.amdhsa_user_sgpr_count 6
		.amdhsa_user_sgpr_private_segment_buffer 1
		.amdhsa_user_sgpr_dispatch_ptr 0
		.amdhsa_user_sgpr_queue_ptr 0
		.amdhsa_user_sgpr_kernarg_segment_ptr 1
		.amdhsa_user_sgpr_dispatch_id 0
		.amdhsa_user_sgpr_flat_scratch_init 0
		.amdhsa_user_sgpr_kernarg_preload_length 0
		.amdhsa_user_sgpr_kernarg_preload_offset 0
		.amdhsa_user_sgpr_private_segment_size 0
		.amdhsa_uses_dynamic_stack 0
		.amdhsa_system_sgpr_private_segment_wavefront_offset 0
		.amdhsa_system_sgpr_workgroup_id_x 1
		.amdhsa_system_sgpr_workgroup_id_y 0
		.amdhsa_system_sgpr_workgroup_id_z 0
		.amdhsa_system_sgpr_workgroup_info 0
		.amdhsa_system_vgpr_workitem_id 0
		.amdhsa_next_free_vgpr 26
		.amdhsa_next_free_sgpr 43
		.amdhsa_accum_offset 28
		.amdhsa_reserve_vcc 1
		.amdhsa_reserve_flat_scratch 0
		.amdhsa_float_round_mode_32 0
		.amdhsa_float_round_mode_16_64 0
		.amdhsa_float_denorm_mode_32 3
		.amdhsa_float_denorm_mode_16_64 3
		.amdhsa_dx10_clamp 1
		.amdhsa_ieee_mode 1
		.amdhsa_fp16_overflow 0
		.amdhsa_tg_split 0
		.amdhsa_exception_fp_ieee_invalid_op 0
		.amdhsa_exception_fp_denorm_src 0
		.amdhsa_exception_fp_ieee_div_zero 0
		.amdhsa_exception_fp_ieee_overflow 0
		.amdhsa_exception_fp_ieee_underflow 0
		.amdhsa_exception_fp_ieee_inexact 0
		.amdhsa_exception_int_div_zero 0
	.end_amdhsa_kernel
	.section	.text._ZN5aiter20topk_softplus_kernelI12hip_bfloat16fDv4_fLb1ELi0EEEvPKT_PKT0_PfPimiiif,"axG",@progbits,_ZN5aiter20topk_softplus_kernelI12hip_bfloat16fDv4_fLb1ELi0EEEvPKT_PKT0_PfPimiiif,comdat
.Lfunc_end233:
	.size	_ZN5aiter20topk_softplus_kernelI12hip_bfloat16fDv4_fLb1ELi0EEEvPKT_PKT0_PfPimiiif, .Lfunc_end233-_ZN5aiter20topk_softplus_kernelI12hip_bfloat16fDv4_fLb1ELi0EEEvPKT_PKT0_PfPimiiif
                                        ; -- End function
	.section	.AMDGPU.csdata,"",@progbits
; Kernel info:
; codeLenInByte = 2548
; NumSgprs: 47
; NumVgprs: 26
; NumAgprs: 0
; TotalNumVgprs: 26
; ScratchSize: 0
; MemoryBound: 0
; FloatMode: 240
; IeeeMode: 1
; LDSByteSize: 0 bytes/workgroup (compile time only)
; SGPRBlocks: 5
; VGPRBlocks: 3
; NumSGPRsForWavesPerEU: 47
; NumVGPRsForWavesPerEU: 26
; AccumOffset: 28
; Occupancy: 8
; WaveLimiterHint : 0
; COMPUTE_PGM_RSRC2:SCRATCH_EN: 0
; COMPUTE_PGM_RSRC2:USER_SGPR: 6
; COMPUTE_PGM_RSRC2:TRAP_HANDLER: 0
; COMPUTE_PGM_RSRC2:TGID_X_EN: 1
; COMPUTE_PGM_RSRC2:TGID_Y_EN: 0
; COMPUTE_PGM_RSRC2:TGID_Z_EN: 0
; COMPUTE_PGM_RSRC2:TIDIG_COMP_CNT: 0
; COMPUTE_PGM_RSRC3_GFX90A:ACCUM_OFFSET: 6
; COMPUTE_PGM_RSRC3_GFX90A:TG_SPLIT: 0
	.section	.text._ZN5aiter20topk_softplus_kernelI12hip_bfloat16fDv4_fLb0ELi0EEEvPKT_PKT0_PfPimiiif,"axG",@progbits,_ZN5aiter20topk_softplus_kernelI12hip_bfloat16fDv4_fLb0ELi0EEEvPKT_PKT0_PfPimiiif,comdat
	.protected	_ZN5aiter20topk_softplus_kernelI12hip_bfloat16fDv4_fLb0ELi0EEEvPKT_PKT0_PfPimiiif ; -- Begin function _ZN5aiter20topk_softplus_kernelI12hip_bfloat16fDv4_fLb0ELi0EEEvPKT_PKT0_PfPimiiif
	.globl	_ZN5aiter20topk_softplus_kernelI12hip_bfloat16fDv4_fLb0ELi0EEEvPKT_PKT0_PfPimiiif
	.p2align	8
	.type	_ZN5aiter20topk_softplus_kernelI12hip_bfloat16fDv4_fLb0ELi0EEEvPKT_PKT0_PfPimiiif,@function
_ZN5aiter20topk_softplus_kernelI12hip_bfloat16fDv4_fLb0ELi0EEEvPKT_PKT0_PfPimiiif: ; @_ZN5aiter20topk_softplus_kernelI12hip_bfloat16fDv4_fLb0ELi0EEEvPKT_PKT0_PfPimiiif
; %bb.0:
	s_load_dwordx2 s[20:21], s[4:5], 0x28
	s_load_dwordx8 s[12:19], s[4:5], 0x0
	v_lshlrev_b32_e32 v1, 2, v0
	v_lshl_add_u32 v12, v0, 4, 0
	s_waitcnt lgkmcnt(0)
	s_ashr_i32 s0, s20, 31
	s_lshr_b32 s0, s0, 30
	s_add_i32 s0, s20, s0
	s_mul_i32 s22, s6, s20
	s_ashr_i32 s7, s0, 2
	s_ashr_i32 s23, s22, 31
	v_cmp_gt_i32_e64 s[0:1], s7, v0
	s_and_saveexec_b64 s[24:25], s[0:1]
	s_cbranch_execz .LBB234_11
; %bb.1:
	s_load_dword s8, s[4:5], 0x44
	s_cmp_lg_u64 s[14:15], 0
	s_cselect_b64 s[2:3], -1, 0
	v_lshlrev_b32_e32 v2, 3, v0
	s_mov_b64 s[26:27], 0
	s_waitcnt lgkmcnt(0)
	s_and_b32 s28, s8, 0xffff
	s_add_u32 s29, s14, 4
	s_addc_u32 s30, s15, 0
	s_add_u32 s31, s14, 8
	s_addc_u32 s33, s15, 0
	;; [unrolled: 2-line block ×3, first 2 shown]
	s_lshl_b64 s[8:9], s[22:23], 1
	s_add_u32 s8, s12, s8
	s_addc_u32 s9, s13, s9
	v_mov_b32_e32 v3, s9
	v_add_co_u32_e32 v6, vcc, s8, v2
	v_cndmask_b32_e64 v2, 0, 1, s[2:3]
	s_mov_b32 s36, 0
	v_addc_co_u32_e32 v7, vcc, 0, v3, vcc
	s_lshl_b32 s37, s28, 3
	v_lshlrev_b32_e32 v8, 2, v0
	s_lshl_b32 s38, s28, 2
	v_lshl_add_u32 v13, v0, 4, 0
	s_lshl_b32 s39, s28, 4
	v_mov_b32_e32 v9, 0
	s_mov_b32 s40, 0xc2fc0000
	v_mov_b32_e32 v14, 0x42800000
	v_mov_b32_e32 v15, 0x1f800000
	s_mov_b32 s41, 0x800000
	v_mov_b32_e32 v16, 0x4f800000
	;; [unrolled: 3-line block ×3, first 2 shown]
	v_cmp_ne_u32_e64 s[2:3], 1, v2
	v_mov_b32_e32 v19, 20
	v_mov_b32_e32 v20, v0
	s_branch .LBB234_3
.LBB234_2:                              ;   in Loop: Header=BB234_3 Depth=1
	ds_write_b128 v13, v[2:5]
	v_mov_b32_e32 v2, s36
	v_add_co_u32_e32 v6, vcc, s37, v6
	v_add_u32_e32 v20, s28, v20
	v_addc_co_u32_e32 v7, vcc, v7, v2, vcc
	v_cmp_le_i32_e32 vcc, s7, v20
	v_add_u32_e32 v8, s38, v8
	s_or_b64 s[26:27], vcc, s[26:27]
	v_add_u32_e32 v13, s39, v13
	s_andn2_b64 exec, exec, s[26:27]
	s_cbranch_execz .LBB234_11
.LBB234_3:                              ; =>This Inner Loop Header: Depth=1
	global_load_dwordx2 v[4:5], v[6:7], off
	s_waitcnt vmcnt(0)
	v_cvt_f32_u32_sdwa v2, v4 dst_sel:DWORD dst_unused:UNUSED_PAD src0_sel:WORD_0
	v_mul_f32_e32 v3, 0x3fb8aa3b, v2
	v_cmp_gt_f32_e32 vcc, s40, v3
	v_cndmask_b32_e32 v3, 0, v14, vcc
	v_fmac_f32_e32 v3, 0x3fb8aa3b, v2
	v_exp_f32_e32 v3, v3
	v_cndmask_b32_e32 v10, 1.0, v15, vcc
	v_fma_f32 v3, v3, v10, 1.0
	v_cmp_gt_f32_e32 vcc, s41, v3
	v_cndmask_b32_e32 v10, 1.0, v16, vcc
	v_mul_f32_e32 v3, v3, v10
	v_log_f32_e32 v3, v3
	v_cndmask_b32_e32 v10, 0, v17, vcc
	v_cmp_lt_u16_e32 vcc, 20, v4
	v_sub_f32_e32 v3, v3, v10
	v_mul_f32_e32 v3, 0x3f317218, v3
	v_cndmask_b32_e32 v2, v3, v2, vcc
	v_mul_f32_e32 v3, 0x4f800000, v2
	v_cmp_gt_f32_e64 s[8:9], s42, v2
	v_cndmask_b32_e64 v2, v2, v3, s[8:9]
	v_sqrt_f32_e32 v3, v2
	s_and_b64 vcc, exec, s[2:3]
	v_add_u32_e32 v10, -1, v3
	v_add_u32_e32 v11, 1, v3
	v_fma_f32 v21, -v10, v3, v2
	v_fma_f32 v22, -v11, v3, v2
	v_cmp_ge_f32_e64 s[10:11], 0, v21
	v_cndmask_b32_e64 v3, v3, v10, s[10:11]
	v_cmp_lt_f32_e64 s[10:11], 0, v22
	v_cndmask_b32_e64 v3, v3, v11, s[10:11]
	v_mul_f32_e32 v10, 0x37800000, v3
	v_cndmask_b32_e64 v3, v3, v10, s[8:9]
	v_cmp_class_f32_e64 s[8:9], v2, v18
	v_cndmask_b32_e64 v2, v3, v2, s[8:9]
	v_lshlrev_b64 v[10:11], 2, v[8:9]
	s_cbranch_vccnz .LBB234_5
; %bb.4:                                ;   in Loop: Header=BB234_3 Depth=1
	v_mov_b32_e32 v3, s15
	v_add_co_u32_e32 v22, vcc, s14, v10
	v_addc_co_u32_e32 v23, vcc, v3, v11, vcc
	global_load_dword v3, v[22:23], off
	s_waitcnt vmcnt(0)
	v_add_f32_e32 v2, v2, v3
.LBB234_5:                              ;   in Loop: Header=BB234_3 Depth=1
	v_cvt_f32_u32_sdwa v3, v4 dst_sel:DWORD dst_unused:UNUSED_PAD src0_sel:WORD_1
	v_mul_f32_e32 v21, 0x3fb8aa3b, v3
	v_cmp_gt_f32_e32 vcc, s40, v21
	v_cndmask_b32_e32 v21, 0, v14, vcc
	v_fmac_f32_e32 v21, 0x3fb8aa3b, v3
	v_exp_f32_e32 v21, v21
	v_cndmask_b32_e32 v22, 1.0, v15, vcc
	v_fma_f32 v21, v21, v22, 1.0
	v_cmp_gt_f32_e32 vcc, s41, v21
	v_cndmask_b32_e32 v22, 1.0, v16, vcc
	v_mul_f32_e32 v21, v21, v22
	v_log_f32_e32 v21, v21
	v_cndmask_b32_e32 v22, 0, v17, vcc
	v_cmp_gt_u16_sdwa vcc, v4, v19 src0_sel:WORD_1 src1_sel:DWORD
	v_sub_f32_e32 v21, v21, v22
	v_mul_f32_e32 v21, 0x3f317218, v21
	v_cndmask_b32_e32 v3, v21, v3, vcc
	v_mul_f32_e32 v4, 0x4f800000, v3
	v_cmp_gt_f32_e64 s[8:9], s42, v3
	v_cndmask_b32_e64 v3, v3, v4, s[8:9]
	v_sqrt_f32_e32 v4, v3
	s_and_b64 vcc, exec, s[2:3]
	v_add_u32_e32 v21, -1, v4
	v_add_u32_e32 v22, 1, v4
	v_fma_f32 v23, -v21, v4, v3
	v_fma_f32 v24, -v22, v4, v3
	v_cmp_ge_f32_e64 s[10:11], 0, v23
	v_cndmask_b32_e64 v4, v4, v21, s[10:11]
	v_cmp_lt_f32_e64 s[10:11], 0, v24
	v_cndmask_b32_e64 v4, v4, v22, s[10:11]
	v_mul_f32_e32 v21, 0x37800000, v4
	v_cndmask_b32_e64 v4, v4, v21, s[8:9]
	v_cmp_class_f32_e64 s[8:9], v3, v18
	v_cndmask_b32_e64 v3, v4, v3, s[8:9]
	s_cbranch_vccnz .LBB234_7
; %bb.6:                                ;   in Loop: Header=BB234_3 Depth=1
	v_mov_b32_e32 v4, s30
	v_add_co_u32_e32 v22, vcc, s29, v10
	v_addc_co_u32_e32 v23, vcc, v4, v11, vcc
	global_load_dword v4, v[22:23], off
	s_waitcnt vmcnt(0)
	v_add_f32_e32 v3, v3, v4
.LBB234_7:                              ;   in Loop: Header=BB234_3 Depth=1
	v_cvt_f32_u32_sdwa v4, v5 dst_sel:DWORD dst_unused:UNUSED_PAD src0_sel:WORD_0
	v_mul_f32_e32 v21, 0x3fb8aa3b, v4
	v_cmp_gt_f32_e32 vcc, s40, v21
	v_cndmask_b32_e32 v21, 0, v14, vcc
	v_fmac_f32_e32 v21, 0x3fb8aa3b, v4
	v_exp_f32_e32 v21, v21
	v_cndmask_b32_e32 v22, 1.0, v15, vcc
	v_fma_f32 v21, v21, v22, 1.0
	v_cmp_gt_f32_e32 vcc, s41, v21
	v_cndmask_b32_e32 v22, 1.0, v16, vcc
	v_mul_f32_e32 v21, v21, v22
	v_log_f32_e32 v21, v21
	v_cndmask_b32_e32 v22, 0, v17, vcc
	v_cmp_lt_u16_e32 vcc, 20, v5
	v_sub_f32_e32 v21, v21, v22
	v_mul_f32_e32 v21, 0x3f317218, v21
	v_cndmask_b32_e32 v4, v21, v4, vcc
	v_mul_f32_e32 v21, 0x4f800000, v4
	v_cmp_gt_f32_e64 s[8:9], s42, v4
	v_cndmask_b32_e64 v4, v4, v21, s[8:9]
	v_sqrt_f32_e32 v21, v4
	s_and_b64 vcc, exec, s[2:3]
	v_add_u32_e32 v22, -1, v21
	v_add_u32_e32 v23, 1, v21
	v_fma_f32 v24, -v22, v21, v4
	v_fma_f32 v25, -v23, v21, v4
	v_cmp_ge_f32_e64 s[10:11], 0, v24
	v_cndmask_b32_e64 v21, v21, v22, s[10:11]
	v_cmp_lt_f32_e64 s[10:11], 0, v25
	v_cndmask_b32_e64 v21, v21, v23, s[10:11]
	v_mul_f32_e32 v22, 0x37800000, v21
	v_cndmask_b32_e64 v21, v21, v22, s[8:9]
	v_cmp_class_f32_e64 s[8:9], v4, v18
	v_cndmask_b32_e64 v4, v21, v4, s[8:9]
	s_cbranch_vccnz .LBB234_9
; %bb.8:                                ;   in Loop: Header=BB234_3 Depth=1
	v_mov_b32_e32 v21, s33
	v_add_co_u32_e32 v22, vcc, s31, v10
	v_addc_co_u32_e32 v23, vcc, v21, v11, vcc
	global_load_dword v21, v[22:23], off
	s_waitcnt vmcnt(0)
	v_add_f32_e32 v4, v4, v21
.LBB234_9:                              ;   in Loop: Header=BB234_3 Depth=1
	v_cvt_f32_u32_sdwa v21, v5 dst_sel:DWORD dst_unused:UNUSED_PAD src0_sel:WORD_1
	v_mul_f32_e32 v22, 0x3fb8aa3b, v21
	v_cmp_gt_f32_e32 vcc, s40, v22
	v_cndmask_b32_e32 v22, 0, v14, vcc
	v_fmac_f32_e32 v22, 0x3fb8aa3b, v21
	v_exp_f32_e32 v22, v22
	v_cndmask_b32_e32 v23, 1.0, v15, vcc
	v_fma_f32 v22, v22, v23, 1.0
	v_cmp_gt_f32_e32 vcc, s41, v22
	v_cndmask_b32_e32 v23, 1.0, v16, vcc
	v_mul_f32_e32 v22, v22, v23
	v_log_f32_e32 v22, v22
	v_cndmask_b32_e32 v23, 0, v17, vcc
	v_cmp_gt_u16_sdwa vcc, v5, v19 src0_sel:WORD_1 src1_sel:DWORD
	v_sub_f32_e32 v22, v22, v23
	v_mul_f32_e32 v22, 0x3f317218, v22
	v_cndmask_b32_e32 v5, v22, v21, vcc
	v_mul_f32_e32 v21, 0x4f800000, v5
	v_cmp_gt_f32_e64 s[8:9], s42, v5
	v_cndmask_b32_e64 v5, v5, v21, s[8:9]
	v_sqrt_f32_e32 v21, v5
	s_and_b64 vcc, exec, s[2:3]
	v_add_u32_e32 v22, -1, v21
	v_add_u32_e32 v23, 1, v21
	v_fma_f32 v24, -v22, v21, v5
	v_fma_f32 v25, -v23, v21, v5
	v_cmp_ge_f32_e64 s[10:11], 0, v24
	v_cndmask_b32_e64 v21, v21, v22, s[10:11]
	v_cmp_lt_f32_e64 s[10:11], 0, v25
	v_cndmask_b32_e64 v21, v21, v23, s[10:11]
	v_mul_f32_e32 v22, 0x37800000, v21
	v_cndmask_b32_e64 v21, v21, v22, s[8:9]
	v_cmp_class_f32_e64 s[8:9], v5, v18
	v_cndmask_b32_e64 v5, v21, v5, s[8:9]
	s_cbranch_vccnz .LBB234_2
; %bb.10:                               ;   in Loop: Header=BB234_3 Depth=1
	v_mov_b32_e32 v21, s35
	v_add_co_u32_e32 v10, vcc, s34, v10
	v_addc_co_u32_e32 v11, vcc, v21, v11, vcc
	global_load_dword v10, v[10:11], off
	s_waitcnt vmcnt(0)
	v_add_f32_e32 v5, v5, v10
	s_branch .LBB234_2
.LBB234_11:
	s_or_b64 exec, exec, s[24:25]
	v_lshl_add_u32 v2, s7, 2, v0
	v_cmp_gt_i32_e32 vcc, s20, v2
	s_and_saveexec_b64 s[10:11], vcc
	s_cbranch_execz .LBB234_16
; %bb.12:
	s_load_dword s8, s[4:5], 0x44
	s_lshl_b64 s[2:3], s[22:23], 1
	s_add_u32 s22, s12, s2
	s_addc_u32 s9, s13, s3
	s_cmp_lg_u64 s[14:15], 0
	s_cselect_b64 s[2:3], -1, 0
	s_waitcnt lgkmcnt(0)
	s_and_b32 s23, s8, 0xffff
	s_lshl_b32 s8, s7, 4
	s_add_i32 s8, s8, 0
	v_cndmask_b32_e64 v3, 0, 1, s[2:3]
	s_mov_b64 s[12:13], 0
	v_lshl_add_u32 v4, v0, 2, s8
	s_lshl_b32 s24, s23, 2
	v_mov_b32_e32 v5, s9
	s_mov_b32 s25, 0x41a00000
	s_mov_b32 s26, 0xc2fc0000
	v_mov_b32_e32 v6, 0x42800000
	v_mov_b32_e32 v7, 0x1f800000
	s_mov_b32 s27, 0x800000
	v_mov_b32_e32 v8, 0x4f800000
	v_mov_b32_e32 v9, 0x42000000
	s_mov_b32 s28, 0xf800000
	v_mov_b32_e32 v10, 0x260
	v_cmp_ne_u32_e64 s[2:3], 1, v3
	s_branch .LBB234_14
.LBB234_13:                             ;   in Loop: Header=BB234_14 Depth=1
	v_add_u32_e32 v2, s23, v2
	v_cmp_le_i32_e32 vcc, s20, v2
	s_or_b64 s[12:13], vcc, s[12:13]
	v_add_u32_e32 v4, s24, v4
	s_andn2_b64 exec, exec, s[12:13]
	s_cbranch_execz .LBB234_16
.LBB234_14:                             ; =>This Inner Loop Header: Depth=1
	v_ashrrev_i32_e32 v3, 31, v2
	v_lshlrev_b64 v[14:15], 1, v[2:3]
	v_add_co_u32_e32 v14, vcc, s22, v14
	v_addc_co_u32_e32 v15, vcc, v5, v15, vcc
	global_load_ushort v11, v[14:15], off
	s_waitcnt vmcnt(0)
	v_lshlrev_b32_e32 v11, 16, v11
	v_mul_f32_e32 v13, 0x3fb8aa3b, v11
	v_cmp_gt_f32_e32 vcc, s26, v13
	v_cndmask_b32_e32 v13, 0, v6, vcc
	v_fmac_f32_e32 v13, 0x3fb8aa3b, v11
	v_exp_f32_e32 v13, v13
	v_cndmask_b32_e32 v14, 1.0, v7, vcc
	v_fma_f32 v13, v13, v14, 1.0
	v_cmp_gt_f32_e32 vcc, s27, v13
	v_cndmask_b32_e32 v14, 1.0, v8, vcc
	v_mul_f32_e32 v13, v13, v14
	v_log_f32_e32 v13, v13
	v_cndmask_b32_e32 v14, 0, v9, vcc
	v_cmp_lt_f32_e32 vcc, s25, v11
	v_sub_f32_e32 v13, v13, v14
	v_mul_f32_e32 v13, 0x3f317218, v13
	v_cndmask_b32_e32 v11, v13, v11, vcc
	v_mul_f32_e32 v13, 0x4f800000, v11
	v_cmp_gt_f32_e32 vcc, s28, v11
	v_cndmask_b32_e32 v11, v11, v13, vcc
	v_sqrt_f32_e32 v13, v11
	v_add_u32_e32 v14, -1, v13
	v_add_u32_e32 v15, 1, v13
	v_fma_f32 v16, -v14, v13, v11
	v_fma_f32 v17, -v15, v13, v11
	v_cmp_ge_f32_e64 s[8:9], 0, v16
	v_cndmask_b32_e64 v13, v13, v14, s[8:9]
	v_cmp_lt_f32_e64 s[8:9], 0, v17
	v_cndmask_b32_e64 v13, v13, v15, s[8:9]
	v_mul_f32_e32 v14, 0x37800000, v13
	v_cndmask_b32_e32 v13, v13, v14, vcc
	v_cmp_class_f32_e32 vcc, v11, v10
	v_cndmask_b32_e32 v11, v13, v11, vcc
	s_and_b64 vcc, exec, s[2:3]
	ds_write_b32 v4, v11
	s_cbranch_vccnz .LBB234_13
; %bb.15:                               ;   in Loop: Header=BB234_14 Depth=1
	v_lshlrev_b64 v[14:15], 2, v[2:3]
	v_mov_b32_e32 v3, s15
	v_add_co_u32_e32 v14, vcc, s14, v14
	v_addc_co_u32_e32 v15, vcc, v3, v15, vcc
	global_load_dword v3, v[14:15], off
	s_waitcnt vmcnt(0)
	v_add_f32_e32 v3, v11, v3
	ds_write_b32 v4, v3
	s_branch .LBB234_13
.LBB234_16:
	s_or_b64 exec, exec, s[10:11]
	s_cmp_lt_i32 s21, 1
	s_waitcnt lgkmcnt(0)
	s_barrier
	s_cbranch_scc1 .LBB234_25
; %bb.17:
	s_add_u32 s2, s4, 56
	s_addc_u32 s3, s5, 0
	v_mbcnt_lo_u32_b32 v4, -1, 0
	s_cmp_lg_u64 s[14:15], 0
	v_mbcnt_hi_u32_b32 v4, -1, v4
	v_bfrev_b32_e32 v5, 0.5
	s_cselect_b64 s[8:9], -1, 0
	s_mov_b32 s20, 0
	v_mov_b32_e32 v2, 0
	v_mov_b32_e32 v3, 0
	v_lshl_or_b32 v4, v4, 2, v5
	v_mov_b32_e32 v5, 0xff800000
	s_branch .LBB234_19
.LBB234_18:                             ;   in Loop: Header=BB234_19 Depth=1
	s_lshl_b32 s11, s10, 2
	s_add_i32 s11, s11, 0
	v_mov_b32_e32 v6, s11
	ds_write_b32 v6, v5
	v_mov_b32_e32 v6, s10
	v_cmp_eq_u32_e32 vcc, s20, v0
	s_add_i32 s20, s20, 1
	v_cndmask_b32_e32 v2, v2, v6, vcc
	s_cmp_eq_u32 s20, s21
	v_cndmask_b32_e32 v3, v3, v8, vcc
	s_cbranch_scc1 .LBB234_26
.LBB234_19:                             ; =>This Loop Header: Depth=1
                                        ;     Child Loop BB234_21 Depth 2
	v_mov_b32_e32 v6, s20
	v_mov_b32_e32 v7, 0xff800000
	s_and_saveexec_b64 s[10:11], s[0:1]
	s_cbranch_execz .LBB234_23
; %bb.20:                               ;   in Loop: Header=BB234_19 Depth=1
	s_load_dword s22, s[2:3], 0xc
	s_mov_b64 s[12:13], 0
	v_mov_b32_e32 v6, s20
	v_mov_b32_e32 v7, 0xff800000
	;; [unrolled: 1-line block ×3, first 2 shown]
	s_waitcnt lgkmcnt(0)
	s_and_b32 s22, s22, 0xffff
	s_lshl_b32 s23, s22, 2
	s_lshl_b32 s24, s22, 4
	v_mov_b32_e32 v9, v1
	v_mov_b32_e32 v10, v0
.LBB234_21:                             ;   Parent Loop BB234_19 Depth=1
                                        ; =>  This Inner Loop Header: Depth=2
	ds_read_b128 v[14:17], v8
	v_add_u32_e32 v10, s22, v10
	v_cmp_le_i32_e32 vcc, s7, v10
	s_or_b64 s[12:13], vcc, s[12:13]
	v_add_u32_e32 v11, 1, v9
	s_waitcnt lgkmcnt(0)
	v_cmp_gt_f32_e32 vcc, v14, v7
	v_cndmask_b32_e32 v7, v7, v14, vcc
	v_cndmask_b32_e32 v6, v6, v9, vcc
	v_cmp_gt_f32_e32 vcc, v15, v7
	v_cndmask_b32_e32 v7, v7, v15, vcc
	v_cndmask_b32_e32 v6, v6, v11, vcc
	v_cmp_gt_f32_e32 vcc, v16, v7
	v_add_u32_e32 v13, 2, v9
	v_cndmask_b32_e32 v7, v7, v16, vcc
	v_add_u32_e32 v18, 3, v9
	v_cndmask_b32_e32 v6, v6, v13, vcc
	v_cmp_gt_f32_e32 vcc, v17, v7
	v_add_u32_e32 v8, s24, v8
	v_add_u32_e32 v9, s23, v9
	v_cndmask_b32_e32 v7, v7, v17, vcc
	v_cndmask_b32_e32 v6, v6, v18, vcc
	s_andn2_b64 exec, exec, s[12:13]
	s_cbranch_execnz .LBB234_21
; %bb.22:                               ;   in Loop: Header=BB234_19 Depth=1
	s_or_b64 exec, exec, s[12:13]
.LBB234_23:                             ;   in Loop: Header=BB234_19 Depth=1
	s_or_b64 exec, exec, s[10:11]
	;;#ASMSTART
	v_max_f32 v8, v7, v7 quad_perm:[1,0,3,2] row_mask:0xf bank_mask:0xf bound_ctrl:1
	;;#ASMEND
	;;#ASMSTART
	v_max_f32 v9, v8, v8 quad_perm:[2,3,0,1] row_mask:0xf bank_mask:0xf bound_ctrl:1
	;;#ASMEND
	;;#ASMSTART
	v_max_f32 v8, v9, v9 row_half_mirror row_mask:0xf bank_mask:0xf bound_ctrl:1
	;;#ASMEND
	;;#ASMSTART
	v_max_f32 v9, v8, v8 row_mirror row_mask:0xf bank_mask:0xf bound_ctrl:1
	;;#ASMEND
	;;#ASMSTART
	v_max_f32 v8, v9, v9 row_ror:4 row_mask:0xf bank_mask:0xf bound_ctrl:1
	;;#ASMEND
	;;#ASMSTART
	v_max_f32 v9, v8, v8 row_ror:8 row_mask:0xf bank_mask:0xf bound_ctrl:1
	;;#ASMEND
	;;#ASMSTART
	v_max_f32 v8, v9, v9 row_bcast:15 row_mask:0xf bank_mask:0xf bound_ctrl:1
	;;#ASMEND
	;;#ASMSTART
	v_max_f32 v9, v8, v8 row_bcast:31 row_mask:0xf bank_mask:0xf bound_ctrl:1
	;;#ASMEND
	ds_bpermute_b32 v8, v4, v9
	s_waitcnt lgkmcnt(0)
	v_cmp_eq_f32_e32 vcc, v7, v8
	s_ff1_i32_b64 s10, vcc
	s_cmp_lg_u64 vcc, 0
	s_cselect_b32 s10, s10, 0
	s_and_b64 vcc, exec, s[8:9]
	v_readlane_b32 s10, v6, s10
	s_cbranch_vccz .LBB234_18
; %bb.24:                               ;   in Loop: Header=BB234_19 Depth=1
	s_ashr_i32 s11, s10, 31
	s_lshl_b64 s[12:13], s[10:11], 2
	s_add_u32 s12, s14, s12
	s_addc_u32 s13, s15, s13
	s_load_dword s11, s[12:13], 0x0
	s_waitcnt lgkmcnt(0)
	v_subrev_f32_e32 v8, s11, v8
	s_branch .LBB234_18
.LBB234_25:
	v_mov_b32_e32 v3, 0
	v_mov_b32_e32 v2, 0
.LBB234_26:
	v_cmp_gt_i32_e32 vcc, s21, v0
	s_and_saveexec_b64 s[0:1], vcc
	s_cbranch_execz .LBB234_29
; %bb.27:
	s_load_dword s2, s[4:5], 0x34
	s_load_dwordx2 s[0:1], s[4:5], 0x20
	s_ashr_i32 s3, s6, 31
	s_load_dword s4, s[4:5], 0x44
	v_mov_b32_e32 v4, s17
	s_waitcnt lgkmcnt(0)
	v_mul_f32_e32 v1, s2, v3
	s_mul_i32 s1, s6, s1
	s_mul_hi_u32 s2, s6, s0
	s_add_i32 s1, s2, s1
	s_mul_i32 s3, s3, s0
	s_add_i32 s5, s1, s3
	s_mul_i32 s2, s6, s0
	s_and_b32 s3, s4, 0xffff
	s_mov_b64 s[0:1], 0
	v_mov_b32_e32 v3, s5
	v_mov_b32_e32 v5, s19
.LBB234_28:                             ; =>This Inner Loop Header: Depth=1
	v_ashrrev_i32_e32 v7, 31, v0
	v_add_co_u32_e32 v6, vcc, s2, v0
	v_addc_co_u32_e32 v7, vcc, v3, v7, vcc
	v_add_u32_e32 v0, s3, v0
	v_cmp_le_i32_e32 vcc, s21, v0
	v_lshlrev_b64 v[6:7], 2, v[6:7]
	s_or_b64 s[0:1], vcc, s[0:1]
	v_add_co_u32_e32 v8, vcc, s16, v6
	v_addc_co_u32_e32 v9, vcc, v4, v7, vcc
	v_add_co_u32_e32 v6, vcc, s18, v6
	v_addc_co_u32_e32 v7, vcc, v5, v7, vcc
	global_store_dword v[8:9], v1, off
	global_store_dword v[6:7], v2, off
	s_andn2_b64 exec, exec, s[0:1]
	s_cbranch_execnz .LBB234_28
.LBB234_29:
	s_endpgm
	.section	.rodata,"a",@progbits
	.p2align	6, 0x0
	.amdhsa_kernel _ZN5aiter20topk_softplus_kernelI12hip_bfloat16fDv4_fLb0ELi0EEEvPKT_PKT0_PfPimiiif
		.amdhsa_group_segment_fixed_size 0
		.amdhsa_private_segment_fixed_size 0
		.amdhsa_kernarg_size 312
		.amdhsa_user_sgpr_count 6
		.amdhsa_user_sgpr_private_segment_buffer 1
		.amdhsa_user_sgpr_dispatch_ptr 0
		.amdhsa_user_sgpr_queue_ptr 0
		.amdhsa_user_sgpr_kernarg_segment_ptr 1
		.amdhsa_user_sgpr_dispatch_id 0
		.amdhsa_user_sgpr_flat_scratch_init 0
		.amdhsa_user_sgpr_kernarg_preload_length 0
		.amdhsa_user_sgpr_kernarg_preload_offset 0
		.amdhsa_user_sgpr_private_segment_size 0
		.amdhsa_uses_dynamic_stack 0
		.amdhsa_system_sgpr_private_segment_wavefront_offset 0
		.amdhsa_system_sgpr_workgroup_id_x 1
		.amdhsa_system_sgpr_workgroup_id_y 0
		.amdhsa_system_sgpr_workgroup_id_z 0
		.amdhsa_system_sgpr_workgroup_info 0
		.amdhsa_system_vgpr_workitem_id 0
		.amdhsa_next_free_vgpr 26
		.amdhsa_next_free_sgpr 43
		.amdhsa_accum_offset 28
		.amdhsa_reserve_vcc 1
		.amdhsa_reserve_flat_scratch 0
		.amdhsa_float_round_mode_32 0
		.amdhsa_float_round_mode_16_64 0
		.amdhsa_float_denorm_mode_32 3
		.amdhsa_float_denorm_mode_16_64 3
		.amdhsa_dx10_clamp 1
		.amdhsa_ieee_mode 1
		.amdhsa_fp16_overflow 0
		.amdhsa_tg_split 0
		.amdhsa_exception_fp_ieee_invalid_op 0
		.amdhsa_exception_fp_denorm_src 0
		.amdhsa_exception_fp_ieee_div_zero 0
		.amdhsa_exception_fp_ieee_overflow 0
		.amdhsa_exception_fp_ieee_underflow 0
		.amdhsa_exception_fp_ieee_inexact 0
		.amdhsa_exception_int_div_zero 0
	.end_amdhsa_kernel
	.section	.text._ZN5aiter20topk_softplus_kernelI12hip_bfloat16fDv4_fLb0ELi0EEEvPKT_PKT0_PfPimiiif,"axG",@progbits,_ZN5aiter20topk_softplus_kernelI12hip_bfloat16fDv4_fLb0ELi0EEEvPKT_PKT0_PfPimiiif,comdat
.Lfunc_end234:
	.size	_ZN5aiter20topk_softplus_kernelI12hip_bfloat16fDv4_fLb0ELi0EEEvPKT_PKT0_PfPimiiif, .Lfunc_end234-_ZN5aiter20topk_softplus_kernelI12hip_bfloat16fDv4_fLb0ELi0EEEvPKT_PKT0_PfPimiiif
                                        ; -- End function
	.section	.AMDGPU.csdata,"",@progbits
; Kernel info:
; codeLenInByte = 2448
; NumSgprs: 47
; NumVgprs: 26
; NumAgprs: 0
; TotalNumVgprs: 26
; ScratchSize: 0
; MemoryBound: 0
; FloatMode: 240
; IeeeMode: 1
; LDSByteSize: 0 bytes/workgroup (compile time only)
; SGPRBlocks: 5
; VGPRBlocks: 3
; NumSGPRsForWavesPerEU: 47
; NumVGPRsForWavesPerEU: 26
; AccumOffset: 28
; Occupancy: 8
; WaveLimiterHint : 0
; COMPUTE_PGM_RSRC2:SCRATCH_EN: 0
; COMPUTE_PGM_RSRC2:USER_SGPR: 6
; COMPUTE_PGM_RSRC2:TRAP_HANDLER: 0
; COMPUTE_PGM_RSRC2:TGID_X_EN: 1
; COMPUTE_PGM_RSRC2:TGID_Y_EN: 0
; COMPUTE_PGM_RSRC2:TGID_Z_EN: 0
; COMPUTE_PGM_RSRC2:TIDIG_COMP_CNT: 0
; COMPUTE_PGM_RSRC3_GFX90A:ACCUM_OFFSET: 6
; COMPUTE_PGM_RSRC3_GFX90A:TG_SPLIT: 0
	.section	.text._ZN5aiter20topk_softplus_kernelI12hip_bfloat16fDv2_fLb1ELi0EEEvPKT_PKT0_PfPimiiif,"axG",@progbits,_ZN5aiter20topk_softplus_kernelI12hip_bfloat16fDv2_fLb1ELi0EEEvPKT_PKT0_PfPimiiif,comdat
	.protected	_ZN5aiter20topk_softplus_kernelI12hip_bfloat16fDv2_fLb1ELi0EEEvPKT_PKT0_PfPimiiif ; -- Begin function _ZN5aiter20topk_softplus_kernelI12hip_bfloat16fDv2_fLb1ELi0EEEvPKT_PKT0_PfPimiiif
	.globl	_ZN5aiter20topk_softplus_kernelI12hip_bfloat16fDv2_fLb1ELi0EEEvPKT_PKT0_PfPimiiif
	.p2align	8
	.type	_ZN5aiter20topk_softplus_kernelI12hip_bfloat16fDv2_fLb1ELi0EEEvPKT_PKT0_PfPimiiif,@function
_ZN5aiter20topk_softplus_kernelI12hip_bfloat16fDv2_fLb1ELi0EEEvPKT_PKT0_PfPimiiif: ; @_ZN5aiter20topk_softplus_kernelI12hip_bfloat16fDv2_fLb1ELi0EEEvPKT_PKT0_PfPimiiif
; %bb.0:
	s_load_dwordx2 s[20:21], s[4:5], 0x28
	s_load_dwordx8 s[12:19], s[4:5], 0x0
	s_waitcnt lgkmcnt(0)
	s_lshr_b32 s0, s20, 31
	s_add_i32 s0, s20, s0
	s_mul_i32 s22, s6, s20
	s_ashr_i32 s7, s0, 1
	s_ashr_i32 s23, s22, 31
	v_cmp_gt_i32_e64 s[0:1], s7, v0
	s_and_saveexec_b64 s[24:25], s[0:1]
	s_cbranch_execz .LBB235_7
; %bb.1:
	s_load_dword s8, s[4:5], 0x44
	s_cmp_lg_u64 s[14:15], 0
	s_cselect_b64 s[2:3], -1, 0
	v_lshlrev_b32_e32 v1, 2, v0
	v_mov_b32_e32 v4, s15
	s_waitcnt lgkmcnt(0)
	s_and_b32 s28, s8, 0xffff
	s_lshl_b64 s[8:9], s[22:23], 1
	s_add_u32 s8, s12, s8
	s_addc_u32 s9, s13, s9
	v_mov_b32_e32 v3, s9
	v_add_co_u32_e32 v2, vcc, s8, v1
	v_addc_co_u32_e32 v3, vcc, 0, v3, vcc
	v_lshlrev_b32_e32 v1, 3, v0
	v_add_co_u32_e32 v5, vcc, s14, v1
	v_addc_co_u32_e32 v6, vcc, 0, v4, vcc
	v_add_co_u32_e32 v4, vcc, 4, v5
	s_mov_b32 s10, 0
	v_addc_co_u32_e32 v5, vcc, 0, v6, vcc
	v_cndmask_b32_e64 v6, 0, 1, s[2:3]
	s_mov_b64 s[26:27], 0
	s_lshl_b32 s29, s28, 2
	s_lshl_b32 s30, s28, 3
	v_add_u32_e32 v1, 0, v1
	s_mov_b32 s31, 0xc2fc0000
	v_mov_b32_e32 v8, 0x42800000
	v_mov_b32_e32 v9, 0x1f800000
	s_mov_b32 s33, 0x800000
	v_mov_b32_e32 v10, 0x4f800000
	v_mov_b32_e32 v11, 0x42000000
	s_mov_b32 s34, 0xf800000
	v_mov_b32_e32 v12, 0x260
	v_cmp_ne_u32_e64 s[2:3], 1, v6
	v_mov_b32_e32 v13, s10
	v_mov_b32_e32 v14, s10
	;; [unrolled: 1-line block ×4, first 2 shown]
	s_branch .LBB235_3
.LBB235_2:                              ;   in Loop: Header=BB235_3 Depth=1
	v_add_co_u32_e32 v2, vcc, s29, v2
	v_addc_co_u32_e32 v3, vcc, v3, v13, vcc
	v_add_co_u32_e32 v4, vcc, s30, v4
	v_add_u32_e32 v16, s28, v16
	v_addc_co_u32_e32 v5, vcc, v5, v14, vcc
	v_cmp_le_i32_e32 vcc, s7, v16
	ds_write_b64 v1, v[6:7]
	s_or_b64 s[26:27], vcc, s[26:27]
	v_add_u32_e32 v1, s30, v1
	s_andn2_b64 exec, exec, s[26:27]
	s_cbranch_execz .LBB235_7
.LBB235_3:                              ; =>This Inner Loop Header: Depth=1
	global_load_dword v7, v[2:3], off
	s_waitcnt vmcnt(0)
	v_cvt_f32_u32_sdwa v6, v7 dst_sel:DWORD dst_unused:UNUSED_PAD src0_sel:WORD_0
	v_mul_f32_e32 v17, 0x3fb8aa3b, v6
	v_cmp_gt_f32_e32 vcc, s31, v17
	v_cndmask_b32_e32 v17, 0, v8, vcc
	v_fmac_f32_e32 v17, 0x3fb8aa3b, v6
	v_exp_f32_e32 v17, v17
	v_cndmask_b32_e32 v18, 1.0, v9, vcc
	v_fma_f32 v17, v17, v18, 1.0
	v_cmp_gt_f32_e32 vcc, s33, v17
	v_cndmask_b32_e32 v18, 1.0, v10, vcc
	v_mul_f32_e32 v17, v17, v18
	v_log_f32_e32 v17, v17
	v_cndmask_b32_e32 v18, 0, v11, vcc
	v_cmp_lt_u16_e32 vcc, 20, v7
	v_sub_f32_e32 v17, v17, v18
	v_mul_f32_e32 v17, 0x3f317218, v17
	v_cndmask_b32_e32 v6, v17, v6, vcc
	v_mul_f32_e32 v17, 0x4f800000, v6
	v_cmp_gt_f32_e64 s[8:9], s34, v6
	v_cndmask_b32_e64 v6, v6, v17, s[8:9]
	v_sqrt_f32_e32 v17, v6
	s_and_b64 vcc, exec, s[2:3]
	v_add_u32_e32 v18, -1, v17
	v_add_u32_e32 v19, 1, v17
	v_fma_f32 v20, -v18, v17, v6
	v_fma_f32 v21, -v19, v17, v6
	v_cmp_ge_f32_e64 s[10:11], 0, v20
	v_cndmask_b32_e64 v17, v17, v18, s[10:11]
	v_cmp_lt_f32_e64 s[10:11], 0, v21
	v_cndmask_b32_e64 v17, v17, v19, s[10:11]
	v_mul_f32_e32 v18, 0x37800000, v17
	v_cndmask_b32_e64 v17, v17, v18, s[8:9]
	v_cmp_class_f32_e64 s[8:9], v6, v12
	v_cndmask_b32_e64 v6, v17, v6, s[8:9]
	s_cbranch_vccnz .LBB235_5
; %bb.4:                                ;   in Loop: Header=BB235_3 Depth=1
	global_load_dword v17, v[4:5], off offset:-4
	s_waitcnt vmcnt(0)
	v_add_f32_e32 v6, v6, v17
.LBB235_5:                              ;   in Loop: Header=BB235_3 Depth=1
	v_cvt_f32_u32_sdwa v17, v7 dst_sel:DWORD dst_unused:UNUSED_PAD src0_sel:WORD_1
	v_mul_f32_e32 v18, 0x3fb8aa3b, v17
	v_cmp_gt_f32_e32 vcc, s31, v18
	v_cndmask_b32_e32 v18, 0, v8, vcc
	v_fmac_f32_e32 v18, 0x3fb8aa3b, v17
	v_exp_f32_e32 v18, v18
	v_cndmask_b32_e32 v19, 1.0, v9, vcc
	v_fma_f32 v18, v18, v19, 1.0
	v_cmp_gt_f32_e32 vcc, s33, v18
	v_cndmask_b32_e32 v19, 1.0, v10, vcc
	v_mul_f32_e32 v18, v18, v19
	v_log_f32_e32 v18, v18
	v_cndmask_b32_e32 v19, 0, v11, vcc
	v_cmp_gt_u16_sdwa vcc, v7, v15 src0_sel:WORD_1 src1_sel:DWORD
	v_sub_f32_e32 v18, v18, v19
	v_mul_f32_e32 v18, 0x3f317218, v18
	v_cndmask_b32_e32 v7, v18, v17, vcc
	v_mul_f32_e32 v17, 0x4f800000, v7
	v_cmp_gt_f32_e64 s[8:9], s34, v7
	v_cndmask_b32_e64 v7, v7, v17, s[8:9]
	v_sqrt_f32_e32 v17, v7
	s_and_b64 vcc, exec, s[2:3]
	v_add_u32_e32 v18, -1, v17
	v_add_u32_e32 v19, 1, v17
	v_fma_f32 v20, -v18, v17, v7
	v_fma_f32 v21, -v19, v17, v7
	v_cmp_ge_f32_e64 s[10:11], 0, v20
	v_cndmask_b32_e64 v17, v17, v18, s[10:11]
	v_cmp_lt_f32_e64 s[10:11], 0, v21
	v_cndmask_b32_e64 v17, v17, v19, s[10:11]
	v_mul_f32_e32 v18, 0x37800000, v17
	v_cndmask_b32_e64 v17, v17, v18, s[8:9]
	v_cmp_class_f32_e64 s[8:9], v7, v12
	v_cndmask_b32_e64 v7, v17, v7, s[8:9]
	s_cbranch_vccnz .LBB235_2
; %bb.6:                                ;   in Loop: Header=BB235_3 Depth=1
	global_load_dword v17, v[4:5], off
	s_waitcnt vmcnt(0)
	v_add_f32_e32 v7, v7, v17
	s_branch .LBB235_2
.LBB235_7:
	s_or_b64 exec, exec, s[24:25]
	v_lshl_add_u32 v2, s7, 1, v0
	v_cmp_gt_i32_e32 vcc, s20, v2
	s_and_saveexec_b64 s[10:11], vcc
	s_cbranch_execz .LBB235_12
; %bb.8:
	s_load_dword s8, s[4:5], 0x44
	s_lshl_b64 s[2:3], s[22:23], 1
	s_add_u32 s22, s12, s2
	s_addc_u32 s9, s13, s3
	s_cmp_lg_u64 s[14:15], 0
	s_cselect_b64 s[2:3], -1, 0
	s_waitcnt lgkmcnt(0)
	s_and_b32 s23, s8, 0xffff
	s_lshl_b32 s8, s7, 3
	s_add_i32 s8, s8, 0
	v_cndmask_b32_e64 v3, 0, 1, s[2:3]
	s_mov_b64 s[12:13], 0
	v_lshl_add_u32 v1, v0, 2, s8
	s_lshl_b32 s24, s23, 2
	v_mov_b32_e32 v4, s9
	s_mov_b32 s25, 0x41a00000
	s_mov_b32 s26, 0xc2fc0000
	v_mov_b32_e32 v5, 0x42800000
	v_mov_b32_e32 v6, 0x1f800000
	s_mov_b32 s27, 0x800000
	v_mov_b32_e32 v7, 0x4f800000
	v_mov_b32_e32 v8, 0x42000000
	s_mov_b32 s28, 0xf800000
	v_mov_b32_e32 v9, 0x260
	v_cmp_ne_u32_e64 s[2:3], 1, v3
	s_branch .LBB235_10
.LBB235_9:                              ;   in Loop: Header=BB235_10 Depth=1
	v_add_u32_e32 v2, s23, v2
	v_cmp_le_i32_e32 vcc, s20, v2
	s_or_b64 s[12:13], vcc, s[12:13]
	v_add_u32_e32 v1, s24, v1
	s_andn2_b64 exec, exec, s[12:13]
	s_cbranch_execz .LBB235_12
.LBB235_10:                             ; =>This Inner Loop Header: Depth=1
	v_ashrrev_i32_e32 v3, 31, v2
	v_lshlrev_b64 v[10:11], 1, v[2:3]
	v_add_co_u32_e32 v10, vcc, s22, v10
	v_addc_co_u32_e32 v11, vcc, v4, v11, vcc
	global_load_ushort v10, v[10:11], off
	s_waitcnt vmcnt(0)
	v_lshlrev_b32_e32 v10, 16, v10
	v_mul_f32_e32 v11, 0x3fb8aa3b, v10
	v_cmp_gt_f32_e32 vcc, s26, v11
	v_cndmask_b32_e32 v11, 0, v5, vcc
	v_fmac_f32_e32 v11, 0x3fb8aa3b, v10
	v_exp_f32_e32 v11, v11
	v_cndmask_b32_e32 v12, 1.0, v6, vcc
	v_fma_f32 v11, v11, v12, 1.0
	v_cmp_gt_f32_e32 vcc, s27, v11
	v_cndmask_b32_e32 v12, 1.0, v7, vcc
	v_mul_f32_e32 v11, v11, v12
	v_log_f32_e32 v11, v11
	v_cndmask_b32_e32 v12, 0, v8, vcc
	v_cmp_lt_f32_e32 vcc, s25, v10
	v_sub_f32_e32 v11, v11, v12
	v_mul_f32_e32 v11, 0x3f317218, v11
	v_cndmask_b32_e32 v10, v11, v10, vcc
	v_mul_f32_e32 v11, 0x4f800000, v10
	v_cmp_gt_f32_e32 vcc, s28, v10
	v_cndmask_b32_e32 v10, v10, v11, vcc
	v_sqrt_f32_e32 v11, v10
	v_add_u32_e32 v12, -1, v11
	v_add_u32_e32 v13, 1, v11
	v_fma_f32 v14, -v12, v11, v10
	v_fma_f32 v15, -v13, v11, v10
	v_cmp_ge_f32_e64 s[8:9], 0, v14
	v_cndmask_b32_e64 v11, v11, v12, s[8:9]
	v_cmp_lt_f32_e64 s[8:9], 0, v15
	v_cndmask_b32_e64 v11, v11, v13, s[8:9]
	v_mul_f32_e32 v12, 0x37800000, v11
	v_cndmask_b32_e32 v11, v11, v12, vcc
	v_cmp_class_f32_e32 vcc, v10, v9
	v_cndmask_b32_e32 v10, v11, v10, vcc
	s_and_b64 vcc, exec, s[2:3]
	ds_write_b32 v1, v10
	s_cbranch_vccnz .LBB235_9
; %bb.11:                               ;   in Loop: Header=BB235_10 Depth=1
	v_lshlrev_b64 v[12:13], 2, v[2:3]
	v_mov_b32_e32 v3, s15
	v_add_co_u32_e32 v12, vcc, s14, v12
	v_addc_co_u32_e32 v13, vcc, v3, v13, vcc
	global_load_dword v3, v[12:13], off
	s_waitcnt vmcnt(0)
	v_add_f32_e32 v3, v10, v3
	ds_write_b32 v1, v3
	s_branch .LBB235_9
.LBB235_12:
	s_or_b64 exec, exec, s[10:11]
	s_cmp_lt_i32 s21, 1
	v_mov_b32_e32 v2, 0
	s_waitcnt lgkmcnt(0)
	s_barrier
	s_cbranch_scc1 .LBB235_21
; %bb.13:
	s_add_u32 s2, s4, 56
	s_addc_u32 s3, s5, 0
	v_mbcnt_lo_u32_b32 v1, -1, 0
	s_cmp_lg_u64 s[14:15], 0
	v_mbcnt_hi_u32_b32 v1, -1, v1
	v_bfrev_b32_e32 v3, 0.5
	s_cselect_b64 s[8:9], -1, 0
	v_lshlrev_b32_e32 v4, 1, v0
	v_lshl_add_u32 v5, v0, 3, 0
	s_mov_b32 s20, 0
	v_mov_b32_e32 v2, 0
	v_lshl_or_b32 v6, v1, 2, v3
	v_mov_b32_e32 v7, 0xff800000
	v_mov_b32_e32 v1, 0
	v_mov_b32_e32 v3, 0
	s_branch .LBB235_15
.LBB235_14:                             ;   in Loop: Header=BB235_15 Depth=1
	s_lshl_b32 s11, s10, 2
	s_add_i32 s11, s11, 0
	v_mov_b32_e32 v8, s11
	ds_write_b32 v8, v7
	v_mov_b32_e32 v8, s10
	v_cmp_eq_u32_e32 vcc, s20, v0
	s_add_i32 s20, s20, 1
	v_cndmask_b32_e32 v1, v1, v8, vcc
	v_cndmask_b32_e32 v2, v2, v10, vcc
	s_cmp_eq_u32 s20, s21
	v_add_f32_e32 v3, v3, v10
	s_cbranch_scc1 .LBB235_22
.LBB235_15:                             ; =>This Loop Header: Depth=1
                                        ;     Child Loop BB235_17 Depth 2
	v_mov_b32_e32 v8, s20
	v_mov_b32_e32 v9, 0xff800000
	s_and_saveexec_b64 s[10:11], s[0:1]
	s_cbranch_execz .LBB235_19
; %bb.16:                               ;   in Loop: Header=BB235_15 Depth=1
	s_load_dword s22, s[2:3], 0xc
	s_mov_b64 s[12:13], 0
	v_mov_b32_e32 v8, s20
	v_mov_b32_e32 v9, 0xff800000
	;; [unrolled: 1-line block ×3, first 2 shown]
	s_waitcnt lgkmcnt(0)
	s_and_b32 s22, s22, 0xffff
	s_lshl_b32 s23, s22, 1
	s_lshl_b32 s24, s22, 3
	v_mov_b32_e32 v11, v4
	v_mov_b32_e32 v12, v0
.LBB235_17:                             ;   Parent Loop BB235_15 Depth=1
                                        ; =>  This Inner Loop Header: Depth=2
	ds_read_b64 v[14:15], v10
	v_add_u32_e32 v12, s22, v12
	v_cmp_le_i32_e32 vcc, s7, v12
	s_or_b64 s[12:13], vcc, s[12:13]
	v_add_u32_e32 v13, 1, v11
	s_waitcnt lgkmcnt(0)
	v_cmp_gt_f32_e32 vcc, v14, v9
	v_cndmask_b32_e32 v9, v9, v14, vcc
	v_cndmask_b32_e32 v8, v8, v11, vcc
	v_cmp_gt_f32_e32 vcc, v15, v9
	v_add_u32_e32 v10, s24, v10
	v_cndmask_b32_e32 v9, v9, v15, vcc
	v_add_u32_e32 v11, s23, v11
	v_cndmask_b32_e32 v8, v8, v13, vcc
	s_andn2_b64 exec, exec, s[12:13]
	s_cbranch_execnz .LBB235_17
; %bb.18:                               ;   in Loop: Header=BB235_15 Depth=1
	s_or_b64 exec, exec, s[12:13]
.LBB235_19:                             ;   in Loop: Header=BB235_15 Depth=1
	s_or_b64 exec, exec, s[10:11]
	;;#ASMSTART
	v_max_f32 v10, v9, v9 quad_perm:[1,0,3,2] row_mask:0xf bank_mask:0xf bound_ctrl:1
	;;#ASMEND
	;;#ASMSTART
	v_max_f32 v11, v10, v10 quad_perm:[2,3,0,1] row_mask:0xf bank_mask:0xf bound_ctrl:1
	;;#ASMEND
	;;#ASMSTART
	v_max_f32 v10, v11, v11 row_half_mirror row_mask:0xf bank_mask:0xf bound_ctrl:1
	;;#ASMEND
	;;#ASMSTART
	v_max_f32 v11, v10, v10 row_mirror row_mask:0xf bank_mask:0xf bound_ctrl:1
	;;#ASMEND
	;;#ASMSTART
	v_max_f32 v10, v11, v11 row_ror:4 row_mask:0xf bank_mask:0xf bound_ctrl:1
	;;#ASMEND
	;;#ASMSTART
	v_max_f32 v11, v10, v10 row_ror:8 row_mask:0xf bank_mask:0xf bound_ctrl:1
	;;#ASMEND
	;;#ASMSTART
	v_max_f32 v10, v11, v11 row_bcast:15 row_mask:0xf bank_mask:0xf bound_ctrl:1
	;;#ASMEND
	;;#ASMSTART
	v_max_f32 v11, v10, v10 row_bcast:31 row_mask:0xf bank_mask:0xf bound_ctrl:1
	;;#ASMEND
	ds_bpermute_b32 v10, v6, v11
	s_waitcnt lgkmcnt(0)
	v_cmp_eq_f32_e32 vcc, v9, v10
	s_ff1_i32_b64 s10, vcc
	s_cmp_lg_u64 vcc, 0
	s_cselect_b32 s10, s10, 0
	s_and_b64 vcc, exec, s[8:9]
	v_readlane_b32 s10, v8, s10
	s_cbranch_vccz .LBB235_14
; %bb.20:                               ;   in Loop: Header=BB235_15 Depth=1
	s_ashr_i32 s11, s10, 31
	s_lshl_b64 s[12:13], s[10:11], 2
	s_add_u32 s12, s14, s12
	s_addc_u32 s13, s15, s13
	s_load_dword s11, s[12:13], 0x0
	s_waitcnt lgkmcnt(0)
	v_subrev_f32_e32 v10, s11, v10
	s_branch .LBB235_14
.LBB235_21:
	v_mov_b32_e32 v1, 0
	v_mov_b32_e32 v3, 0
.LBB235_22:
	v_cmp_gt_i32_e32 vcc, s21, v0
	s_and_saveexec_b64 s[0:1], vcc
	s_cbranch_execz .LBB235_25
; %bb.23:
	s_load_dword s2, s[4:5], 0x34
	v_max_f32_e32 v3, v3, v3
	v_max_f32_e32 v3, 0x1e3ce508, v3
	s_load_dword s3, s[4:5], 0x44
	s_waitcnt lgkmcnt(0)
	v_div_scale_f32 v4, s[0:1], v3, v3, s2
	s_load_dwordx2 s[0:1], s[4:5], 0x20
	v_rcp_f32_e32 v5, v4
	v_div_scale_f32 v6, vcc, s2, v3, s2
	s_and_b32 s3, s3, 0xffff
	v_fma_f32 v7, -v4, v5, 1.0
	v_fmac_f32_e32 v5, v7, v5
	v_mul_f32_e32 v7, v6, v5
	v_fma_f32 v8, -v4, v7, v6
	v_fmac_f32_e32 v7, v8, v5
	v_fma_f32 v4, -v4, v7, v6
	v_div_fmas_f32 v4, v4, v5, v7
	v_div_fixup_f32 v3, v4, v3, s2
	s_ashr_i32 s2, s6, 31
	s_waitcnt lgkmcnt(0)
	s_mul_i32 s1, s6, s1
	s_mul_hi_u32 s4, s6, s0
	s_add_i32 s1, s4, s1
	s_mul_i32 s2, s2, s0
	s_add_i32 s4, s1, s2
	v_mul_f32_e32 v2, v2, v3
	s_mul_i32 s2, s6, s0
	s_mov_b64 s[0:1], 0
	v_mov_b32_e32 v3, s4
	v_mov_b32_e32 v4, s17
	;; [unrolled: 1-line block ×3, first 2 shown]
.LBB235_24:                             ; =>This Inner Loop Header: Depth=1
	v_ashrrev_i32_e32 v7, 31, v0
	v_add_co_u32_e32 v6, vcc, s2, v0
	v_addc_co_u32_e32 v7, vcc, v3, v7, vcc
	v_add_u32_e32 v0, s3, v0
	v_cmp_le_i32_e32 vcc, s21, v0
	v_lshlrev_b64 v[6:7], 2, v[6:7]
	s_or_b64 s[0:1], vcc, s[0:1]
	v_add_co_u32_e32 v8, vcc, s16, v6
	v_addc_co_u32_e32 v9, vcc, v4, v7, vcc
	v_add_co_u32_e32 v6, vcc, s18, v6
	v_addc_co_u32_e32 v7, vcc, v5, v7, vcc
	global_store_dword v[8:9], v2, off
	global_store_dword v[6:7], v1, off
	s_andn2_b64 exec, exec, s[0:1]
	s_cbranch_execnz .LBB235_24
.LBB235_25:
	s_endpgm
	.section	.rodata,"a",@progbits
	.p2align	6, 0x0
	.amdhsa_kernel _ZN5aiter20topk_softplus_kernelI12hip_bfloat16fDv2_fLb1ELi0EEEvPKT_PKT0_PfPimiiif
		.amdhsa_group_segment_fixed_size 0
		.amdhsa_private_segment_fixed_size 0
		.amdhsa_kernarg_size 312
		.amdhsa_user_sgpr_count 6
		.amdhsa_user_sgpr_private_segment_buffer 1
		.amdhsa_user_sgpr_dispatch_ptr 0
		.amdhsa_user_sgpr_queue_ptr 0
		.amdhsa_user_sgpr_kernarg_segment_ptr 1
		.amdhsa_user_sgpr_dispatch_id 0
		.amdhsa_user_sgpr_flat_scratch_init 0
		.amdhsa_user_sgpr_kernarg_preload_length 0
		.amdhsa_user_sgpr_kernarg_preload_offset 0
		.amdhsa_user_sgpr_private_segment_size 0
		.amdhsa_uses_dynamic_stack 0
		.amdhsa_system_sgpr_private_segment_wavefront_offset 0
		.amdhsa_system_sgpr_workgroup_id_x 1
		.amdhsa_system_sgpr_workgroup_id_y 0
		.amdhsa_system_sgpr_workgroup_id_z 0
		.amdhsa_system_sgpr_workgroup_info 0
		.amdhsa_system_vgpr_workitem_id 0
		.amdhsa_next_free_vgpr 22
		.amdhsa_next_free_sgpr 35
		.amdhsa_accum_offset 24
		.amdhsa_reserve_vcc 1
		.amdhsa_reserve_flat_scratch 0
		.amdhsa_float_round_mode_32 0
		.amdhsa_float_round_mode_16_64 0
		.amdhsa_float_denorm_mode_32 3
		.amdhsa_float_denorm_mode_16_64 3
		.amdhsa_dx10_clamp 1
		.amdhsa_ieee_mode 1
		.amdhsa_fp16_overflow 0
		.amdhsa_tg_split 0
		.amdhsa_exception_fp_ieee_invalid_op 0
		.amdhsa_exception_fp_denorm_src 0
		.amdhsa_exception_fp_ieee_div_zero 0
		.amdhsa_exception_fp_ieee_overflow 0
		.amdhsa_exception_fp_ieee_underflow 0
		.amdhsa_exception_fp_ieee_inexact 0
		.amdhsa_exception_int_div_zero 0
	.end_amdhsa_kernel
	.section	.text._ZN5aiter20topk_softplus_kernelI12hip_bfloat16fDv2_fLb1ELi0EEEvPKT_PKT0_PfPimiiif,"axG",@progbits,_ZN5aiter20topk_softplus_kernelI12hip_bfloat16fDv2_fLb1ELi0EEEvPKT_PKT0_PfPimiiif,comdat
.Lfunc_end235:
	.size	_ZN5aiter20topk_softplus_kernelI12hip_bfloat16fDv2_fLb1ELi0EEEvPKT_PKT0_PfPimiiif, .Lfunc_end235-_ZN5aiter20topk_softplus_kernelI12hip_bfloat16fDv2_fLb1ELi0EEEvPKT_PKT0_PfPimiiif
                                        ; -- End function
	.section	.AMDGPU.csdata,"",@progbits
; Kernel info:
; codeLenInByte = 1988
; NumSgprs: 39
; NumVgprs: 22
; NumAgprs: 0
; TotalNumVgprs: 22
; ScratchSize: 0
; MemoryBound: 0
; FloatMode: 240
; IeeeMode: 1
; LDSByteSize: 0 bytes/workgroup (compile time only)
; SGPRBlocks: 4
; VGPRBlocks: 2
; NumSGPRsForWavesPerEU: 39
; NumVGPRsForWavesPerEU: 22
; AccumOffset: 24
; Occupancy: 8
; WaveLimiterHint : 0
; COMPUTE_PGM_RSRC2:SCRATCH_EN: 0
; COMPUTE_PGM_RSRC2:USER_SGPR: 6
; COMPUTE_PGM_RSRC2:TRAP_HANDLER: 0
; COMPUTE_PGM_RSRC2:TGID_X_EN: 1
; COMPUTE_PGM_RSRC2:TGID_Y_EN: 0
; COMPUTE_PGM_RSRC2:TGID_Z_EN: 0
; COMPUTE_PGM_RSRC2:TIDIG_COMP_CNT: 0
; COMPUTE_PGM_RSRC3_GFX90A:ACCUM_OFFSET: 5
; COMPUTE_PGM_RSRC3_GFX90A:TG_SPLIT: 0
	.section	.text._ZN5aiter20topk_softplus_kernelI12hip_bfloat16fDv2_fLb0ELi0EEEvPKT_PKT0_PfPimiiif,"axG",@progbits,_ZN5aiter20topk_softplus_kernelI12hip_bfloat16fDv2_fLb0ELi0EEEvPKT_PKT0_PfPimiiif,comdat
	.protected	_ZN5aiter20topk_softplus_kernelI12hip_bfloat16fDv2_fLb0ELi0EEEvPKT_PKT0_PfPimiiif ; -- Begin function _ZN5aiter20topk_softplus_kernelI12hip_bfloat16fDv2_fLb0ELi0EEEvPKT_PKT0_PfPimiiif
	.globl	_ZN5aiter20topk_softplus_kernelI12hip_bfloat16fDv2_fLb0ELi0EEEvPKT_PKT0_PfPimiiif
	.p2align	8
	.type	_ZN5aiter20topk_softplus_kernelI12hip_bfloat16fDv2_fLb0ELi0EEEvPKT_PKT0_PfPimiiif,@function
_ZN5aiter20topk_softplus_kernelI12hip_bfloat16fDv2_fLb0ELi0EEEvPKT_PKT0_PfPimiiif: ; @_ZN5aiter20topk_softplus_kernelI12hip_bfloat16fDv2_fLb0ELi0EEEvPKT_PKT0_PfPimiiif
; %bb.0:
	s_load_dwordx2 s[20:21], s[4:5], 0x28
	s_load_dwordx8 s[12:19], s[4:5], 0x0
	s_waitcnt lgkmcnt(0)
	s_lshr_b32 s0, s20, 31
	s_add_i32 s0, s20, s0
	s_mul_i32 s22, s6, s20
	s_ashr_i32 s7, s0, 1
	s_ashr_i32 s23, s22, 31
	v_cmp_gt_i32_e64 s[0:1], s7, v0
	s_and_saveexec_b64 s[24:25], s[0:1]
	s_cbranch_execz .LBB236_7
; %bb.1:
	s_load_dword s8, s[4:5], 0x44
	s_cmp_lg_u64 s[14:15], 0
	s_cselect_b64 s[2:3], -1, 0
	v_lshlrev_b32_e32 v1, 2, v0
	v_mov_b32_e32 v4, s15
	s_waitcnt lgkmcnt(0)
	s_and_b32 s28, s8, 0xffff
	s_lshl_b64 s[8:9], s[22:23], 1
	s_add_u32 s8, s12, s8
	s_addc_u32 s9, s13, s9
	v_mov_b32_e32 v3, s9
	v_add_co_u32_e32 v2, vcc, s8, v1
	v_addc_co_u32_e32 v3, vcc, 0, v3, vcc
	v_lshlrev_b32_e32 v1, 3, v0
	v_add_co_u32_e32 v5, vcc, s14, v1
	v_addc_co_u32_e32 v6, vcc, 0, v4, vcc
	v_add_co_u32_e32 v4, vcc, 4, v5
	s_mov_b32 s10, 0
	v_addc_co_u32_e32 v5, vcc, 0, v6, vcc
	v_cndmask_b32_e64 v6, 0, 1, s[2:3]
	s_mov_b64 s[26:27], 0
	s_lshl_b32 s29, s28, 2
	s_lshl_b32 s30, s28, 3
	v_add_u32_e32 v1, 0, v1
	s_mov_b32 s31, 0xc2fc0000
	v_mov_b32_e32 v8, 0x42800000
	v_mov_b32_e32 v9, 0x1f800000
	s_mov_b32 s33, 0x800000
	v_mov_b32_e32 v10, 0x4f800000
	v_mov_b32_e32 v11, 0x42000000
	s_mov_b32 s34, 0xf800000
	v_mov_b32_e32 v12, 0x260
	v_cmp_ne_u32_e64 s[2:3], 1, v6
	v_mov_b32_e32 v13, s10
	v_mov_b32_e32 v14, s10
	;; [unrolled: 1-line block ×4, first 2 shown]
	s_branch .LBB236_3
.LBB236_2:                              ;   in Loop: Header=BB236_3 Depth=1
	v_add_co_u32_e32 v2, vcc, s29, v2
	v_addc_co_u32_e32 v3, vcc, v3, v13, vcc
	v_add_co_u32_e32 v4, vcc, s30, v4
	v_add_u32_e32 v16, s28, v16
	v_addc_co_u32_e32 v5, vcc, v5, v14, vcc
	v_cmp_le_i32_e32 vcc, s7, v16
	ds_write_b64 v1, v[6:7]
	s_or_b64 s[26:27], vcc, s[26:27]
	v_add_u32_e32 v1, s30, v1
	s_andn2_b64 exec, exec, s[26:27]
	s_cbranch_execz .LBB236_7
.LBB236_3:                              ; =>This Inner Loop Header: Depth=1
	global_load_dword v7, v[2:3], off
	s_waitcnt vmcnt(0)
	v_cvt_f32_u32_sdwa v6, v7 dst_sel:DWORD dst_unused:UNUSED_PAD src0_sel:WORD_0
	v_mul_f32_e32 v17, 0x3fb8aa3b, v6
	v_cmp_gt_f32_e32 vcc, s31, v17
	v_cndmask_b32_e32 v17, 0, v8, vcc
	v_fmac_f32_e32 v17, 0x3fb8aa3b, v6
	v_exp_f32_e32 v17, v17
	v_cndmask_b32_e32 v18, 1.0, v9, vcc
	v_fma_f32 v17, v17, v18, 1.0
	v_cmp_gt_f32_e32 vcc, s33, v17
	v_cndmask_b32_e32 v18, 1.0, v10, vcc
	v_mul_f32_e32 v17, v17, v18
	v_log_f32_e32 v17, v17
	v_cndmask_b32_e32 v18, 0, v11, vcc
	v_cmp_lt_u16_e32 vcc, 20, v7
	v_sub_f32_e32 v17, v17, v18
	v_mul_f32_e32 v17, 0x3f317218, v17
	v_cndmask_b32_e32 v6, v17, v6, vcc
	v_mul_f32_e32 v17, 0x4f800000, v6
	v_cmp_gt_f32_e64 s[8:9], s34, v6
	v_cndmask_b32_e64 v6, v6, v17, s[8:9]
	v_sqrt_f32_e32 v17, v6
	s_and_b64 vcc, exec, s[2:3]
	v_add_u32_e32 v18, -1, v17
	v_add_u32_e32 v19, 1, v17
	v_fma_f32 v20, -v18, v17, v6
	v_fma_f32 v21, -v19, v17, v6
	v_cmp_ge_f32_e64 s[10:11], 0, v20
	v_cndmask_b32_e64 v17, v17, v18, s[10:11]
	v_cmp_lt_f32_e64 s[10:11], 0, v21
	v_cndmask_b32_e64 v17, v17, v19, s[10:11]
	v_mul_f32_e32 v18, 0x37800000, v17
	v_cndmask_b32_e64 v17, v17, v18, s[8:9]
	v_cmp_class_f32_e64 s[8:9], v6, v12
	v_cndmask_b32_e64 v6, v17, v6, s[8:9]
	s_cbranch_vccnz .LBB236_5
; %bb.4:                                ;   in Loop: Header=BB236_3 Depth=1
	global_load_dword v17, v[4:5], off offset:-4
	s_waitcnt vmcnt(0)
	v_add_f32_e32 v6, v6, v17
.LBB236_5:                              ;   in Loop: Header=BB236_3 Depth=1
	v_cvt_f32_u32_sdwa v17, v7 dst_sel:DWORD dst_unused:UNUSED_PAD src0_sel:WORD_1
	v_mul_f32_e32 v18, 0x3fb8aa3b, v17
	v_cmp_gt_f32_e32 vcc, s31, v18
	v_cndmask_b32_e32 v18, 0, v8, vcc
	v_fmac_f32_e32 v18, 0x3fb8aa3b, v17
	v_exp_f32_e32 v18, v18
	v_cndmask_b32_e32 v19, 1.0, v9, vcc
	v_fma_f32 v18, v18, v19, 1.0
	v_cmp_gt_f32_e32 vcc, s33, v18
	v_cndmask_b32_e32 v19, 1.0, v10, vcc
	v_mul_f32_e32 v18, v18, v19
	v_log_f32_e32 v18, v18
	v_cndmask_b32_e32 v19, 0, v11, vcc
	v_cmp_gt_u16_sdwa vcc, v7, v15 src0_sel:WORD_1 src1_sel:DWORD
	v_sub_f32_e32 v18, v18, v19
	v_mul_f32_e32 v18, 0x3f317218, v18
	v_cndmask_b32_e32 v7, v18, v17, vcc
	v_mul_f32_e32 v17, 0x4f800000, v7
	v_cmp_gt_f32_e64 s[8:9], s34, v7
	v_cndmask_b32_e64 v7, v7, v17, s[8:9]
	v_sqrt_f32_e32 v17, v7
	s_and_b64 vcc, exec, s[2:3]
	v_add_u32_e32 v18, -1, v17
	v_add_u32_e32 v19, 1, v17
	v_fma_f32 v20, -v18, v17, v7
	v_fma_f32 v21, -v19, v17, v7
	v_cmp_ge_f32_e64 s[10:11], 0, v20
	v_cndmask_b32_e64 v17, v17, v18, s[10:11]
	v_cmp_lt_f32_e64 s[10:11], 0, v21
	v_cndmask_b32_e64 v17, v17, v19, s[10:11]
	v_mul_f32_e32 v18, 0x37800000, v17
	v_cndmask_b32_e64 v17, v17, v18, s[8:9]
	v_cmp_class_f32_e64 s[8:9], v7, v12
	v_cndmask_b32_e64 v7, v17, v7, s[8:9]
	s_cbranch_vccnz .LBB236_2
; %bb.6:                                ;   in Loop: Header=BB236_3 Depth=1
	global_load_dword v17, v[4:5], off
	s_waitcnt vmcnt(0)
	v_add_f32_e32 v7, v7, v17
	s_branch .LBB236_2
.LBB236_7:
	s_or_b64 exec, exec, s[24:25]
	v_lshl_add_u32 v2, s7, 1, v0
	v_cmp_gt_i32_e32 vcc, s20, v2
	s_and_saveexec_b64 s[10:11], vcc
	s_cbranch_execz .LBB236_12
; %bb.8:
	s_load_dword s8, s[4:5], 0x44
	s_lshl_b64 s[2:3], s[22:23], 1
	s_add_u32 s22, s12, s2
	s_addc_u32 s9, s13, s3
	s_cmp_lg_u64 s[14:15], 0
	s_cselect_b64 s[2:3], -1, 0
	s_waitcnt lgkmcnt(0)
	s_and_b32 s23, s8, 0xffff
	s_lshl_b32 s8, s7, 3
	s_add_i32 s8, s8, 0
	v_cndmask_b32_e64 v3, 0, 1, s[2:3]
	s_mov_b64 s[12:13], 0
	v_lshl_add_u32 v1, v0, 2, s8
	s_lshl_b32 s24, s23, 2
	v_mov_b32_e32 v4, s9
	s_mov_b32 s25, 0x41a00000
	s_mov_b32 s26, 0xc2fc0000
	v_mov_b32_e32 v5, 0x42800000
	v_mov_b32_e32 v6, 0x1f800000
	s_mov_b32 s27, 0x800000
	v_mov_b32_e32 v7, 0x4f800000
	v_mov_b32_e32 v8, 0x42000000
	s_mov_b32 s28, 0xf800000
	v_mov_b32_e32 v9, 0x260
	v_cmp_ne_u32_e64 s[2:3], 1, v3
	s_branch .LBB236_10
.LBB236_9:                              ;   in Loop: Header=BB236_10 Depth=1
	v_add_u32_e32 v2, s23, v2
	v_cmp_le_i32_e32 vcc, s20, v2
	s_or_b64 s[12:13], vcc, s[12:13]
	v_add_u32_e32 v1, s24, v1
	s_andn2_b64 exec, exec, s[12:13]
	s_cbranch_execz .LBB236_12
.LBB236_10:                             ; =>This Inner Loop Header: Depth=1
	v_ashrrev_i32_e32 v3, 31, v2
	v_lshlrev_b64 v[10:11], 1, v[2:3]
	v_add_co_u32_e32 v10, vcc, s22, v10
	v_addc_co_u32_e32 v11, vcc, v4, v11, vcc
	global_load_ushort v10, v[10:11], off
	s_waitcnt vmcnt(0)
	v_lshlrev_b32_e32 v10, 16, v10
	v_mul_f32_e32 v11, 0x3fb8aa3b, v10
	v_cmp_gt_f32_e32 vcc, s26, v11
	v_cndmask_b32_e32 v11, 0, v5, vcc
	v_fmac_f32_e32 v11, 0x3fb8aa3b, v10
	v_exp_f32_e32 v11, v11
	v_cndmask_b32_e32 v12, 1.0, v6, vcc
	v_fma_f32 v11, v11, v12, 1.0
	v_cmp_gt_f32_e32 vcc, s27, v11
	v_cndmask_b32_e32 v12, 1.0, v7, vcc
	v_mul_f32_e32 v11, v11, v12
	v_log_f32_e32 v11, v11
	v_cndmask_b32_e32 v12, 0, v8, vcc
	v_cmp_lt_f32_e32 vcc, s25, v10
	v_sub_f32_e32 v11, v11, v12
	v_mul_f32_e32 v11, 0x3f317218, v11
	v_cndmask_b32_e32 v10, v11, v10, vcc
	v_mul_f32_e32 v11, 0x4f800000, v10
	v_cmp_gt_f32_e32 vcc, s28, v10
	v_cndmask_b32_e32 v10, v10, v11, vcc
	v_sqrt_f32_e32 v11, v10
	v_add_u32_e32 v12, -1, v11
	v_add_u32_e32 v13, 1, v11
	v_fma_f32 v14, -v12, v11, v10
	v_fma_f32 v15, -v13, v11, v10
	v_cmp_ge_f32_e64 s[8:9], 0, v14
	v_cndmask_b32_e64 v11, v11, v12, s[8:9]
	v_cmp_lt_f32_e64 s[8:9], 0, v15
	v_cndmask_b32_e64 v11, v11, v13, s[8:9]
	v_mul_f32_e32 v12, 0x37800000, v11
	v_cndmask_b32_e32 v11, v11, v12, vcc
	v_cmp_class_f32_e32 vcc, v10, v9
	v_cndmask_b32_e32 v10, v11, v10, vcc
	s_and_b64 vcc, exec, s[2:3]
	ds_write_b32 v1, v10
	s_cbranch_vccnz .LBB236_9
; %bb.11:                               ;   in Loop: Header=BB236_10 Depth=1
	v_lshlrev_b64 v[12:13], 2, v[2:3]
	v_mov_b32_e32 v3, s15
	v_add_co_u32_e32 v12, vcc, s14, v12
	v_addc_co_u32_e32 v13, vcc, v3, v13, vcc
	global_load_dword v3, v[12:13], off
	s_waitcnt vmcnt(0)
	v_add_f32_e32 v3, v10, v3
	ds_write_b32 v1, v3
	s_branch .LBB236_9
.LBB236_12:
	s_or_b64 exec, exec, s[10:11]
	s_cmp_lt_i32 s21, 1
	s_waitcnt lgkmcnt(0)
	s_barrier
	s_cbranch_scc1 .LBB236_21
; %bb.13:
	s_add_u32 s2, s4, 56
	s_addc_u32 s3, s5, 0
	v_mbcnt_lo_u32_b32 v5, -1, 0
	s_cmp_lg_u64 s[14:15], 0
	v_mbcnt_hi_u32_b32 v5, -1, v5
	v_bfrev_b32_e32 v6, 0.5
	s_cselect_b64 s[8:9], -1, 0
	v_lshlrev_b32_e32 v3, 1, v0
	s_mov_b32 s20, 0
	v_mov_b32_e32 v1, 0
	v_lshl_add_u32 v4, v0, 3, 0
	v_mov_b32_e32 v2, 0
	v_lshl_or_b32 v5, v5, 2, v6
	v_mov_b32_e32 v6, 0xff800000
	s_branch .LBB236_15
.LBB236_14:                             ;   in Loop: Header=BB236_15 Depth=1
	s_lshl_b32 s11, s10, 2
	s_add_i32 s11, s11, 0
	v_mov_b32_e32 v7, s11
	ds_write_b32 v7, v6
	v_mov_b32_e32 v7, s10
	v_cmp_eq_u32_e32 vcc, s20, v0
	s_add_i32 s20, s20, 1
	v_cndmask_b32_e32 v1, v1, v7, vcc
	s_cmp_eq_u32 s20, s21
	v_cndmask_b32_e32 v2, v2, v9, vcc
	s_cbranch_scc1 .LBB236_22
.LBB236_15:                             ; =>This Loop Header: Depth=1
                                        ;     Child Loop BB236_17 Depth 2
	v_mov_b32_e32 v7, s20
	v_mov_b32_e32 v8, 0xff800000
	s_and_saveexec_b64 s[10:11], s[0:1]
	s_cbranch_execz .LBB236_19
; %bb.16:                               ;   in Loop: Header=BB236_15 Depth=1
	s_load_dword s22, s[2:3], 0xc
	s_mov_b64 s[12:13], 0
	v_mov_b32_e32 v7, s20
	v_mov_b32_e32 v8, 0xff800000
	;; [unrolled: 1-line block ×3, first 2 shown]
	s_waitcnt lgkmcnt(0)
	s_and_b32 s22, s22, 0xffff
	s_lshl_b32 s23, s22, 1
	s_lshl_b32 s24, s22, 3
	v_mov_b32_e32 v10, v3
	v_mov_b32_e32 v11, v0
.LBB236_17:                             ;   Parent Loop BB236_15 Depth=1
                                        ; =>  This Inner Loop Header: Depth=2
	ds_read_b64 v[12:13], v9
	v_add_u32_e32 v11, s22, v11
	v_cmp_le_i32_e32 vcc, s7, v11
	s_or_b64 s[12:13], vcc, s[12:13]
	v_add_u32_e32 v14, 1, v10
	s_waitcnt lgkmcnt(0)
	v_cmp_gt_f32_e32 vcc, v12, v8
	v_cndmask_b32_e32 v8, v8, v12, vcc
	v_cndmask_b32_e32 v7, v7, v10, vcc
	v_cmp_gt_f32_e32 vcc, v13, v8
	v_add_u32_e32 v9, s24, v9
	v_cndmask_b32_e32 v8, v8, v13, vcc
	v_add_u32_e32 v10, s23, v10
	v_cndmask_b32_e32 v7, v7, v14, vcc
	s_andn2_b64 exec, exec, s[12:13]
	s_cbranch_execnz .LBB236_17
; %bb.18:                               ;   in Loop: Header=BB236_15 Depth=1
	s_or_b64 exec, exec, s[12:13]
.LBB236_19:                             ;   in Loop: Header=BB236_15 Depth=1
	s_or_b64 exec, exec, s[10:11]
	;;#ASMSTART
	v_max_f32 v9, v8, v8 quad_perm:[1,0,3,2] row_mask:0xf bank_mask:0xf bound_ctrl:1
	;;#ASMEND
	;;#ASMSTART
	v_max_f32 v10, v9, v9 quad_perm:[2,3,0,1] row_mask:0xf bank_mask:0xf bound_ctrl:1
	;;#ASMEND
	;;#ASMSTART
	v_max_f32 v9, v10, v10 row_half_mirror row_mask:0xf bank_mask:0xf bound_ctrl:1
	;;#ASMEND
	;;#ASMSTART
	v_max_f32 v10, v9, v9 row_mirror row_mask:0xf bank_mask:0xf bound_ctrl:1
	;;#ASMEND
	;;#ASMSTART
	v_max_f32 v9, v10, v10 row_ror:4 row_mask:0xf bank_mask:0xf bound_ctrl:1
	;;#ASMEND
	;;#ASMSTART
	v_max_f32 v10, v9, v9 row_ror:8 row_mask:0xf bank_mask:0xf bound_ctrl:1
	;;#ASMEND
	;;#ASMSTART
	v_max_f32 v9, v10, v10 row_bcast:15 row_mask:0xf bank_mask:0xf bound_ctrl:1
	;;#ASMEND
	;;#ASMSTART
	v_max_f32 v10, v9, v9 row_bcast:31 row_mask:0xf bank_mask:0xf bound_ctrl:1
	;;#ASMEND
	ds_bpermute_b32 v9, v5, v10
	s_waitcnt lgkmcnt(0)
	v_cmp_eq_f32_e32 vcc, v8, v9
	s_ff1_i32_b64 s10, vcc
	s_cmp_lg_u64 vcc, 0
	s_cselect_b32 s10, s10, 0
	s_and_b64 vcc, exec, s[8:9]
	v_readlane_b32 s10, v7, s10
	s_cbranch_vccz .LBB236_14
; %bb.20:                               ;   in Loop: Header=BB236_15 Depth=1
	s_ashr_i32 s11, s10, 31
	s_lshl_b64 s[12:13], s[10:11], 2
	s_add_u32 s12, s14, s12
	s_addc_u32 s13, s15, s13
	s_load_dword s11, s[12:13], 0x0
	s_waitcnt lgkmcnt(0)
	v_subrev_f32_e32 v9, s11, v9
	s_branch .LBB236_14
.LBB236_21:
	v_mov_b32_e32 v2, 0
	v_mov_b32_e32 v1, 0
.LBB236_22:
	v_cmp_gt_i32_e32 vcc, s21, v0
	s_and_saveexec_b64 s[0:1], vcc
	s_cbranch_execz .LBB236_25
; %bb.23:
	s_load_dword s2, s[4:5], 0x34
	s_load_dwordx2 s[0:1], s[4:5], 0x20
	s_ashr_i32 s3, s6, 31
	s_load_dword s4, s[4:5], 0x44
	v_mov_b32_e32 v4, s17
	s_waitcnt lgkmcnt(0)
	v_mul_f32_e32 v2, s2, v2
	s_mul_i32 s1, s6, s1
	s_mul_hi_u32 s2, s6, s0
	s_add_i32 s1, s2, s1
	s_mul_i32 s3, s3, s0
	s_add_i32 s5, s1, s3
	s_mul_i32 s2, s6, s0
	s_and_b32 s3, s4, 0xffff
	s_mov_b64 s[0:1], 0
	v_mov_b32_e32 v3, s5
	v_mov_b32_e32 v5, s19
.LBB236_24:                             ; =>This Inner Loop Header: Depth=1
	v_ashrrev_i32_e32 v7, 31, v0
	v_add_co_u32_e32 v6, vcc, s2, v0
	v_addc_co_u32_e32 v7, vcc, v3, v7, vcc
	v_add_u32_e32 v0, s3, v0
	v_cmp_le_i32_e32 vcc, s21, v0
	v_lshlrev_b64 v[6:7], 2, v[6:7]
	s_or_b64 s[0:1], vcc, s[0:1]
	v_add_co_u32_e32 v8, vcc, s16, v6
	v_addc_co_u32_e32 v9, vcc, v4, v7, vcc
	v_add_co_u32_e32 v6, vcc, s18, v6
	v_addc_co_u32_e32 v7, vcc, v5, v7, vcc
	global_store_dword v[8:9], v2, off
	global_store_dword v[6:7], v1, off
	s_andn2_b64 exec, exec, s[0:1]
	s_cbranch_execnz .LBB236_24
.LBB236_25:
	s_endpgm
	.section	.rodata,"a",@progbits
	.p2align	6, 0x0
	.amdhsa_kernel _ZN5aiter20topk_softplus_kernelI12hip_bfloat16fDv2_fLb0ELi0EEEvPKT_PKT0_PfPimiiif
		.amdhsa_group_segment_fixed_size 0
		.amdhsa_private_segment_fixed_size 0
		.amdhsa_kernarg_size 312
		.amdhsa_user_sgpr_count 6
		.amdhsa_user_sgpr_private_segment_buffer 1
		.amdhsa_user_sgpr_dispatch_ptr 0
		.amdhsa_user_sgpr_queue_ptr 0
		.amdhsa_user_sgpr_kernarg_segment_ptr 1
		.amdhsa_user_sgpr_dispatch_id 0
		.amdhsa_user_sgpr_flat_scratch_init 0
		.amdhsa_user_sgpr_kernarg_preload_length 0
		.amdhsa_user_sgpr_kernarg_preload_offset 0
		.amdhsa_user_sgpr_private_segment_size 0
		.amdhsa_uses_dynamic_stack 0
		.amdhsa_system_sgpr_private_segment_wavefront_offset 0
		.amdhsa_system_sgpr_workgroup_id_x 1
		.amdhsa_system_sgpr_workgroup_id_y 0
		.amdhsa_system_sgpr_workgroup_id_z 0
		.amdhsa_system_sgpr_workgroup_info 0
		.amdhsa_system_vgpr_workitem_id 0
		.amdhsa_next_free_vgpr 22
		.amdhsa_next_free_sgpr 35
		.amdhsa_accum_offset 24
		.amdhsa_reserve_vcc 1
		.amdhsa_reserve_flat_scratch 0
		.amdhsa_float_round_mode_32 0
		.amdhsa_float_round_mode_16_64 0
		.amdhsa_float_denorm_mode_32 3
		.amdhsa_float_denorm_mode_16_64 3
		.amdhsa_dx10_clamp 1
		.amdhsa_ieee_mode 1
		.amdhsa_fp16_overflow 0
		.amdhsa_tg_split 0
		.amdhsa_exception_fp_ieee_invalid_op 0
		.amdhsa_exception_fp_denorm_src 0
		.amdhsa_exception_fp_ieee_div_zero 0
		.amdhsa_exception_fp_ieee_overflow 0
		.amdhsa_exception_fp_ieee_underflow 0
		.amdhsa_exception_fp_ieee_inexact 0
		.amdhsa_exception_int_div_zero 0
	.end_amdhsa_kernel
	.section	.text._ZN5aiter20topk_softplus_kernelI12hip_bfloat16fDv2_fLb0ELi0EEEvPKT_PKT0_PfPimiiif,"axG",@progbits,_ZN5aiter20topk_softplus_kernelI12hip_bfloat16fDv2_fLb0ELi0EEEvPKT_PKT0_PfPimiiif,comdat
.Lfunc_end236:
	.size	_ZN5aiter20topk_softplus_kernelI12hip_bfloat16fDv2_fLb0ELi0EEEvPKT_PKT0_PfPimiiif, .Lfunc_end236-_ZN5aiter20topk_softplus_kernelI12hip_bfloat16fDv2_fLb0ELi0EEEvPKT_PKT0_PfPimiiif
                                        ; -- End function
	.section	.AMDGPU.csdata,"",@progbits
; Kernel info:
; codeLenInByte = 1888
; NumSgprs: 39
; NumVgprs: 22
; NumAgprs: 0
; TotalNumVgprs: 22
; ScratchSize: 0
; MemoryBound: 0
; FloatMode: 240
; IeeeMode: 1
; LDSByteSize: 0 bytes/workgroup (compile time only)
; SGPRBlocks: 4
; VGPRBlocks: 2
; NumSGPRsForWavesPerEU: 39
; NumVGPRsForWavesPerEU: 22
; AccumOffset: 24
; Occupancy: 8
; WaveLimiterHint : 0
; COMPUTE_PGM_RSRC2:SCRATCH_EN: 0
; COMPUTE_PGM_RSRC2:USER_SGPR: 6
; COMPUTE_PGM_RSRC2:TRAP_HANDLER: 0
; COMPUTE_PGM_RSRC2:TGID_X_EN: 1
; COMPUTE_PGM_RSRC2:TGID_Y_EN: 0
; COMPUTE_PGM_RSRC2:TGID_Z_EN: 0
; COMPUTE_PGM_RSRC2:TIDIG_COMP_CNT: 0
; COMPUTE_PGM_RSRC3_GFX90A:ACCUM_OFFSET: 5
; COMPUTE_PGM_RSRC3_GFX90A:TG_SPLIT: 0
	.section	.text._ZN5aiter20topk_softplus_kernelI12hip_bfloat16fDv1_fLb1ELi0EEEvPKT_PKT0_PfPimiiif,"axG",@progbits,_ZN5aiter20topk_softplus_kernelI12hip_bfloat16fDv1_fLb1ELi0EEEvPKT_PKT0_PfPimiiif,comdat
	.protected	_ZN5aiter20topk_softplus_kernelI12hip_bfloat16fDv1_fLb1ELi0EEEvPKT_PKT0_PfPimiiif ; -- Begin function _ZN5aiter20topk_softplus_kernelI12hip_bfloat16fDv1_fLb1ELi0EEEvPKT_PKT0_PfPimiiif
	.globl	_ZN5aiter20topk_softplus_kernelI12hip_bfloat16fDv1_fLb1ELi0EEEvPKT_PKT0_PfPimiiif
	.p2align	8
	.type	_ZN5aiter20topk_softplus_kernelI12hip_bfloat16fDv1_fLb1ELi0EEEvPKT_PKT0_PfPimiiif,@function
_ZN5aiter20topk_softplus_kernelI12hip_bfloat16fDv1_fLb1ELi0EEEvPKT_PKT0_PfPimiiif: ; @_ZN5aiter20topk_softplus_kernelI12hip_bfloat16fDv1_fLb1ELi0EEEvPKT_PKT0_PfPimiiif
; %bb.0:
	s_load_dwordx2 s[20:21], s[4:5], 0x28
	s_load_dwordx8 s[12:19], s[4:5], 0x0
	v_lshl_add_u32 v1, v0, 2, 0
	s_waitcnt lgkmcnt(0)
	s_mul_i32 s2, s6, s20
	s_ashr_i32 s3, s2, 31
	s_lshl_b64 s[2:3], s[2:3], 1
	s_add_u32 s7, s12, s2
	v_cmp_gt_i32_e64 s[0:1], s20, v0
	s_addc_u32 s24, s13, s3
	s_and_saveexec_b64 s[12:13], s[0:1]
	s_cbranch_execz .LBB237_5
; %bb.1:
	s_load_dword s8, s[4:5], 0x44
	s_cmp_lg_u64 s[14:15], 0
	s_cselect_b64 s[2:3], -1, 0
	v_cndmask_b32_e64 v2, 0, 1, s[2:3]
	s_mov_b64 s[22:23], 0
	s_waitcnt lgkmcnt(0)
	s_and_b32 s25, s8, 0xffff
	v_lshl_add_u32 v4, v0, 2, 0
	s_lshl_b32 s26, s25, 2
	v_mov_b32_e32 v5, s24
	s_mov_b32 s27, 0xc2fc0000
	v_mov_b32_e32 v6, 0x42800000
	v_mov_b32_e32 v7, 0x1f800000
	s_mov_b32 s28, 0x800000
	v_mov_b32_e32 v8, 0x4f800000
	;; [unrolled: 3-line block ×3, first 2 shown]
	v_cmp_ne_u32_e64 s[2:3], 1, v2
	v_mov_b32_e32 v2, v0
	s_branch .LBB237_3
.LBB237_2:                              ;   in Loop: Header=BB237_3 Depth=1
	v_add_u32_e32 v2, s25, v2
	v_cmp_le_i32_e32 vcc, s20, v2
	ds_write_b32 v4, v11
	s_or_b64 s[22:23], vcc, s[22:23]
	v_add_u32_e32 v4, s26, v4
	s_andn2_b64 exec, exec, s[22:23]
	s_cbranch_execz .LBB237_5
.LBB237_3:                              ; =>This Inner Loop Header: Depth=1
	v_ashrrev_i32_e32 v3, 31, v2
	v_lshlrev_b64 v[12:13], 1, v[2:3]
	v_add_co_u32_e32 v12, vcc, s7, v12
	v_addc_co_u32_e32 v13, vcc, v5, v13, vcc
	global_load_ushort v11, v[12:13], off
	s_waitcnt vmcnt(0)
	v_cvt_f32_u32_e32 v12, v11
	v_mul_f32_e32 v13, 0x3fb8aa3b, v12
	v_cmp_gt_f32_e32 vcc, s27, v13
	v_cndmask_b32_e32 v13, 0, v6, vcc
	v_fmac_f32_e32 v13, 0x3fb8aa3b, v12
	v_exp_f32_e32 v13, v13
	v_cndmask_b32_e32 v14, 1.0, v7, vcc
	v_fma_f32 v13, v13, v14, 1.0
	v_cmp_gt_f32_e32 vcc, s28, v13
	v_cndmask_b32_e32 v14, 1.0, v8, vcc
	v_mul_f32_e32 v13, v13, v14
	v_log_f32_e32 v13, v13
	v_cndmask_b32_e32 v14, 0, v9, vcc
	v_cmp_lt_u32_e32 vcc, 20, v11
	v_sub_f32_e32 v13, v13, v14
	v_mul_f32_e32 v13, 0x3f317218, v13
	v_cndmask_b32_e32 v11, v13, v12, vcc
	v_mul_f32_e32 v12, 0x4f800000, v11
	v_cmp_gt_f32_e64 s[8:9], s29, v11
	v_cndmask_b32_e64 v11, v11, v12, s[8:9]
	v_sqrt_f32_e32 v12, v11
	s_and_b64 vcc, exec, s[2:3]
	v_add_u32_e32 v13, -1, v12
	v_add_u32_e32 v14, 1, v12
	v_fma_f32 v15, -v13, v12, v11
	v_fma_f32 v16, -v14, v12, v11
	v_cmp_ge_f32_e64 s[10:11], 0, v15
	v_cndmask_b32_e64 v12, v12, v13, s[10:11]
	v_cmp_lt_f32_e64 s[10:11], 0, v16
	v_cndmask_b32_e64 v12, v12, v14, s[10:11]
	v_mul_f32_e32 v13, 0x37800000, v12
	v_cndmask_b32_e64 v12, v12, v13, s[8:9]
	v_cmp_class_f32_e64 s[8:9], v11, v10
	v_cndmask_b32_e64 v11, v12, v11, s[8:9]
	s_cbranch_vccnz .LBB237_2
; %bb.4:                                ;   in Loop: Header=BB237_3 Depth=1
	v_lshlrev_b64 v[12:13], 2, v[2:3]
	v_mov_b32_e32 v3, s15
	v_add_co_u32_e32 v12, vcc, s14, v12
	v_addc_co_u32_e32 v13, vcc, v3, v13, vcc
	global_load_dword v3, v[12:13], off
	s_waitcnt vmcnt(0)
	v_add_f32_e32 v11, v11, v3
	s_branch .LBB237_2
.LBB237_5:
	s_or_b64 exec, exec, s[12:13]
	v_add_u32_e32 v2, s20, v0
	v_cmp_gt_i32_e32 vcc, s20, v2
	s_and_saveexec_b64 s[10:11], vcc
	s_cbranch_execz .LBB237_10
; %bb.6:
	s_load_dword s8, s[4:5], 0x44
	s_cmp_lg_u64 s[14:15], 0
	s_cselect_b64 s[2:3], -1, 0
	v_cndmask_b32_e64 v3, 0, 1, s[2:3]
	s_mov_b64 s[12:13], 0
	s_waitcnt lgkmcnt(0)
	s_and_b32 s22, s8, 0xffff
	v_lshl_add_u32 v4, v2, 2, 0
	s_lshl_b32 s23, s22, 2
	v_mov_b32_e32 v5, s24
	s_mov_b32 s24, 0x41a00000
	s_mov_b32 s25, 0xc2fc0000
	v_mov_b32_e32 v6, 0x42800000
	v_mov_b32_e32 v7, 0x1f800000
	s_mov_b32 s26, 0x800000
	v_mov_b32_e32 v8, 0x4f800000
	v_mov_b32_e32 v9, 0x42000000
	s_mov_b32 s27, 0xf800000
	v_mov_b32_e32 v10, 0x260
	v_cmp_ne_u32_e64 s[2:3], 1, v3
	s_branch .LBB237_8
.LBB237_7:                              ;   in Loop: Header=BB237_8 Depth=1
	v_add_u32_e32 v2, s22, v2
	v_cmp_le_i32_e32 vcc, s20, v2
	s_or_b64 s[12:13], vcc, s[12:13]
	v_add_u32_e32 v4, s23, v4
	s_andn2_b64 exec, exec, s[12:13]
	s_cbranch_execz .LBB237_10
.LBB237_8:                              ; =>This Inner Loop Header: Depth=1
	v_ashrrev_i32_e32 v3, 31, v2
	v_lshlrev_b64 v[12:13], 1, v[2:3]
	v_add_co_u32_e32 v12, vcc, s7, v12
	v_addc_co_u32_e32 v13, vcc, v5, v13, vcc
	global_load_ushort v11, v[12:13], off
	s_waitcnt vmcnt(0)
	v_lshlrev_b32_e32 v11, 16, v11
	v_mul_f32_e32 v12, 0x3fb8aa3b, v11
	v_cmp_gt_f32_e32 vcc, s25, v12
	v_cndmask_b32_e32 v12, 0, v6, vcc
	v_fmac_f32_e32 v12, 0x3fb8aa3b, v11
	v_exp_f32_e32 v12, v12
	v_cndmask_b32_e32 v13, 1.0, v7, vcc
	v_fma_f32 v12, v12, v13, 1.0
	v_cmp_gt_f32_e32 vcc, s26, v12
	v_cndmask_b32_e32 v13, 1.0, v8, vcc
	v_mul_f32_e32 v12, v12, v13
	v_log_f32_e32 v12, v12
	v_cndmask_b32_e32 v13, 0, v9, vcc
	v_cmp_lt_f32_e32 vcc, s24, v11
	v_sub_f32_e32 v12, v12, v13
	v_mul_f32_e32 v12, 0x3f317218, v12
	v_cndmask_b32_e32 v11, v12, v11, vcc
	v_mul_f32_e32 v12, 0x4f800000, v11
	v_cmp_gt_f32_e32 vcc, s27, v11
	v_cndmask_b32_e32 v11, v11, v12, vcc
	v_sqrt_f32_e32 v12, v11
	v_add_u32_e32 v13, -1, v12
	v_add_u32_e32 v14, 1, v12
	v_fma_f32 v15, -v13, v12, v11
	v_fma_f32 v16, -v14, v12, v11
	v_cmp_ge_f32_e64 s[8:9], 0, v15
	v_cndmask_b32_e64 v12, v12, v13, s[8:9]
	v_cmp_lt_f32_e64 s[8:9], 0, v16
	v_cndmask_b32_e64 v12, v12, v14, s[8:9]
	v_mul_f32_e32 v13, 0x37800000, v12
	v_cndmask_b32_e32 v12, v12, v13, vcc
	v_cmp_class_f32_e32 vcc, v11, v10
	v_cndmask_b32_e32 v11, v12, v11, vcc
	s_and_b64 vcc, exec, s[2:3]
	ds_write_b32 v4, v11
	s_cbranch_vccnz .LBB237_7
; %bb.9:                                ;   in Loop: Header=BB237_8 Depth=1
	v_lshlrev_b64 v[12:13], 2, v[2:3]
	v_mov_b32_e32 v3, s15
	v_add_co_u32_e32 v12, vcc, s14, v12
	v_addc_co_u32_e32 v13, vcc, v3, v13, vcc
	global_load_dword v3, v[12:13], off
	s_waitcnt vmcnt(0)
	v_add_f32_e32 v3, v11, v3
	ds_write_b32 v4, v3
	s_branch .LBB237_7
.LBB237_10:
	s_or_b64 exec, exec, s[10:11]
	s_cmp_lt_i32 s21, 1
	v_mov_b32_e32 v3, 0
	s_waitcnt lgkmcnt(0)
	s_barrier
	s_cbranch_scc1 .LBB237_19
; %bb.11:
	s_add_u32 s2, s4, 56
	s_addc_u32 s3, s5, 0
	v_mbcnt_lo_u32_b32 v2, -1, 0
	s_cmp_lg_u64 s[14:15], 0
	v_mbcnt_hi_u32_b32 v2, -1, v2
	v_bfrev_b32_e32 v4, 0.5
	s_cselect_b64 s[8:9], -1, 0
	s_mov_b32 s7, 0
	v_mov_b32_e32 v3, 0
	v_lshl_or_b32 v5, v2, 2, v4
	v_mov_b32_e32 v6, 0xff800000
	v_mov_b32_e32 v2, 0
	;; [unrolled: 1-line block ×3, first 2 shown]
	s_branch .LBB237_13
.LBB237_12:                             ;   in Loop: Header=BB237_13 Depth=1
	s_lshl_b32 s11, s10, 2
	s_add_i32 s11, s11, 0
	v_mov_b32_e32 v7, s11
	ds_write_b32 v7, v6
	v_mov_b32_e32 v7, s10
	v_cmp_eq_u32_e32 vcc, s7, v0
	s_add_i32 s7, s7, 1
	v_cndmask_b32_e32 v2, v2, v7, vcc
	v_cndmask_b32_e32 v3, v3, v9, vcc
	s_cmp_eq_u32 s7, s21
	v_add_f32_e32 v4, v4, v9
	s_cbranch_scc1 .LBB237_20
.LBB237_13:                             ; =>This Loop Header: Depth=1
                                        ;     Child Loop BB237_15 Depth 2
	v_mov_b32_e32 v7, s7
	v_mov_b32_e32 v8, 0xff800000
	s_and_saveexec_b64 s[10:11], s[0:1]
	s_cbranch_execz .LBB237_17
; %bb.14:                               ;   in Loop: Header=BB237_13 Depth=1
	s_load_dword s22, s[2:3], 0xc
	s_mov_b64 s[12:13], 0
	v_mov_b32_e32 v7, s7
	v_mov_b32_e32 v8, 0xff800000
	;; [unrolled: 1-line block ×3, first 2 shown]
	s_waitcnt lgkmcnt(0)
	s_and_b32 s22, s22, 0xffff
	s_lshl_b32 s23, s22, 2
	v_mov_b32_e32 v10, v0
.LBB237_15:                             ;   Parent Loop BB237_13 Depth=1
                                        ; =>  This Inner Loop Header: Depth=2
	ds_read_b32 v11, v9
	v_add_u32_e32 v9, s23, v9
	s_waitcnt lgkmcnt(0)
	v_cmp_gt_f32_e32 vcc, v11, v8
	v_cndmask_b32_e32 v7, v7, v10, vcc
	v_add_u32_e32 v10, s22, v10
	v_cndmask_b32_e32 v8, v8, v11, vcc
	v_cmp_le_i32_e32 vcc, s20, v10
	s_or_b64 s[12:13], vcc, s[12:13]
	s_andn2_b64 exec, exec, s[12:13]
	s_cbranch_execnz .LBB237_15
; %bb.16:                               ;   in Loop: Header=BB237_13 Depth=1
	s_or_b64 exec, exec, s[12:13]
.LBB237_17:                             ;   in Loop: Header=BB237_13 Depth=1
	s_or_b64 exec, exec, s[10:11]
	;;#ASMSTART
	v_max_f32 v9, v8, v8 quad_perm:[1,0,3,2] row_mask:0xf bank_mask:0xf bound_ctrl:1
	;;#ASMEND
	;;#ASMSTART
	v_max_f32 v10, v9, v9 quad_perm:[2,3,0,1] row_mask:0xf bank_mask:0xf bound_ctrl:1
	;;#ASMEND
	;;#ASMSTART
	v_max_f32 v9, v10, v10 row_half_mirror row_mask:0xf bank_mask:0xf bound_ctrl:1
	;;#ASMEND
	;;#ASMSTART
	v_max_f32 v10, v9, v9 row_mirror row_mask:0xf bank_mask:0xf bound_ctrl:1
	;;#ASMEND
	;;#ASMSTART
	v_max_f32 v9, v10, v10 row_ror:4 row_mask:0xf bank_mask:0xf bound_ctrl:1
	;;#ASMEND
	;;#ASMSTART
	v_max_f32 v10, v9, v9 row_ror:8 row_mask:0xf bank_mask:0xf bound_ctrl:1
	;;#ASMEND
	;;#ASMSTART
	v_max_f32 v9, v10, v10 row_bcast:15 row_mask:0xf bank_mask:0xf bound_ctrl:1
	;;#ASMEND
	;;#ASMSTART
	v_max_f32 v10, v9, v9 row_bcast:31 row_mask:0xf bank_mask:0xf bound_ctrl:1
	;;#ASMEND
	ds_bpermute_b32 v9, v5, v10
	s_waitcnt lgkmcnt(0)
	v_cmp_eq_f32_e32 vcc, v8, v9
	s_ff1_i32_b64 s10, vcc
	s_cmp_lg_u64 vcc, 0
	s_cselect_b32 s10, s10, 0
	s_and_b64 vcc, exec, s[8:9]
	v_readlane_b32 s10, v7, s10
	s_cbranch_vccz .LBB237_12
; %bb.18:                               ;   in Loop: Header=BB237_13 Depth=1
	s_ashr_i32 s11, s10, 31
	s_lshl_b64 s[12:13], s[10:11], 2
	s_add_u32 s12, s14, s12
	s_addc_u32 s13, s15, s13
	s_load_dword s11, s[12:13], 0x0
	s_waitcnt lgkmcnt(0)
	v_subrev_f32_e32 v9, s11, v9
	s_branch .LBB237_12
.LBB237_19:
	v_mov_b32_e32 v2, 0
	v_mov_b32_e32 v4, 0
.LBB237_20:
	v_cmp_gt_i32_e32 vcc, s21, v0
	s_and_saveexec_b64 s[0:1], vcc
	s_cbranch_execz .LBB237_23
; %bb.21:
	s_load_dword s2, s[4:5], 0x34
	v_max_f32_e32 v1, v4, v4
	v_max_f32_e32 v1, 0x1e3ce508, v1
	s_load_dword s3, s[4:5], 0x44
	s_waitcnt lgkmcnt(0)
	v_div_scale_f32 v4, s[0:1], v1, v1, s2
	s_load_dwordx2 s[0:1], s[4:5], 0x20
	v_rcp_f32_e32 v5, v4
	v_div_scale_f32 v6, vcc, s2, v1, s2
	s_and_b32 s3, s3, 0xffff
	v_fma_f32 v7, -v4, v5, 1.0
	v_fmac_f32_e32 v5, v7, v5
	v_mul_f32_e32 v7, v6, v5
	v_fma_f32 v8, -v4, v7, v6
	v_fmac_f32_e32 v7, v8, v5
	v_fma_f32 v4, -v4, v7, v6
	v_div_fmas_f32 v4, v4, v5, v7
	v_div_fixup_f32 v1, v4, v1, s2
	s_ashr_i32 s2, s6, 31
	s_waitcnt lgkmcnt(0)
	s_mul_i32 s1, s6, s1
	s_mul_hi_u32 s4, s6, s0
	s_add_i32 s1, s4, s1
	s_mul_i32 s2, s2, s0
	s_add_i32 s4, s1, s2
	v_mul_f32_e32 v1, v3, v1
	s_mul_i32 s2, s6, s0
	s_mov_b64 s[0:1], 0
	v_mov_b32_e32 v3, s4
	v_mov_b32_e32 v4, s17
	;; [unrolled: 1-line block ×3, first 2 shown]
.LBB237_22:                             ; =>This Inner Loop Header: Depth=1
	v_ashrrev_i32_e32 v7, 31, v0
	v_add_co_u32_e32 v6, vcc, s2, v0
	v_addc_co_u32_e32 v7, vcc, v3, v7, vcc
	v_add_u32_e32 v0, s3, v0
	v_cmp_le_i32_e32 vcc, s21, v0
	v_lshlrev_b64 v[6:7], 2, v[6:7]
	s_or_b64 s[0:1], vcc, s[0:1]
	v_add_co_u32_e32 v8, vcc, s16, v6
	v_addc_co_u32_e32 v9, vcc, v4, v7, vcc
	v_add_co_u32_e32 v6, vcc, s18, v6
	v_addc_co_u32_e32 v7, vcc, v5, v7, vcc
	global_store_dword v[8:9], v1, off
	global_store_dword v[6:7], v2, off
	s_andn2_b64 exec, exec, s[0:1]
	s_cbranch_execnz .LBB237_22
.LBB237_23:
	s_endpgm
	.section	.rodata,"a",@progbits
	.p2align	6, 0x0
	.amdhsa_kernel _ZN5aiter20topk_softplus_kernelI12hip_bfloat16fDv1_fLb1ELi0EEEvPKT_PKT0_PfPimiiif
		.amdhsa_group_segment_fixed_size 0
		.amdhsa_private_segment_fixed_size 0
		.amdhsa_kernarg_size 312
		.amdhsa_user_sgpr_count 6
		.amdhsa_user_sgpr_private_segment_buffer 1
		.amdhsa_user_sgpr_dispatch_ptr 0
		.amdhsa_user_sgpr_queue_ptr 0
		.amdhsa_user_sgpr_kernarg_segment_ptr 1
		.amdhsa_user_sgpr_dispatch_id 0
		.amdhsa_user_sgpr_flat_scratch_init 0
		.amdhsa_user_sgpr_kernarg_preload_length 0
		.amdhsa_user_sgpr_kernarg_preload_offset 0
		.amdhsa_user_sgpr_private_segment_size 0
		.amdhsa_uses_dynamic_stack 0
		.amdhsa_system_sgpr_private_segment_wavefront_offset 0
		.amdhsa_system_sgpr_workgroup_id_x 1
		.amdhsa_system_sgpr_workgroup_id_y 0
		.amdhsa_system_sgpr_workgroup_id_z 0
		.amdhsa_system_sgpr_workgroup_info 0
		.amdhsa_system_vgpr_workitem_id 0
		.amdhsa_next_free_vgpr 17
		.amdhsa_next_free_sgpr 30
		.amdhsa_accum_offset 20
		.amdhsa_reserve_vcc 1
		.amdhsa_reserve_flat_scratch 0
		.amdhsa_float_round_mode_32 0
		.amdhsa_float_round_mode_16_64 0
		.amdhsa_float_denorm_mode_32 3
		.amdhsa_float_denorm_mode_16_64 3
		.amdhsa_dx10_clamp 1
		.amdhsa_ieee_mode 1
		.amdhsa_fp16_overflow 0
		.amdhsa_tg_split 0
		.amdhsa_exception_fp_ieee_invalid_op 0
		.amdhsa_exception_fp_denorm_src 0
		.amdhsa_exception_fp_ieee_div_zero 0
		.amdhsa_exception_fp_ieee_overflow 0
		.amdhsa_exception_fp_ieee_underflow 0
		.amdhsa_exception_fp_ieee_inexact 0
		.amdhsa_exception_int_div_zero 0
	.end_amdhsa_kernel
	.section	.text._ZN5aiter20topk_softplus_kernelI12hip_bfloat16fDv1_fLb1ELi0EEEvPKT_PKT0_PfPimiiif,"axG",@progbits,_ZN5aiter20topk_softplus_kernelI12hip_bfloat16fDv1_fLb1ELi0EEEvPKT_PKT0_PfPimiiif,comdat
.Lfunc_end237:
	.size	_ZN5aiter20topk_softplus_kernelI12hip_bfloat16fDv1_fLb1ELi0EEEvPKT_PKT0_PfPimiiif, .Lfunc_end237-_ZN5aiter20topk_softplus_kernelI12hip_bfloat16fDv1_fLb1ELi0EEEvPKT_PKT0_PfPimiiif
                                        ; -- End function
	.section	.AMDGPU.csdata,"",@progbits
; Kernel info:
; codeLenInByte = 1656
; NumSgprs: 34
; NumVgprs: 17
; NumAgprs: 0
; TotalNumVgprs: 17
; ScratchSize: 0
; MemoryBound: 0
; FloatMode: 240
; IeeeMode: 1
; LDSByteSize: 0 bytes/workgroup (compile time only)
; SGPRBlocks: 4
; VGPRBlocks: 2
; NumSGPRsForWavesPerEU: 34
; NumVGPRsForWavesPerEU: 17
; AccumOffset: 20
; Occupancy: 8
; WaveLimiterHint : 0
; COMPUTE_PGM_RSRC2:SCRATCH_EN: 0
; COMPUTE_PGM_RSRC2:USER_SGPR: 6
; COMPUTE_PGM_RSRC2:TRAP_HANDLER: 0
; COMPUTE_PGM_RSRC2:TGID_X_EN: 1
; COMPUTE_PGM_RSRC2:TGID_Y_EN: 0
; COMPUTE_PGM_RSRC2:TGID_Z_EN: 0
; COMPUTE_PGM_RSRC2:TIDIG_COMP_CNT: 0
; COMPUTE_PGM_RSRC3_GFX90A:ACCUM_OFFSET: 4
; COMPUTE_PGM_RSRC3_GFX90A:TG_SPLIT: 0
	.section	.text._ZN5aiter20topk_softplus_kernelI12hip_bfloat16fDv1_fLb0ELi0EEEvPKT_PKT0_PfPimiiif,"axG",@progbits,_ZN5aiter20topk_softplus_kernelI12hip_bfloat16fDv1_fLb0ELi0EEEvPKT_PKT0_PfPimiiif,comdat
	.protected	_ZN5aiter20topk_softplus_kernelI12hip_bfloat16fDv1_fLb0ELi0EEEvPKT_PKT0_PfPimiiif ; -- Begin function _ZN5aiter20topk_softplus_kernelI12hip_bfloat16fDv1_fLb0ELi0EEEvPKT_PKT0_PfPimiiif
	.globl	_ZN5aiter20topk_softplus_kernelI12hip_bfloat16fDv1_fLb0ELi0EEEvPKT_PKT0_PfPimiiif
	.p2align	8
	.type	_ZN5aiter20topk_softplus_kernelI12hip_bfloat16fDv1_fLb0ELi0EEEvPKT_PKT0_PfPimiiif,@function
_ZN5aiter20topk_softplus_kernelI12hip_bfloat16fDv1_fLb0ELi0EEEvPKT_PKT0_PfPimiiif: ; @_ZN5aiter20topk_softplus_kernelI12hip_bfloat16fDv1_fLb0ELi0EEEvPKT_PKT0_PfPimiiif
; %bb.0:
	s_load_dwordx2 s[20:21], s[4:5], 0x28
	s_load_dwordx8 s[12:19], s[4:5], 0x0
	v_lshl_add_u32 v1, v0, 2, 0
	s_waitcnt lgkmcnt(0)
	s_mul_i32 s2, s6, s20
	s_ashr_i32 s3, s2, 31
	s_lshl_b64 s[2:3], s[2:3], 1
	s_add_u32 s7, s12, s2
	v_cmp_gt_i32_e64 s[0:1], s20, v0
	s_addc_u32 s24, s13, s3
	s_and_saveexec_b64 s[12:13], s[0:1]
	s_cbranch_execz .LBB238_5
; %bb.1:
	s_load_dword s8, s[4:5], 0x44
	s_cmp_lg_u64 s[14:15], 0
	s_cselect_b64 s[2:3], -1, 0
	v_cndmask_b32_e64 v2, 0, 1, s[2:3]
	s_mov_b64 s[22:23], 0
	s_waitcnt lgkmcnt(0)
	s_and_b32 s25, s8, 0xffff
	v_lshl_add_u32 v4, v0, 2, 0
	s_lshl_b32 s26, s25, 2
	v_mov_b32_e32 v5, s24
	s_mov_b32 s27, 0xc2fc0000
	v_mov_b32_e32 v6, 0x42800000
	v_mov_b32_e32 v7, 0x1f800000
	s_mov_b32 s28, 0x800000
	v_mov_b32_e32 v8, 0x4f800000
	;; [unrolled: 3-line block ×3, first 2 shown]
	v_cmp_ne_u32_e64 s[2:3], 1, v2
	v_mov_b32_e32 v2, v0
	s_branch .LBB238_3
.LBB238_2:                              ;   in Loop: Header=BB238_3 Depth=1
	v_add_u32_e32 v2, s25, v2
	v_cmp_le_i32_e32 vcc, s20, v2
	ds_write_b32 v4, v11
	s_or_b64 s[22:23], vcc, s[22:23]
	v_add_u32_e32 v4, s26, v4
	s_andn2_b64 exec, exec, s[22:23]
	s_cbranch_execz .LBB238_5
.LBB238_3:                              ; =>This Inner Loop Header: Depth=1
	v_ashrrev_i32_e32 v3, 31, v2
	v_lshlrev_b64 v[12:13], 1, v[2:3]
	v_add_co_u32_e32 v12, vcc, s7, v12
	v_addc_co_u32_e32 v13, vcc, v5, v13, vcc
	global_load_ushort v11, v[12:13], off
	s_waitcnt vmcnt(0)
	v_cvt_f32_u32_e32 v12, v11
	v_mul_f32_e32 v13, 0x3fb8aa3b, v12
	v_cmp_gt_f32_e32 vcc, s27, v13
	v_cndmask_b32_e32 v13, 0, v6, vcc
	v_fmac_f32_e32 v13, 0x3fb8aa3b, v12
	v_exp_f32_e32 v13, v13
	v_cndmask_b32_e32 v14, 1.0, v7, vcc
	v_fma_f32 v13, v13, v14, 1.0
	v_cmp_gt_f32_e32 vcc, s28, v13
	v_cndmask_b32_e32 v14, 1.0, v8, vcc
	v_mul_f32_e32 v13, v13, v14
	v_log_f32_e32 v13, v13
	v_cndmask_b32_e32 v14, 0, v9, vcc
	v_cmp_lt_u32_e32 vcc, 20, v11
	v_sub_f32_e32 v13, v13, v14
	v_mul_f32_e32 v13, 0x3f317218, v13
	v_cndmask_b32_e32 v11, v13, v12, vcc
	v_mul_f32_e32 v12, 0x4f800000, v11
	v_cmp_gt_f32_e64 s[8:9], s29, v11
	v_cndmask_b32_e64 v11, v11, v12, s[8:9]
	v_sqrt_f32_e32 v12, v11
	s_and_b64 vcc, exec, s[2:3]
	v_add_u32_e32 v13, -1, v12
	v_add_u32_e32 v14, 1, v12
	v_fma_f32 v15, -v13, v12, v11
	v_fma_f32 v16, -v14, v12, v11
	v_cmp_ge_f32_e64 s[10:11], 0, v15
	v_cndmask_b32_e64 v12, v12, v13, s[10:11]
	v_cmp_lt_f32_e64 s[10:11], 0, v16
	v_cndmask_b32_e64 v12, v12, v14, s[10:11]
	v_mul_f32_e32 v13, 0x37800000, v12
	v_cndmask_b32_e64 v12, v12, v13, s[8:9]
	v_cmp_class_f32_e64 s[8:9], v11, v10
	v_cndmask_b32_e64 v11, v12, v11, s[8:9]
	s_cbranch_vccnz .LBB238_2
; %bb.4:                                ;   in Loop: Header=BB238_3 Depth=1
	v_lshlrev_b64 v[12:13], 2, v[2:3]
	v_mov_b32_e32 v3, s15
	v_add_co_u32_e32 v12, vcc, s14, v12
	v_addc_co_u32_e32 v13, vcc, v3, v13, vcc
	global_load_dword v3, v[12:13], off
	s_waitcnt vmcnt(0)
	v_add_f32_e32 v11, v11, v3
	s_branch .LBB238_2
.LBB238_5:
	s_or_b64 exec, exec, s[12:13]
	v_add_u32_e32 v2, s20, v0
	v_cmp_gt_i32_e32 vcc, s20, v2
	s_and_saveexec_b64 s[10:11], vcc
	s_cbranch_execz .LBB238_10
; %bb.6:
	s_load_dword s8, s[4:5], 0x44
	s_cmp_lg_u64 s[14:15], 0
	s_cselect_b64 s[2:3], -1, 0
	v_cndmask_b32_e64 v3, 0, 1, s[2:3]
	s_mov_b64 s[12:13], 0
	s_waitcnt lgkmcnt(0)
	s_and_b32 s22, s8, 0xffff
	v_lshl_add_u32 v4, v2, 2, 0
	s_lshl_b32 s23, s22, 2
	v_mov_b32_e32 v5, s24
	s_mov_b32 s24, 0x41a00000
	s_mov_b32 s25, 0xc2fc0000
	v_mov_b32_e32 v6, 0x42800000
	v_mov_b32_e32 v7, 0x1f800000
	s_mov_b32 s26, 0x800000
	v_mov_b32_e32 v8, 0x4f800000
	v_mov_b32_e32 v9, 0x42000000
	s_mov_b32 s27, 0xf800000
	v_mov_b32_e32 v10, 0x260
	v_cmp_ne_u32_e64 s[2:3], 1, v3
	s_branch .LBB238_8
.LBB238_7:                              ;   in Loop: Header=BB238_8 Depth=1
	v_add_u32_e32 v2, s22, v2
	v_cmp_le_i32_e32 vcc, s20, v2
	s_or_b64 s[12:13], vcc, s[12:13]
	v_add_u32_e32 v4, s23, v4
	s_andn2_b64 exec, exec, s[12:13]
	s_cbranch_execz .LBB238_10
.LBB238_8:                              ; =>This Inner Loop Header: Depth=1
	v_ashrrev_i32_e32 v3, 31, v2
	v_lshlrev_b64 v[12:13], 1, v[2:3]
	v_add_co_u32_e32 v12, vcc, s7, v12
	v_addc_co_u32_e32 v13, vcc, v5, v13, vcc
	global_load_ushort v11, v[12:13], off
	s_waitcnt vmcnt(0)
	v_lshlrev_b32_e32 v11, 16, v11
	v_mul_f32_e32 v12, 0x3fb8aa3b, v11
	v_cmp_gt_f32_e32 vcc, s25, v12
	v_cndmask_b32_e32 v12, 0, v6, vcc
	v_fmac_f32_e32 v12, 0x3fb8aa3b, v11
	v_exp_f32_e32 v12, v12
	v_cndmask_b32_e32 v13, 1.0, v7, vcc
	v_fma_f32 v12, v12, v13, 1.0
	v_cmp_gt_f32_e32 vcc, s26, v12
	v_cndmask_b32_e32 v13, 1.0, v8, vcc
	v_mul_f32_e32 v12, v12, v13
	v_log_f32_e32 v12, v12
	v_cndmask_b32_e32 v13, 0, v9, vcc
	v_cmp_lt_f32_e32 vcc, s24, v11
	v_sub_f32_e32 v12, v12, v13
	v_mul_f32_e32 v12, 0x3f317218, v12
	v_cndmask_b32_e32 v11, v12, v11, vcc
	v_mul_f32_e32 v12, 0x4f800000, v11
	v_cmp_gt_f32_e32 vcc, s27, v11
	v_cndmask_b32_e32 v11, v11, v12, vcc
	v_sqrt_f32_e32 v12, v11
	v_add_u32_e32 v13, -1, v12
	v_add_u32_e32 v14, 1, v12
	v_fma_f32 v15, -v13, v12, v11
	v_fma_f32 v16, -v14, v12, v11
	v_cmp_ge_f32_e64 s[8:9], 0, v15
	v_cndmask_b32_e64 v12, v12, v13, s[8:9]
	v_cmp_lt_f32_e64 s[8:9], 0, v16
	v_cndmask_b32_e64 v12, v12, v14, s[8:9]
	v_mul_f32_e32 v13, 0x37800000, v12
	v_cndmask_b32_e32 v12, v12, v13, vcc
	v_cmp_class_f32_e32 vcc, v11, v10
	v_cndmask_b32_e32 v11, v12, v11, vcc
	s_and_b64 vcc, exec, s[2:3]
	ds_write_b32 v4, v11
	s_cbranch_vccnz .LBB238_7
; %bb.9:                                ;   in Loop: Header=BB238_8 Depth=1
	v_lshlrev_b64 v[12:13], 2, v[2:3]
	v_mov_b32_e32 v3, s15
	v_add_co_u32_e32 v12, vcc, s14, v12
	v_addc_co_u32_e32 v13, vcc, v3, v13, vcc
	global_load_dword v3, v[12:13], off
	s_waitcnt vmcnt(0)
	v_add_f32_e32 v3, v11, v3
	ds_write_b32 v4, v3
	s_branch .LBB238_7
.LBB238_10:
	s_or_b64 exec, exec, s[10:11]
	s_cmp_lt_i32 s21, 1
	s_waitcnt lgkmcnt(0)
	s_barrier
	s_cbranch_scc1 .LBB238_19
; %bb.11:
	s_add_u32 s2, s4, 56
	s_addc_u32 s3, s5, 0
	v_mbcnt_lo_u32_b32 v4, -1, 0
	s_cmp_lg_u64 s[14:15], 0
	v_mbcnt_hi_u32_b32 v4, -1, v4
	v_bfrev_b32_e32 v5, 0.5
	s_cselect_b64 s[8:9], -1, 0
	s_mov_b32 s7, 0
	v_mov_b32_e32 v2, 0
	v_mov_b32_e32 v3, 0
	v_lshl_or_b32 v4, v4, 2, v5
	v_mov_b32_e32 v5, 0xff800000
	s_branch .LBB238_13
.LBB238_12:                             ;   in Loop: Header=BB238_13 Depth=1
	s_lshl_b32 s11, s10, 2
	s_add_i32 s11, s11, 0
	v_mov_b32_e32 v6, s11
	ds_write_b32 v6, v5
	v_mov_b32_e32 v6, s10
	v_cmp_eq_u32_e32 vcc, s7, v0
	s_add_i32 s7, s7, 1
	v_cndmask_b32_e32 v2, v2, v6, vcc
	s_cmp_eq_u32 s7, s21
	v_cndmask_b32_e32 v3, v3, v8, vcc
	s_cbranch_scc1 .LBB238_20
.LBB238_13:                             ; =>This Loop Header: Depth=1
                                        ;     Child Loop BB238_15 Depth 2
	v_mov_b32_e32 v6, s7
	v_mov_b32_e32 v7, 0xff800000
	s_and_saveexec_b64 s[10:11], s[0:1]
	s_cbranch_execz .LBB238_17
; %bb.14:                               ;   in Loop: Header=BB238_13 Depth=1
	s_load_dword s22, s[2:3], 0xc
	s_mov_b64 s[12:13], 0
	v_mov_b32_e32 v6, s7
	v_mov_b32_e32 v7, 0xff800000
	;; [unrolled: 1-line block ×3, first 2 shown]
	s_waitcnt lgkmcnt(0)
	s_and_b32 s22, s22, 0xffff
	s_lshl_b32 s23, s22, 2
	v_mov_b32_e32 v9, v0
.LBB238_15:                             ;   Parent Loop BB238_13 Depth=1
                                        ; =>  This Inner Loop Header: Depth=2
	ds_read_b32 v10, v8
	v_add_u32_e32 v8, s23, v8
	s_waitcnt lgkmcnt(0)
	v_cmp_gt_f32_e32 vcc, v10, v7
	v_cndmask_b32_e32 v6, v6, v9, vcc
	v_add_u32_e32 v9, s22, v9
	v_cndmask_b32_e32 v7, v7, v10, vcc
	v_cmp_le_i32_e32 vcc, s20, v9
	s_or_b64 s[12:13], vcc, s[12:13]
	s_andn2_b64 exec, exec, s[12:13]
	s_cbranch_execnz .LBB238_15
; %bb.16:                               ;   in Loop: Header=BB238_13 Depth=1
	s_or_b64 exec, exec, s[12:13]
.LBB238_17:                             ;   in Loop: Header=BB238_13 Depth=1
	s_or_b64 exec, exec, s[10:11]
	;;#ASMSTART
	v_max_f32 v8, v7, v7 quad_perm:[1,0,3,2] row_mask:0xf bank_mask:0xf bound_ctrl:1
	;;#ASMEND
	;;#ASMSTART
	v_max_f32 v9, v8, v8 quad_perm:[2,3,0,1] row_mask:0xf bank_mask:0xf bound_ctrl:1
	;;#ASMEND
	;;#ASMSTART
	v_max_f32 v8, v9, v9 row_half_mirror row_mask:0xf bank_mask:0xf bound_ctrl:1
	;;#ASMEND
	;;#ASMSTART
	v_max_f32 v9, v8, v8 row_mirror row_mask:0xf bank_mask:0xf bound_ctrl:1
	;;#ASMEND
	;;#ASMSTART
	v_max_f32 v8, v9, v9 row_ror:4 row_mask:0xf bank_mask:0xf bound_ctrl:1
	;;#ASMEND
	;;#ASMSTART
	v_max_f32 v9, v8, v8 row_ror:8 row_mask:0xf bank_mask:0xf bound_ctrl:1
	;;#ASMEND
	;;#ASMSTART
	v_max_f32 v8, v9, v9 row_bcast:15 row_mask:0xf bank_mask:0xf bound_ctrl:1
	;;#ASMEND
	;;#ASMSTART
	v_max_f32 v9, v8, v8 row_bcast:31 row_mask:0xf bank_mask:0xf bound_ctrl:1
	;;#ASMEND
	ds_bpermute_b32 v8, v4, v9
	s_waitcnt lgkmcnt(0)
	v_cmp_eq_f32_e32 vcc, v7, v8
	s_ff1_i32_b64 s10, vcc
	s_cmp_lg_u64 vcc, 0
	s_cselect_b32 s10, s10, 0
	s_and_b64 vcc, exec, s[8:9]
	v_readlane_b32 s10, v6, s10
	s_cbranch_vccz .LBB238_12
; %bb.18:                               ;   in Loop: Header=BB238_13 Depth=1
	s_ashr_i32 s11, s10, 31
	s_lshl_b64 s[12:13], s[10:11], 2
	s_add_u32 s12, s14, s12
	s_addc_u32 s13, s15, s13
	s_load_dword s11, s[12:13], 0x0
	s_waitcnt lgkmcnt(0)
	v_subrev_f32_e32 v8, s11, v8
	s_branch .LBB238_12
.LBB238_19:
	v_mov_b32_e32 v3, 0
	v_mov_b32_e32 v2, 0
.LBB238_20:
	v_cmp_gt_i32_e32 vcc, s21, v0
	s_and_saveexec_b64 s[0:1], vcc
	s_cbranch_execz .LBB238_23
; %bb.21:
	s_load_dword s2, s[4:5], 0x34
	s_load_dwordx2 s[0:1], s[4:5], 0x20
	s_ashr_i32 s3, s6, 31
	s_load_dword s4, s[4:5], 0x44
	v_mov_b32_e32 v4, s17
	s_waitcnt lgkmcnt(0)
	v_mul_f32_e32 v1, s2, v3
	s_mul_i32 s1, s6, s1
	s_mul_hi_u32 s2, s6, s0
	s_add_i32 s1, s2, s1
	s_mul_i32 s3, s3, s0
	s_add_i32 s5, s1, s3
	s_mul_i32 s2, s6, s0
	s_and_b32 s3, s4, 0xffff
	s_mov_b64 s[0:1], 0
	v_mov_b32_e32 v3, s5
	v_mov_b32_e32 v5, s19
.LBB238_22:                             ; =>This Inner Loop Header: Depth=1
	v_ashrrev_i32_e32 v7, 31, v0
	v_add_co_u32_e32 v6, vcc, s2, v0
	v_addc_co_u32_e32 v7, vcc, v3, v7, vcc
	v_add_u32_e32 v0, s3, v0
	v_cmp_le_i32_e32 vcc, s21, v0
	v_lshlrev_b64 v[6:7], 2, v[6:7]
	s_or_b64 s[0:1], vcc, s[0:1]
	v_add_co_u32_e32 v8, vcc, s16, v6
	v_addc_co_u32_e32 v9, vcc, v4, v7, vcc
	v_add_co_u32_e32 v6, vcc, s18, v6
	v_addc_co_u32_e32 v7, vcc, v5, v7, vcc
	global_store_dword v[8:9], v1, off
	global_store_dword v[6:7], v2, off
	s_andn2_b64 exec, exec, s[0:1]
	s_cbranch_execnz .LBB238_22
.LBB238_23:
	s_endpgm
	.section	.rodata,"a",@progbits
	.p2align	6, 0x0
	.amdhsa_kernel _ZN5aiter20topk_softplus_kernelI12hip_bfloat16fDv1_fLb0ELi0EEEvPKT_PKT0_PfPimiiif
		.amdhsa_group_segment_fixed_size 0
		.amdhsa_private_segment_fixed_size 0
		.amdhsa_kernarg_size 312
		.amdhsa_user_sgpr_count 6
		.amdhsa_user_sgpr_private_segment_buffer 1
		.amdhsa_user_sgpr_dispatch_ptr 0
		.amdhsa_user_sgpr_queue_ptr 0
		.amdhsa_user_sgpr_kernarg_segment_ptr 1
		.amdhsa_user_sgpr_dispatch_id 0
		.amdhsa_user_sgpr_flat_scratch_init 0
		.amdhsa_user_sgpr_kernarg_preload_length 0
		.amdhsa_user_sgpr_kernarg_preload_offset 0
		.amdhsa_user_sgpr_private_segment_size 0
		.amdhsa_uses_dynamic_stack 0
		.amdhsa_system_sgpr_private_segment_wavefront_offset 0
		.amdhsa_system_sgpr_workgroup_id_x 1
		.amdhsa_system_sgpr_workgroup_id_y 0
		.amdhsa_system_sgpr_workgroup_id_z 0
		.amdhsa_system_sgpr_workgroup_info 0
		.amdhsa_system_vgpr_workitem_id 0
		.amdhsa_next_free_vgpr 17
		.amdhsa_next_free_sgpr 30
		.amdhsa_accum_offset 20
		.amdhsa_reserve_vcc 1
		.amdhsa_reserve_flat_scratch 0
		.amdhsa_float_round_mode_32 0
		.amdhsa_float_round_mode_16_64 0
		.amdhsa_float_denorm_mode_32 3
		.amdhsa_float_denorm_mode_16_64 3
		.amdhsa_dx10_clamp 1
		.amdhsa_ieee_mode 1
		.amdhsa_fp16_overflow 0
		.amdhsa_tg_split 0
		.amdhsa_exception_fp_ieee_invalid_op 0
		.amdhsa_exception_fp_denorm_src 0
		.amdhsa_exception_fp_ieee_div_zero 0
		.amdhsa_exception_fp_ieee_overflow 0
		.amdhsa_exception_fp_ieee_underflow 0
		.amdhsa_exception_fp_ieee_inexact 0
		.amdhsa_exception_int_div_zero 0
	.end_amdhsa_kernel
	.section	.text._ZN5aiter20topk_softplus_kernelI12hip_bfloat16fDv1_fLb0ELi0EEEvPKT_PKT0_PfPimiiif,"axG",@progbits,_ZN5aiter20topk_softplus_kernelI12hip_bfloat16fDv1_fLb0ELi0EEEvPKT_PKT0_PfPimiiif,comdat
.Lfunc_end238:
	.size	_ZN5aiter20topk_softplus_kernelI12hip_bfloat16fDv1_fLb0ELi0EEEvPKT_PKT0_PfPimiiif, .Lfunc_end238-_ZN5aiter20topk_softplus_kernelI12hip_bfloat16fDv1_fLb0ELi0EEEvPKT_PKT0_PfPimiiif
                                        ; -- End function
	.section	.AMDGPU.csdata,"",@progbits
; Kernel info:
; codeLenInByte = 1556
; NumSgprs: 34
; NumVgprs: 17
; NumAgprs: 0
; TotalNumVgprs: 17
; ScratchSize: 0
; MemoryBound: 0
; FloatMode: 240
; IeeeMode: 1
; LDSByteSize: 0 bytes/workgroup (compile time only)
; SGPRBlocks: 4
; VGPRBlocks: 2
; NumSGPRsForWavesPerEU: 34
; NumVGPRsForWavesPerEU: 17
; AccumOffset: 20
; Occupancy: 8
; WaveLimiterHint : 0
; COMPUTE_PGM_RSRC2:SCRATCH_EN: 0
; COMPUTE_PGM_RSRC2:USER_SGPR: 6
; COMPUTE_PGM_RSRC2:TRAP_HANDLER: 0
; COMPUTE_PGM_RSRC2:TGID_X_EN: 1
; COMPUTE_PGM_RSRC2:TGID_Y_EN: 0
; COMPUTE_PGM_RSRC2:TGID_Z_EN: 0
; COMPUTE_PGM_RSRC2:TIDIG_COMP_CNT: 0
; COMPUTE_PGM_RSRC3_GFX90A:ACCUM_OFFSET: 4
; COMPUTE_PGM_RSRC3_GFX90A:TG_SPLIT: 0
	.section	.text._ZN5aiter24topk_softplus_kernel_optI12hip_bfloat166__halfLi64ELb1ELi1EEEvPKT_PKT0_PfPimiif,"axG",@progbits,_ZN5aiter24topk_softplus_kernel_optI12hip_bfloat166__halfLi64ELb1ELi1EEEvPKT_PKT0_PfPimiif,comdat
	.protected	_ZN5aiter24topk_softplus_kernel_optI12hip_bfloat166__halfLi64ELb1ELi1EEEvPKT_PKT0_PfPimiif ; -- Begin function _ZN5aiter24topk_softplus_kernel_optI12hip_bfloat166__halfLi64ELb1ELi1EEEvPKT_PKT0_PfPimiif
	.globl	_ZN5aiter24topk_softplus_kernel_optI12hip_bfloat166__halfLi64ELb1ELi1EEEvPKT_PKT0_PfPimiif
	.p2align	8
	.type	_ZN5aiter24topk_softplus_kernel_optI12hip_bfloat166__halfLi64ELb1ELi1EEEvPKT_PKT0_PfPimiif,@function
_ZN5aiter24topk_softplus_kernel_optI12hip_bfloat166__halfLi64ELb1ELi1EEEvPKT_PKT0_PfPimiif: ; @_ZN5aiter24topk_softplus_kernel_optI12hip_bfloat166__halfLi64ELb1ELi1EEEvPKT_PKT0_PfPimiif
; %bb.0:
	s_load_dwordx4 s[0:3], s[4:5], 0x0
	s_lshl_b32 s8, s6, 6
	s_ashr_i32 s9, s8, 31
	s_lshl_b64 s[8:9], s[8:9], 1
	v_lshlrev_b32_e32 v2, 1, v0
	s_waitcnt lgkmcnt(0)
	s_add_u32 s0, s0, s8
	s_addc_u32 s1, s1, s9
	global_load_ushort v1, v2, s[0:1]
	s_mov_b32 s0, 0xc2fc0000
	v_mov_b32_e32 v3, 0x42800000
	s_cmp_eq_u64 s[2:3], 0
	s_waitcnt vmcnt(0)
	v_lshlrev_b32_e32 v1, 16, v1
	v_mul_f32_e32 v4, 0xbfb8aa3b, v1
	v_cmp_gt_f32_e32 vcc, s0, v4
	v_cndmask_b32_e32 v3, 0, v3, vcc
	v_fmac_f32_e32 v3, 0xbfb8aa3b, v1
	v_exp_f32_e32 v1, v3
	v_mov_b32_e32 v3, 0x1f800000
	v_cndmask_b32_e32 v3, 1.0, v3, vcc
	v_fma_f32 v1, v1, v3, 1.0
	v_rcp_f32_e32 v3, v1
	v_mov_b32_e32 v1, 0
	v_mov_b32_e32 v4, v3
	s_cbranch_scc1 .LBB239_2
; %bb.1:
	global_load_ushort v2, v2, s[2:3]
	s_waitcnt vmcnt(0)
	v_cvt_f32_f16_e32 v2, v2
	v_add_f32_e32 v4, v3, v2
.LBB239_2:
	s_load_dword s2, s[4:5], 0x28
	s_load_dwordx4 s[8:11], s[4:5], 0x10
	s_mov_b32 s3, 0
	v_mov_b32_e32 v5, 0
	v_mov_b32_e32 v2, 0
	s_waitcnt lgkmcnt(0)
	s_cmp_lt_i32 s2, 1
	s_cbranch_scc1 .LBB239_5
; %bb.3:
	v_mbcnt_lo_u32_b32 v1, -1, 0
	v_mbcnt_hi_u32_b32 v1, -1, v1
	v_bfrev_b32_e32 v2, 0.5
	v_mov_b32_e32 v6, 0
	v_mov_b32_e32 v7, 0xff800000
	v_lshl_or_b32 v8, v1, 2, v2
	v_mov_b32_e32 v5, 0
	v_mov_b32_e32 v1, 0
	;; [unrolled: 1-line block ×3, first 2 shown]
.LBB239_4:                              ; =>This Inner Loop Header: Depth=1
	v_cmp_eq_u32_e32 vcc, 0, v6
	v_cndmask_b32_e32 v9, v7, v4, vcc
	;;#ASMSTART
	v_max_f32 v11, v9, v9 quad_perm:[1,0,3,2] row_mask:0xf bank_mask:0xf bound_ctrl:1
	;;#ASMEND
	;;#ASMSTART
	v_max_f32 v12, v11, v11 quad_perm:[2,3,0,1] row_mask:0xf bank_mask:0xf bound_ctrl:1
	;;#ASMEND
	;;#ASMSTART
	v_max_f32 v11, v12, v12 row_half_mirror row_mask:0xf bank_mask:0xf bound_ctrl:1
	;;#ASMEND
	;;#ASMSTART
	v_max_f32 v12, v11, v11 row_mirror row_mask:0xf bank_mask:0xf bound_ctrl:1
	;;#ASMEND
	;;#ASMSTART
	v_max_f32 v11, v12, v12 row_ror:4 row_mask:0xf bank_mask:0xf bound_ctrl:1
	;;#ASMEND
	;;#ASMSTART
	v_max_f32 v12, v11, v11 row_ror:8 row_mask:0xf bank_mask:0xf bound_ctrl:1
	;;#ASMEND
	;;#ASMSTART
	v_max_f32 v11, v12, v12 row_bcast:15 row_mask:0xf bank_mask:0xf bound_ctrl:1
	;;#ASMEND
	;;#ASMSTART
	v_max_f32 v12, v11, v11 row_bcast:31 row_mask:0xf bank_mask:0xf bound_ctrl:1
	;;#ASMEND
	ds_bpermute_b32 v11, v8, v12
	v_cndmask_b32_e32 v10, 0, v0, vcc
	s_waitcnt lgkmcnt(0)
	v_cmp_eq_f32_e64 s[0:1], v9, v11
	s_ff1_i32_b64 s7, s[0:1]
	s_cmp_lg_u64 s[0:1], 0
	s_cselect_b32 s0, s7, 0
	s_nop 0
	v_readlane_b32 s7, v10, s0
	v_cmp_eq_u32_e64 s[0:1], s7, v0
	s_and_b64 vcc, vcc, s[0:1]
	s_and_b32 s12, s7, 63
	v_cndmask_b32_e32 v10, 0, v3, vcc
	v_addc_co_u32_e32 v6, vcc, 0, v6, vcc
	v_readlane_b32 s0, v10, s12
	v_mov_b32_e32 v9, s7
	v_mov_b32_e32 v10, s0
	v_cmp_eq_u32_e32 vcc, s3, v0
	s_add_i32 s3, s3, 1
	v_add_f32_e32 v5, s0, v5
	v_cndmask_b32_e32 v2, v2, v10, vcc
	s_cmp_eq_u32 s2, s3
	v_cndmask_b32_e32 v1, v1, v9, vcc
	s_cbranch_scc0 .LBB239_4
.LBB239_5:
	v_cmp_gt_i32_e32 vcc, s2, v0
	s_and_saveexec_b64 s[0:1], vcc
	s_cbranch_execz .LBB239_7
; %bb.6:
	s_load_dword s2, s[4:5], 0x30
	v_max_f32_e32 v3, v5, v5
	v_max_f32_e32 v3, 0x1e3ce508, v3
	v_lshlrev_b32_e32 v0, 2, v0
	s_waitcnt lgkmcnt(0)
	v_div_scale_f32 v4, s[0:1], v3, v3, s2
	v_rcp_f32_e32 v5, v4
	v_div_scale_f32 v6, vcc, s2, v3, s2
	s_load_dwordx2 s[0:1], s[4:5], 0x20
	v_fma_f32 v7, -v4, v5, 1.0
	v_fmac_f32_e32 v5, v7, v5
	v_mul_f32_e32 v7, v6, v5
	v_fma_f32 v8, -v4, v7, v6
	v_fmac_f32_e32 v7, v8, v5
	v_fma_f32 v4, -v4, v7, v6
	v_div_fmas_f32 v4, v4, v5, v7
	v_div_fixup_f32 v3, v4, v3, s2
	s_ashr_i32 s2, s6, 31
	s_waitcnt lgkmcnt(0)
	s_mul_i32 s1, s6, s1
	s_mul_hi_u32 s3, s6, s0
	s_add_i32 s1, s3, s1
	s_mul_i32 s2, s2, s0
	s_add_i32 s1, s1, s2
	s_mul_i32 s0, s6, s0
	s_lshl_b64 s[0:1], s[0:1], 2
	s_add_u32 s2, s8, s0
	s_addc_u32 s3, s9, s1
	s_add_u32 s0, s10, s0
	v_mul_f32_e32 v2, v2, v3
	s_addc_u32 s1, s11, s1
	global_store_dword v0, v2, s[2:3]
	global_store_dword v0, v1, s[0:1]
.LBB239_7:
	s_endpgm
	.section	.rodata,"a",@progbits
	.p2align	6, 0x0
	.amdhsa_kernel _ZN5aiter24topk_softplus_kernel_optI12hip_bfloat166__halfLi64ELb1ELi1EEEvPKT_PKT0_PfPimiif
		.amdhsa_group_segment_fixed_size 0
		.amdhsa_private_segment_fixed_size 0
		.amdhsa_kernarg_size 52
		.amdhsa_user_sgpr_count 6
		.amdhsa_user_sgpr_private_segment_buffer 1
		.amdhsa_user_sgpr_dispatch_ptr 0
		.amdhsa_user_sgpr_queue_ptr 0
		.amdhsa_user_sgpr_kernarg_segment_ptr 1
		.amdhsa_user_sgpr_dispatch_id 0
		.amdhsa_user_sgpr_flat_scratch_init 0
		.amdhsa_user_sgpr_kernarg_preload_length 0
		.amdhsa_user_sgpr_kernarg_preload_offset 0
		.amdhsa_user_sgpr_private_segment_size 0
		.amdhsa_uses_dynamic_stack 0
		.amdhsa_system_sgpr_private_segment_wavefront_offset 0
		.amdhsa_system_sgpr_workgroup_id_x 1
		.amdhsa_system_sgpr_workgroup_id_y 0
		.amdhsa_system_sgpr_workgroup_id_z 0
		.amdhsa_system_sgpr_workgroup_info 0
		.amdhsa_system_vgpr_workitem_id 0
		.amdhsa_next_free_vgpr 13
		.amdhsa_next_free_sgpr 13
		.amdhsa_accum_offset 16
		.amdhsa_reserve_vcc 1
		.amdhsa_reserve_flat_scratch 0
		.amdhsa_float_round_mode_32 0
		.amdhsa_float_round_mode_16_64 0
		.amdhsa_float_denorm_mode_32 3
		.amdhsa_float_denorm_mode_16_64 3
		.amdhsa_dx10_clamp 1
		.amdhsa_ieee_mode 1
		.amdhsa_fp16_overflow 0
		.amdhsa_tg_split 0
		.amdhsa_exception_fp_ieee_invalid_op 0
		.amdhsa_exception_fp_denorm_src 0
		.amdhsa_exception_fp_ieee_div_zero 0
		.amdhsa_exception_fp_ieee_overflow 0
		.amdhsa_exception_fp_ieee_underflow 0
		.amdhsa_exception_fp_ieee_inexact 0
		.amdhsa_exception_int_div_zero 0
	.end_amdhsa_kernel
	.section	.text._ZN5aiter24topk_softplus_kernel_optI12hip_bfloat166__halfLi64ELb1ELi1EEEvPKT_PKT0_PfPimiif,"axG",@progbits,_ZN5aiter24topk_softplus_kernel_optI12hip_bfloat166__halfLi64ELb1ELi1EEEvPKT_PKT0_PfPimiif,comdat
.Lfunc_end239:
	.size	_ZN5aiter24topk_softplus_kernel_optI12hip_bfloat166__halfLi64ELb1ELi1EEEvPKT_PKT0_PfPimiif, .Lfunc_end239-_ZN5aiter24topk_softplus_kernel_optI12hip_bfloat166__halfLi64ELb1ELi1EEEvPKT_PKT0_PfPimiif
                                        ; -- End function
	.section	.AMDGPU.csdata,"",@progbits
; Kernel info:
; codeLenInByte = 632
; NumSgprs: 17
; NumVgprs: 13
; NumAgprs: 0
; TotalNumVgprs: 13
; ScratchSize: 0
; MemoryBound: 0
; FloatMode: 240
; IeeeMode: 1
; LDSByteSize: 0 bytes/workgroup (compile time only)
; SGPRBlocks: 2
; VGPRBlocks: 1
; NumSGPRsForWavesPerEU: 17
; NumVGPRsForWavesPerEU: 13
; AccumOffset: 16
; Occupancy: 8
; WaveLimiterHint : 0
; COMPUTE_PGM_RSRC2:SCRATCH_EN: 0
; COMPUTE_PGM_RSRC2:USER_SGPR: 6
; COMPUTE_PGM_RSRC2:TRAP_HANDLER: 0
; COMPUTE_PGM_RSRC2:TGID_X_EN: 1
; COMPUTE_PGM_RSRC2:TGID_Y_EN: 0
; COMPUTE_PGM_RSRC2:TGID_Z_EN: 0
; COMPUTE_PGM_RSRC2:TIDIG_COMP_CNT: 0
; COMPUTE_PGM_RSRC3_GFX90A:ACCUM_OFFSET: 3
; COMPUTE_PGM_RSRC3_GFX90A:TG_SPLIT: 0
	.section	.text._ZN5aiter24topk_softplus_kernel_optI12hip_bfloat166__halfLi64ELb0ELi1EEEvPKT_PKT0_PfPimiif,"axG",@progbits,_ZN5aiter24topk_softplus_kernel_optI12hip_bfloat166__halfLi64ELb0ELi1EEEvPKT_PKT0_PfPimiif,comdat
	.protected	_ZN5aiter24topk_softplus_kernel_optI12hip_bfloat166__halfLi64ELb0ELi1EEEvPKT_PKT0_PfPimiif ; -- Begin function _ZN5aiter24topk_softplus_kernel_optI12hip_bfloat166__halfLi64ELb0ELi1EEEvPKT_PKT0_PfPimiif
	.globl	_ZN5aiter24topk_softplus_kernel_optI12hip_bfloat166__halfLi64ELb0ELi1EEEvPKT_PKT0_PfPimiif
	.p2align	8
	.type	_ZN5aiter24topk_softplus_kernel_optI12hip_bfloat166__halfLi64ELb0ELi1EEEvPKT_PKT0_PfPimiif,@function
_ZN5aiter24topk_softplus_kernel_optI12hip_bfloat166__halfLi64ELb0ELi1EEEvPKT_PKT0_PfPimiif: ; @_ZN5aiter24topk_softplus_kernel_optI12hip_bfloat166__halfLi64ELb0ELi1EEEvPKT_PKT0_PfPimiif
; %bb.0:
	s_load_dwordx4 s[0:3], s[4:5], 0x0
	s_lshl_b32 s8, s6, 6
	s_ashr_i32 s9, s8, 31
	s_lshl_b64 s[8:9], s[8:9], 1
	v_lshlrev_b32_e32 v2, 1, v0
	s_waitcnt lgkmcnt(0)
	s_add_u32 s0, s0, s8
	s_addc_u32 s1, s1, s9
	global_load_ushort v1, v2, s[0:1]
	s_mov_b32 s0, 0xc2fc0000
	v_mov_b32_e32 v3, 0x42800000
	s_cmp_eq_u64 s[2:3], 0
	s_waitcnt vmcnt(0)
	v_lshlrev_b32_e32 v1, 16, v1
	v_mul_f32_e32 v4, 0xbfb8aa3b, v1
	v_cmp_gt_f32_e32 vcc, s0, v4
	v_cndmask_b32_e32 v3, 0, v3, vcc
	v_fmac_f32_e32 v3, 0xbfb8aa3b, v1
	v_exp_f32_e32 v1, v3
	v_mov_b32_e32 v3, 0x1f800000
	v_cndmask_b32_e32 v3, 1.0, v3, vcc
	v_fma_f32 v1, v1, v3, 1.0
	v_rcp_f32_e32 v3, v1
	v_mov_b32_e32 v1, 0
	v_mov_b32_e32 v4, v3
	s_cbranch_scc1 .LBB240_2
; %bb.1:
	global_load_ushort v2, v2, s[2:3]
	s_waitcnt vmcnt(0)
	v_cvt_f32_f16_e32 v2, v2
	v_add_f32_e32 v4, v3, v2
.LBB240_2:
	s_load_dword s2, s[4:5], 0x28
	s_load_dwordx4 s[8:11], s[4:5], 0x10
	s_waitcnt lgkmcnt(0)
	s_cmp_lt_i32 s2, 1
	s_cbranch_scc1 .LBB240_8
; %bb.3:
	v_mbcnt_lo_u32_b32 v1, -1, 0
	v_mbcnt_hi_u32_b32 v1, -1, v1
	v_bfrev_b32_e32 v7, 0.5
	s_mov_b32 s3, 0
	v_mov_b32_e32 v5, 0
	v_mov_b32_e32 v2, 0
	;; [unrolled: 1-line block ×3, first 2 shown]
	v_lshl_or_b32 v7, v1, 2, v7
	v_mov_b32_e32 v1, 0
.LBB240_4:                              ; =>This Inner Loop Header: Depth=1
	v_cmp_eq_u32_e32 vcc, 0, v5
	v_cndmask_b32_e32 v8, v6, v4, vcc
	;;#ASMSTART
	v_max_f32 v10, v8, v8 quad_perm:[1,0,3,2] row_mask:0xf bank_mask:0xf bound_ctrl:1
	;;#ASMEND
	;;#ASMSTART
	v_max_f32 v11, v10, v10 quad_perm:[2,3,0,1] row_mask:0xf bank_mask:0xf bound_ctrl:1
	;;#ASMEND
	;;#ASMSTART
	v_max_f32 v10, v11, v11 row_half_mirror row_mask:0xf bank_mask:0xf bound_ctrl:1
	;;#ASMEND
	;;#ASMSTART
	v_max_f32 v11, v10, v10 row_mirror row_mask:0xf bank_mask:0xf bound_ctrl:1
	;;#ASMEND
	;;#ASMSTART
	v_max_f32 v10, v11, v11 row_ror:4 row_mask:0xf bank_mask:0xf bound_ctrl:1
	;;#ASMEND
	;;#ASMSTART
	v_max_f32 v11, v10, v10 row_ror:8 row_mask:0xf bank_mask:0xf bound_ctrl:1
	;;#ASMEND
	;;#ASMSTART
	v_max_f32 v10, v11, v11 row_bcast:15 row_mask:0xf bank_mask:0xf bound_ctrl:1
	;;#ASMEND
	;;#ASMSTART
	v_max_f32 v11, v10, v10 row_bcast:31 row_mask:0xf bank_mask:0xf bound_ctrl:1
	;;#ASMEND
	ds_bpermute_b32 v10, v7, v11
	v_cndmask_b32_e32 v9, 0, v0, vcc
	s_waitcnt lgkmcnt(0)
	v_cmp_eq_f32_e64 s[0:1], v8, v10
	s_ff1_i32_b64 s7, s[0:1]
	s_cmp_lg_u64 s[0:1], 0
	s_cselect_b32 s0, s7, 0
	s_nop 0
	v_readlane_b32 s7, v9, s0
	v_cmp_eq_u32_e64 s[0:1], s7, v0
	s_and_b64 vcc, vcc, s[0:1]
	s_and_b32 s12, s7, 63
	v_cndmask_b32_e32 v9, 0, v3, vcc
	v_addc_co_u32_e32 v5, vcc, 0, v5, vcc
	v_readlane_b32 s0, v9, s12
	v_mov_b32_e32 v8, s7
	v_mov_b32_e32 v9, s0
	v_cmp_eq_u32_e32 vcc, s3, v0
	s_add_i32 s3, s3, 1
	v_cndmask_b32_e32 v2, v2, v9, vcc
	s_cmp_eq_u32 s2, s3
	v_cndmask_b32_e32 v1, v1, v8, vcc
	s_cbranch_scc0 .LBB240_4
; %bb.5:
	v_cmp_gt_i32_e32 vcc, s2, v0
	s_and_saveexec_b64 s[0:1], vcc
	s_cbranch_execz .LBB240_7
.LBB240_6:
	s_load_dword s2, s[4:5], 0x30
	s_load_dwordx2 s[0:1], s[4:5], 0x20
	s_ashr_i32 s3, s6, 31
	v_lshlrev_b32_e32 v0, 2, v0
	s_waitcnt lgkmcnt(0)
	v_mul_f32_e32 v2, s2, v2
	s_mul_i32 s1, s6, s1
	s_mul_hi_u32 s2, s6, s0
	s_add_i32 s1, s2, s1
	s_mul_i32 s3, s3, s0
	s_add_i32 s1, s1, s3
	s_mul_i32 s0, s6, s0
	s_lshl_b64 s[0:1], s[0:1], 2
	s_add_u32 s2, s8, s0
	s_addc_u32 s3, s9, s1
	s_add_u32 s0, s10, s0
	s_addc_u32 s1, s11, s1
	global_store_dword v0, v2, s[2:3]
	global_store_dword v0, v1, s[0:1]
.LBB240_7:
	s_endpgm
.LBB240_8:
	v_mov_b32_e32 v2, 0
	v_cmp_gt_i32_e32 vcc, s2, v0
	s_and_saveexec_b64 s[0:1], vcc
	s_cbranch_execnz .LBB240_6
	s_branch .LBB240_7
	.section	.rodata,"a",@progbits
	.p2align	6, 0x0
	.amdhsa_kernel _ZN5aiter24topk_softplus_kernel_optI12hip_bfloat166__halfLi64ELb0ELi1EEEvPKT_PKT0_PfPimiif
		.amdhsa_group_segment_fixed_size 0
		.amdhsa_private_segment_fixed_size 0
		.amdhsa_kernarg_size 52
		.amdhsa_user_sgpr_count 6
		.amdhsa_user_sgpr_private_segment_buffer 1
		.amdhsa_user_sgpr_dispatch_ptr 0
		.amdhsa_user_sgpr_queue_ptr 0
		.amdhsa_user_sgpr_kernarg_segment_ptr 1
		.amdhsa_user_sgpr_dispatch_id 0
		.amdhsa_user_sgpr_flat_scratch_init 0
		.amdhsa_user_sgpr_kernarg_preload_length 0
		.amdhsa_user_sgpr_kernarg_preload_offset 0
		.amdhsa_user_sgpr_private_segment_size 0
		.amdhsa_uses_dynamic_stack 0
		.amdhsa_system_sgpr_private_segment_wavefront_offset 0
		.amdhsa_system_sgpr_workgroup_id_x 1
		.amdhsa_system_sgpr_workgroup_id_y 0
		.amdhsa_system_sgpr_workgroup_id_z 0
		.amdhsa_system_sgpr_workgroup_info 0
		.amdhsa_system_vgpr_workitem_id 0
		.amdhsa_next_free_vgpr 12
		.amdhsa_next_free_sgpr 13
		.amdhsa_accum_offset 12
		.amdhsa_reserve_vcc 1
		.amdhsa_reserve_flat_scratch 0
		.amdhsa_float_round_mode_32 0
		.amdhsa_float_round_mode_16_64 0
		.amdhsa_float_denorm_mode_32 3
		.amdhsa_float_denorm_mode_16_64 3
		.amdhsa_dx10_clamp 1
		.amdhsa_ieee_mode 1
		.amdhsa_fp16_overflow 0
		.amdhsa_tg_split 0
		.amdhsa_exception_fp_ieee_invalid_op 0
		.amdhsa_exception_fp_denorm_src 0
		.amdhsa_exception_fp_ieee_div_zero 0
		.amdhsa_exception_fp_ieee_overflow 0
		.amdhsa_exception_fp_ieee_underflow 0
		.amdhsa_exception_fp_ieee_inexact 0
		.amdhsa_exception_int_div_zero 0
	.end_amdhsa_kernel
	.section	.text._ZN5aiter24topk_softplus_kernel_optI12hip_bfloat166__halfLi64ELb0ELi1EEEvPKT_PKT0_PfPimiif,"axG",@progbits,_ZN5aiter24topk_softplus_kernel_optI12hip_bfloat166__halfLi64ELb0ELi1EEEvPKT_PKT0_PfPimiif,comdat
.Lfunc_end240:
	.size	_ZN5aiter24topk_softplus_kernel_optI12hip_bfloat166__halfLi64ELb0ELi1EEEvPKT_PKT0_PfPimiif, .Lfunc_end240-_ZN5aiter24topk_softplus_kernel_optI12hip_bfloat166__halfLi64ELb0ELi1EEEvPKT_PKT0_PfPimiif
                                        ; -- End function
	.section	.AMDGPU.csdata,"",@progbits
; Kernel info:
; codeLenInByte = 548
; NumSgprs: 17
; NumVgprs: 12
; NumAgprs: 0
; TotalNumVgprs: 12
; ScratchSize: 0
; MemoryBound: 0
; FloatMode: 240
; IeeeMode: 1
; LDSByteSize: 0 bytes/workgroup (compile time only)
; SGPRBlocks: 2
; VGPRBlocks: 1
; NumSGPRsForWavesPerEU: 17
; NumVGPRsForWavesPerEU: 12
; AccumOffset: 12
; Occupancy: 8
; WaveLimiterHint : 0
; COMPUTE_PGM_RSRC2:SCRATCH_EN: 0
; COMPUTE_PGM_RSRC2:USER_SGPR: 6
; COMPUTE_PGM_RSRC2:TRAP_HANDLER: 0
; COMPUTE_PGM_RSRC2:TGID_X_EN: 1
; COMPUTE_PGM_RSRC2:TGID_Y_EN: 0
; COMPUTE_PGM_RSRC2:TGID_Z_EN: 0
; COMPUTE_PGM_RSRC2:TIDIG_COMP_CNT: 0
; COMPUTE_PGM_RSRC3_GFX90A:ACCUM_OFFSET: 2
; COMPUTE_PGM_RSRC3_GFX90A:TG_SPLIT: 0
	.section	.text._ZN5aiter24topk_softplus_kernel_optI12hip_bfloat166__halfLi128ELb1ELi1EEEvPKT_PKT0_PfPimiif,"axG",@progbits,_ZN5aiter24topk_softplus_kernel_optI12hip_bfloat166__halfLi128ELb1ELi1EEEvPKT_PKT0_PfPimiif,comdat
	.protected	_ZN5aiter24topk_softplus_kernel_optI12hip_bfloat166__halfLi128ELb1ELi1EEEvPKT_PKT0_PfPimiif ; -- Begin function _ZN5aiter24topk_softplus_kernel_optI12hip_bfloat166__halfLi128ELb1ELi1EEEvPKT_PKT0_PfPimiif
	.globl	_ZN5aiter24topk_softplus_kernel_optI12hip_bfloat166__halfLi128ELb1ELi1EEEvPKT_PKT0_PfPimiif
	.p2align	8
	.type	_ZN5aiter24topk_softplus_kernel_optI12hip_bfloat166__halfLi128ELb1ELi1EEEvPKT_PKT0_PfPimiif,@function
_ZN5aiter24topk_softplus_kernel_optI12hip_bfloat166__halfLi128ELb1ELi1EEEvPKT_PKT0_PfPimiif: ; @_ZN5aiter24topk_softplus_kernel_optI12hip_bfloat166__halfLi128ELb1ELi1EEEvPKT_PKT0_PfPimiif
; %bb.0:
	s_load_dwordx4 s[0:3], s[4:5], 0x0
	s_lshl_b32 s8, s6, 7
	s_ashr_i32 s9, s8, 31
	s_lshl_b64 s[8:9], s[8:9], 1
	v_lshlrev_b32_e32 v1, 1, v0
	s_waitcnt lgkmcnt(0)
	s_add_u32 s8, s0, s8
	s_addc_u32 s9, s1, s9
	global_load_ushort v2, v1, s[8:9]
	s_mov_b32 s7, 0xc2fc0000
	v_mov_b32_e32 v5, 0x42800000
	v_mov_b32_e32 v7, 0x1f800000
	s_cmp_lg_u64 s[2:3], 0
	s_cselect_b64 s[0:1], -1, 0
	s_waitcnt vmcnt(0)
	v_lshlrev_b32_e32 v2, 16, v2
	v_mul_f32_e32 v3, 0xbfb8aa3b, v2
	v_cmp_gt_f32_e32 vcc, s7, v3
	v_cndmask_b32_e32 v3, 0, v5, vcc
	v_fmac_f32_e32 v3, 0xbfb8aa3b, v2
	v_exp_f32_e32 v2, v3
	v_cndmask_b32_e32 v4, 1.0, v7, vcc
	v_mov_b32_e32 v3, s9
	v_fma_f32 v2, v2, v4, 1.0
	v_rcp_f32_e32 v6, v2
	v_add_co_u32_e32 v2, vcc, s8, v1
	v_addc_co_u32_e32 v3, vcc, 0, v3, vcc
	s_and_b64 vcc, exec, s[0:1]
	v_mov_b32_e32 v4, v6
	s_cbranch_vccz .LBB241_2
; %bb.1:
	global_load_ushort v4, v1, s[2:3]
	s_waitcnt vmcnt(0)
	v_cvt_f32_f16_e32 v4, v4
	v_add_f32_e32 v4, v6, v4
.LBB241_2:
	global_load_ushort v2, v[2:3], off offset:128
	s_waitcnt vmcnt(0)
	v_lshlrev_b32_e32 v2, 16, v2
	v_mul_f32_e32 v3, 0xbfb8aa3b, v2
	v_cmp_gt_f32_e32 vcc, s7, v3
	v_cndmask_b32_e32 v3, 0, v5, vcc
	v_fmac_f32_e32 v3, 0xbfb8aa3b, v2
	v_exp_f32_e32 v2, v3
	v_cndmask_b32_e32 v3, 1.0, v7, vcc
	s_andn2_b64 vcc, exec, s[0:1]
	v_fma_f32 v2, v2, v3, 1.0
	v_rcp_f32_e32 v10, v2
	v_mov_b32_e32 v5, v10
	s_cbranch_vccnz .LBB241_4
; %bb.3:
	global_load_ushort v1, v1, s[2:3] offset:128
	s_waitcnt vmcnt(0)
	v_cvt_f32_f16_e32 v1, v1
	v_add_f32_e32 v5, v10, v1
.LBB241_4:
	s_load_dword s2, s[4:5], 0x28
	s_load_dwordx4 s[8:11], s[4:5], 0x10
	v_mov_b32_e32 v9, 0
	v_mov_b32_e32 v7, 0
	;; [unrolled: 1-line block ×3, first 2 shown]
	s_waitcnt lgkmcnt(0)
	s_cmp_gt_i32 s2, 0
	s_cbranch_scc0 .LBB241_7
; %bb.5:
	v_mbcnt_lo_u32_b32 v7, -1, 0
	v_add_u32_e32 v2, 64, v0
	v_cmp_lt_f32_e32 vcc, v4, v5
	v_mbcnt_hi_u32_b32 v7, -1, v7
	v_bfrev_b32_e32 v8, 0.5
	v_cndmask_b32_e32 v1, v2, v0, vcc
	v_cndmask_b32_e32 v2, v0, v2, vcc
	;; [unrolled: 1-line block ×6, first 2 shown]
	v_mov_b32_e32 v9, 0
	v_mov_b32_e32 v10, 0
	;; [unrolled: 1-line block ×3, first 2 shown]
	v_lshl_or_b32 v12, v7, 2, v8
	v_mov_b32_e32 v13, v0
	s_mov_b32 s3, s2
	v_mov_b32_e32 v7, 0
	v_mov_b32_e32 v8, 0
.LBB241_6:                              ; =>This Inner Loop Header: Depth=1
	v_cmp_eq_u32_e32 vcc, 1, v10
	v_cndmask_b32_e32 v14, v4, v3, vcc
	v_cmp_gt_u32_e64 s[0:1], 2, v10
	v_cndmask_b32_e64 v14, v11, v14, s[0:1]
	;;#ASMSTART
	v_max_f32 v18, v14, v14 quad_perm:[1,0,3,2] row_mask:0xf bank_mask:0xf bound_ctrl:1
	;;#ASMEND
	;;#ASMSTART
	v_max_f32 v19, v18, v18 quad_perm:[2,3,0,1] row_mask:0xf bank_mask:0xf bound_ctrl:1
	;;#ASMEND
	;;#ASMSTART
	v_max_f32 v18, v19, v19 row_half_mirror row_mask:0xf bank_mask:0xf bound_ctrl:1
	;;#ASMEND
	;;#ASMSTART
	v_max_f32 v19, v18, v18 row_mirror row_mask:0xf bank_mask:0xf bound_ctrl:1
	;;#ASMEND
	;;#ASMSTART
	v_max_f32 v18, v19, v19 row_ror:4 row_mask:0xf bank_mask:0xf bound_ctrl:1
	;;#ASMEND
	;;#ASMSTART
	v_max_f32 v19, v18, v18 row_ror:8 row_mask:0xf bank_mask:0xf bound_ctrl:1
	;;#ASMEND
	;;#ASMSTART
	v_max_f32 v18, v19, v19 row_bcast:15 row_mask:0xf bank_mask:0xf bound_ctrl:1
	;;#ASMEND
	;;#ASMSTART
	v_max_f32 v19, v18, v18 row_bcast:31 row_mask:0xf bank_mask:0xf bound_ctrl:1
	;;#ASMEND
	ds_bpermute_b32 v18, v12, v19
	v_cndmask_b32_e32 v15, v2, v1, vcc
	v_cndmask_b32_e32 v16, v6, v5, vcc
	v_cndmask_b32_e64 v17, 0, v15, s[0:1]
	s_waitcnt lgkmcnt(0)
	v_cmp_eq_f32_e32 vcc, v14, v18
	s_ff1_i32_b64 s7, vcc
	s_cmp_lg_u64 vcc, 0
	s_cselect_b32 s7, s7, 0
	v_readlane_b32 s7, v17, s7
	v_cmp_eq_u32_e32 vcc, s7, v15
	s_and_b64 vcc, s[0:1], vcc
	s_and_b32 s12, s7, 63
	v_cndmask_b32_e32 v15, 0, v16, vcc
	v_addc_co_u32_e32 v10, vcc, 0, v10, vcc
	v_readlane_b32 s0, v15, s12
	s_add_i32 s3, s3, -1
	v_mov_b32_e32 v14, s7
	v_mov_b32_e32 v15, s0
	v_cmp_eq_u32_e32 vcc, 0, v13
	s_cmp_eq_u32 s3, 0
	v_add_f32_e32 v9, s0, v9
	v_add_u32_e32 v13, -1, v13
	v_cndmask_b32_e32 v8, v8, v15, vcc
	v_cndmask_b32_e32 v7, v7, v14, vcc
	s_cbranch_scc0 .LBB241_6
.LBB241_7:
	v_cmp_gt_i32_e32 vcc, s2, v0
	s_and_saveexec_b64 s[0:1], vcc
	s_cbranch_execz .LBB241_9
; %bb.8:
	s_load_dword s2, s[4:5], 0x30
	v_max_f32_e32 v1, v9, v9
	v_max_f32_e32 v1, 0x1e3ce508, v1
	v_lshlrev_b32_e32 v0, 2, v0
	s_waitcnt lgkmcnt(0)
	v_div_scale_f32 v2, s[0:1], v1, v1, s2
	v_rcp_f32_e32 v3, v2
	v_div_scale_f32 v4, vcc, s2, v1, s2
	s_load_dwordx2 s[0:1], s[4:5], 0x20
	v_fma_f32 v5, -v2, v3, 1.0
	v_fmac_f32_e32 v3, v5, v3
	v_mul_f32_e32 v5, v4, v3
	v_fma_f32 v6, -v2, v5, v4
	v_fmac_f32_e32 v5, v6, v3
	v_fma_f32 v2, -v2, v5, v4
	v_div_fmas_f32 v2, v2, v3, v5
	v_div_fixup_f32 v1, v2, v1, s2
	s_ashr_i32 s2, s6, 31
	s_waitcnt lgkmcnt(0)
	s_mul_i32 s1, s6, s1
	s_mul_hi_u32 s3, s6, s0
	s_add_i32 s1, s3, s1
	s_mul_i32 s2, s2, s0
	s_add_i32 s1, s1, s2
	s_mul_i32 s0, s6, s0
	s_lshl_b64 s[0:1], s[0:1], 2
	s_add_u32 s2, s8, s0
	s_addc_u32 s3, s9, s1
	s_add_u32 s0, s10, s0
	v_mul_f32_e32 v1, v8, v1
	s_addc_u32 s1, s11, s1
	global_store_dword v0, v1, s[2:3]
	global_store_dword v0, v7, s[0:1]
.LBB241_9:
	s_endpgm
	.section	.rodata,"a",@progbits
	.p2align	6, 0x0
	.amdhsa_kernel _ZN5aiter24topk_softplus_kernel_optI12hip_bfloat166__halfLi128ELb1ELi1EEEvPKT_PKT0_PfPimiif
		.amdhsa_group_segment_fixed_size 0
		.amdhsa_private_segment_fixed_size 0
		.amdhsa_kernarg_size 52
		.amdhsa_user_sgpr_count 6
		.amdhsa_user_sgpr_private_segment_buffer 1
		.amdhsa_user_sgpr_dispatch_ptr 0
		.amdhsa_user_sgpr_queue_ptr 0
		.amdhsa_user_sgpr_kernarg_segment_ptr 1
		.amdhsa_user_sgpr_dispatch_id 0
		.amdhsa_user_sgpr_flat_scratch_init 0
		.amdhsa_user_sgpr_kernarg_preload_length 0
		.amdhsa_user_sgpr_kernarg_preload_offset 0
		.amdhsa_user_sgpr_private_segment_size 0
		.amdhsa_uses_dynamic_stack 0
		.amdhsa_system_sgpr_private_segment_wavefront_offset 0
		.amdhsa_system_sgpr_workgroup_id_x 1
		.amdhsa_system_sgpr_workgroup_id_y 0
		.amdhsa_system_sgpr_workgroup_id_z 0
		.amdhsa_system_sgpr_workgroup_info 0
		.amdhsa_system_vgpr_workitem_id 0
		.amdhsa_next_free_vgpr 20
		.amdhsa_next_free_sgpr 13
		.amdhsa_accum_offset 20
		.amdhsa_reserve_vcc 1
		.amdhsa_reserve_flat_scratch 0
		.amdhsa_float_round_mode_32 0
		.amdhsa_float_round_mode_16_64 0
		.amdhsa_float_denorm_mode_32 3
		.amdhsa_float_denorm_mode_16_64 3
		.amdhsa_dx10_clamp 1
		.amdhsa_ieee_mode 1
		.amdhsa_fp16_overflow 0
		.amdhsa_tg_split 0
		.amdhsa_exception_fp_ieee_invalid_op 0
		.amdhsa_exception_fp_denorm_src 0
		.amdhsa_exception_fp_ieee_div_zero 0
		.amdhsa_exception_fp_ieee_overflow 0
		.amdhsa_exception_fp_ieee_underflow 0
		.amdhsa_exception_fp_ieee_inexact 0
		.amdhsa_exception_int_div_zero 0
	.end_amdhsa_kernel
	.section	.text._ZN5aiter24topk_softplus_kernel_optI12hip_bfloat166__halfLi128ELb1ELi1EEEvPKT_PKT0_PfPimiif,"axG",@progbits,_ZN5aiter24topk_softplus_kernel_optI12hip_bfloat166__halfLi128ELb1ELi1EEEvPKT_PKT0_PfPimiif,comdat
.Lfunc_end241:
	.size	_ZN5aiter24topk_softplus_kernel_optI12hip_bfloat166__halfLi128ELb1ELi1EEEvPKT_PKT0_PfPimiif, .Lfunc_end241-_ZN5aiter24topk_softplus_kernel_optI12hip_bfloat166__halfLi128ELb1ELi1EEEvPKT_PKT0_PfPimiif
                                        ; -- End function
	.section	.AMDGPU.csdata,"",@progbits
; Kernel info:
; codeLenInByte = 800
; NumSgprs: 17
; NumVgprs: 20
; NumAgprs: 0
; TotalNumVgprs: 20
; ScratchSize: 0
; MemoryBound: 0
; FloatMode: 240
; IeeeMode: 1
; LDSByteSize: 0 bytes/workgroup (compile time only)
; SGPRBlocks: 2
; VGPRBlocks: 2
; NumSGPRsForWavesPerEU: 17
; NumVGPRsForWavesPerEU: 20
; AccumOffset: 20
; Occupancy: 8
; WaveLimiterHint : 0
; COMPUTE_PGM_RSRC2:SCRATCH_EN: 0
; COMPUTE_PGM_RSRC2:USER_SGPR: 6
; COMPUTE_PGM_RSRC2:TRAP_HANDLER: 0
; COMPUTE_PGM_RSRC2:TGID_X_EN: 1
; COMPUTE_PGM_RSRC2:TGID_Y_EN: 0
; COMPUTE_PGM_RSRC2:TGID_Z_EN: 0
; COMPUTE_PGM_RSRC2:TIDIG_COMP_CNT: 0
; COMPUTE_PGM_RSRC3_GFX90A:ACCUM_OFFSET: 4
; COMPUTE_PGM_RSRC3_GFX90A:TG_SPLIT: 0
	.section	.text._ZN5aiter24topk_softplus_kernel_optI12hip_bfloat166__halfLi128ELb0ELi1EEEvPKT_PKT0_PfPimiif,"axG",@progbits,_ZN5aiter24topk_softplus_kernel_optI12hip_bfloat166__halfLi128ELb0ELi1EEEvPKT_PKT0_PfPimiif,comdat
	.protected	_ZN5aiter24topk_softplus_kernel_optI12hip_bfloat166__halfLi128ELb0ELi1EEEvPKT_PKT0_PfPimiif ; -- Begin function _ZN5aiter24topk_softplus_kernel_optI12hip_bfloat166__halfLi128ELb0ELi1EEEvPKT_PKT0_PfPimiif
	.globl	_ZN5aiter24topk_softplus_kernel_optI12hip_bfloat166__halfLi128ELb0ELi1EEEvPKT_PKT0_PfPimiif
	.p2align	8
	.type	_ZN5aiter24topk_softplus_kernel_optI12hip_bfloat166__halfLi128ELb0ELi1EEEvPKT_PKT0_PfPimiif,@function
_ZN5aiter24topk_softplus_kernel_optI12hip_bfloat166__halfLi128ELb0ELi1EEEvPKT_PKT0_PfPimiif: ; @_ZN5aiter24topk_softplus_kernel_optI12hip_bfloat166__halfLi128ELb0ELi1EEEvPKT_PKT0_PfPimiif
; %bb.0:
	s_load_dwordx4 s[0:3], s[4:5], 0x0
	s_lshl_b32 s8, s6, 7
	s_ashr_i32 s9, s8, 31
	s_lshl_b64 s[8:9], s[8:9], 1
	v_lshlrev_b32_e32 v1, 1, v0
	s_waitcnt lgkmcnt(0)
	s_add_u32 s8, s0, s8
	s_addc_u32 s9, s1, s9
	global_load_ushort v2, v1, s[8:9]
	s_mov_b32 s7, 0xc2fc0000
	v_mov_b32_e32 v5, 0x42800000
	v_mov_b32_e32 v7, 0x1f800000
	s_cmp_lg_u64 s[2:3], 0
	s_cselect_b64 s[0:1], -1, 0
	s_waitcnt vmcnt(0)
	v_lshlrev_b32_e32 v2, 16, v2
	v_mul_f32_e32 v3, 0xbfb8aa3b, v2
	v_cmp_gt_f32_e32 vcc, s7, v3
	v_cndmask_b32_e32 v3, 0, v5, vcc
	v_fmac_f32_e32 v3, 0xbfb8aa3b, v2
	v_exp_f32_e32 v2, v3
	v_cndmask_b32_e32 v4, 1.0, v7, vcc
	v_mov_b32_e32 v3, s9
	v_fma_f32 v2, v2, v4, 1.0
	v_rcp_f32_e32 v6, v2
	v_add_co_u32_e32 v2, vcc, s8, v1
	v_addc_co_u32_e32 v3, vcc, 0, v3, vcc
	s_and_b64 vcc, exec, s[0:1]
	v_mov_b32_e32 v4, v6
	s_cbranch_vccz .LBB242_2
; %bb.1:
	global_load_ushort v4, v1, s[2:3]
	s_waitcnt vmcnt(0)
	v_cvt_f32_f16_e32 v4, v4
	v_add_f32_e32 v4, v6, v4
.LBB242_2:
	global_load_ushort v2, v[2:3], off offset:128
	s_waitcnt vmcnt(0)
	v_lshlrev_b32_e32 v2, 16, v2
	v_mul_f32_e32 v3, 0xbfb8aa3b, v2
	v_cmp_gt_f32_e32 vcc, s7, v3
	v_cndmask_b32_e32 v3, 0, v5, vcc
	v_fmac_f32_e32 v3, 0xbfb8aa3b, v2
	v_exp_f32_e32 v2, v3
	v_cndmask_b32_e32 v3, 1.0, v7, vcc
	s_andn2_b64 vcc, exec, s[0:1]
	v_fma_f32 v2, v2, v3, 1.0
	v_rcp_f32_e32 v8, v2
	v_mov_b32_e32 v5, v8
	s_cbranch_vccnz .LBB242_4
; %bb.3:
	global_load_ushort v1, v1, s[2:3] offset:128
	s_waitcnt vmcnt(0)
	v_cvt_f32_f16_e32 v1, v1
	v_add_f32_e32 v5, v8, v1
.LBB242_4:
	s_load_dword s2, s[4:5], 0x28
	s_load_dwordx4 s[8:11], s[4:5], 0x10
	v_mov_b32_e32 v7, 0
	s_waitcnt lgkmcnt(0)
	s_cmp_gt_i32 s2, 0
	s_cbranch_scc0 .LBB242_10
; %bb.5:
	v_mbcnt_lo_u32_b32 v7, -1, 0
	v_add_u32_e32 v2, 64, v0
	v_cmp_lt_f32_e32 vcc, v4, v5
	v_mbcnt_hi_u32_b32 v7, -1, v7
	v_bfrev_b32_e32 v11, 0.5
	v_cndmask_b32_e32 v1, v2, v0, vcc
	v_cndmask_b32_e32 v2, v0, v2, vcc
	;; [unrolled: 1-line block ×6, first 2 shown]
	v_mov_b32_e32 v9, 0
	v_mov_b32_e32 v8, 0
	;; [unrolled: 1-line block ×3, first 2 shown]
	v_lshl_or_b32 v11, v7, 2, v11
	v_mov_b32_e32 v12, v0
	s_mov_b32 s3, s2
	v_mov_b32_e32 v7, 0
.LBB242_6:                              ; =>This Inner Loop Header: Depth=1
	v_cmp_eq_u32_e32 vcc, 1, v9
	v_cndmask_b32_e32 v13, v4, v3, vcc
	v_cmp_gt_u32_e64 s[0:1], 2, v9
	v_cndmask_b32_e64 v13, v10, v13, s[0:1]
	;;#ASMSTART
	v_max_f32 v17, v13, v13 quad_perm:[1,0,3,2] row_mask:0xf bank_mask:0xf bound_ctrl:1
	;;#ASMEND
	;;#ASMSTART
	v_max_f32 v18, v17, v17 quad_perm:[2,3,0,1] row_mask:0xf bank_mask:0xf bound_ctrl:1
	;;#ASMEND
	;;#ASMSTART
	v_max_f32 v17, v18, v18 row_half_mirror row_mask:0xf bank_mask:0xf bound_ctrl:1
	;;#ASMEND
	;;#ASMSTART
	v_max_f32 v18, v17, v17 row_mirror row_mask:0xf bank_mask:0xf bound_ctrl:1
	;;#ASMEND
	;;#ASMSTART
	v_max_f32 v17, v18, v18 row_ror:4 row_mask:0xf bank_mask:0xf bound_ctrl:1
	;;#ASMEND
	;;#ASMSTART
	v_max_f32 v18, v17, v17 row_ror:8 row_mask:0xf bank_mask:0xf bound_ctrl:1
	;;#ASMEND
	;;#ASMSTART
	v_max_f32 v17, v18, v18 row_bcast:15 row_mask:0xf bank_mask:0xf bound_ctrl:1
	;;#ASMEND
	;;#ASMSTART
	v_max_f32 v18, v17, v17 row_bcast:31 row_mask:0xf bank_mask:0xf bound_ctrl:1
	;;#ASMEND
	ds_bpermute_b32 v17, v11, v18
	v_cndmask_b32_e32 v14, v2, v1, vcc
	v_cndmask_b32_e32 v15, v6, v5, vcc
	v_cndmask_b32_e64 v16, 0, v14, s[0:1]
	s_waitcnt lgkmcnt(0)
	v_cmp_eq_f32_e32 vcc, v13, v17
	s_ff1_i32_b64 s7, vcc
	s_cmp_lg_u64 vcc, 0
	s_cselect_b32 s7, s7, 0
	v_readlane_b32 s7, v16, s7
	v_cmp_eq_u32_e32 vcc, s7, v14
	s_and_b64 vcc, s[0:1], vcc
	s_and_b32 s12, s7, 63
	v_cndmask_b32_e32 v14, 0, v15, vcc
	v_addc_co_u32_e32 v9, vcc, 0, v9, vcc
	v_readlane_b32 s0, v14, s12
	s_add_i32 s3, s3, -1
	v_mov_b32_e32 v13, s7
	v_mov_b32_e32 v14, s0
	v_cmp_eq_u32_e32 vcc, 0, v12
	s_cmp_eq_u32 s3, 0
	v_add_u32_e32 v12, -1, v12
	v_cndmask_b32_e32 v8, v8, v14, vcc
	v_cndmask_b32_e32 v7, v7, v13, vcc
	s_cbranch_scc0 .LBB242_6
; %bb.7:
	v_cmp_gt_i32_e32 vcc, s2, v0
	s_and_saveexec_b64 s[0:1], vcc
	s_cbranch_execz .LBB242_9
.LBB242_8:
	s_load_dword s2, s[4:5], 0x30
	s_load_dwordx2 s[0:1], s[4:5], 0x20
	s_ashr_i32 s3, s6, 31
	v_lshlrev_b32_e32 v0, 2, v0
	s_waitcnt lgkmcnt(0)
	v_mul_f32_e32 v1, s2, v8
	s_mul_i32 s1, s6, s1
	s_mul_hi_u32 s2, s6, s0
	s_add_i32 s1, s2, s1
	s_mul_i32 s3, s3, s0
	s_add_i32 s1, s1, s3
	s_mul_i32 s0, s6, s0
	s_lshl_b64 s[0:1], s[0:1], 2
	s_add_u32 s2, s8, s0
	s_addc_u32 s3, s9, s1
	s_add_u32 s0, s10, s0
	s_addc_u32 s1, s11, s1
	global_store_dword v0, v1, s[2:3]
	global_store_dword v0, v7, s[0:1]
.LBB242_9:
	s_endpgm
.LBB242_10:
	v_mov_b32_e32 v8, 0
	v_cmp_gt_i32_e32 vcc, s2, v0
	s_and_saveexec_b64 s[0:1], vcc
	s_cbranch_execnz .LBB242_8
	s_branch .LBB242_9
	.section	.rodata,"a",@progbits
	.p2align	6, 0x0
	.amdhsa_kernel _ZN5aiter24topk_softplus_kernel_optI12hip_bfloat166__halfLi128ELb0ELi1EEEvPKT_PKT0_PfPimiif
		.amdhsa_group_segment_fixed_size 0
		.amdhsa_private_segment_fixed_size 0
		.amdhsa_kernarg_size 52
		.amdhsa_user_sgpr_count 6
		.amdhsa_user_sgpr_private_segment_buffer 1
		.amdhsa_user_sgpr_dispatch_ptr 0
		.amdhsa_user_sgpr_queue_ptr 0
		.amdhsa_user_sgpr_kernarg_segment_ptr 1
		.amdhsa_user_sgpr_dispatch_id 0
		.amdhsa_user_sgpr_flat_scratch_init 0
		.amdhsa_user_sgpr_kernarg_preload_length 0
		.amdhsa_user_sgpr_kernarg_preload_offset 0
		.amdhsa_user_sgpr_private_segment_size 0
		.amdhsa_uses_dynamic_stack 0
		.amdhsa_system_sgpr_private_segment_wavefront_offset 0
		.amdhsa_system_sgpr_workgroup_id_x 1
		.amdhsa_system_sgpr_workgroup_id_y 0
		.amdhsa_system_sgpr_workgroup_id_z 0
		.amdhsa_system_sgpr_workgroup_info 0
		.amdhsa_system_vgpr_workitem_id 0
		.amdhsa_next_free_vgpr 19
		.amdhsa_next_free_sgpr 13
		.amdhsa_accum_offset 20
		.amdhsa_reserve_vcc 1
		.amdhsa_reserve_flat_scratch 0
		.amdhsa_float_round_mode_32 0
		.amdhsa_float_round_mode_16_64 0
		.amdhsa_float_denorm_mode_32 3
		.amdhsa_float_denorm_mode_16_64 3
		.amdhsa_dx10_clamp 1
		.amdhsa_ieee_mode 1
		.amdhsa_fp16_overflow 0
		.amdhsa_tg_split 0
		.amdhsa_exception_fp_ieee_invalid_op 0
		.amdhsa_exception_fp_denorm_src 0
		.amdhsa_exception_fp_ieee_div_zero 0
		.amdhsa_exception_fp_ieee_overflow 0
		.amdhsa_exception_fp_ieee_underflow 0
		.amdhsa_exception_fp_ieee_inexact 0
		.amdhsa_exception_int_div_zero 0
	.end_amdhsa_kernel
	.section	.text._ZN5aiter24topk_softplus_kernel_optI12hip_bfloat166__halfLi128ELb0ELi1EEEvPKT_PKT0_PfPimiif,"axG",@progbits,_ZN5aiter24topk_softplus_kernel_optI12hip_bfloat166__halfLi128ELb0ELi1EEEvPKT_PKT0_PfPimiif,comdat
.Lfunc_end242:
	.size	_ZN5aiter24topk_softplus_kernel_optI12hip_bfloat166__halfLi128ELb0ELi1EEEvPKT_PKT0_PfPimiif, .Lfunc_end242-_ZN5aiter24topk_softplus_kernel_optI12hip_bfloat166__halfLi128ELb0ELi1EEEvPKT_PKT0_PfPimiif
                                        ; -- End function
	.section	.AMDGPU.csdata,"",@progbits
; Kernel info:
; codeLenInByte = 716
; NumSgprs: 17
; NumVgprs: 19
; NumAgprs: 0
; TotalNumVgprs: 19
; ScratchSize: 0
; MemoryBound: 0
; FloatMode: 240
; IeeeMode: 1
; LDSByteSize: 0 bytes/workgroup (compile time only)
; SGPRBlocks: 2
; VGPRBlocks: 2
; NumSGPRsForWavesPerEU: 17
; NumVGPRsForWavesPerEU: 19
; AccumOffset: 20
; Occupancy: 8
; WaveLimiterHint : 0
; COMPUTE_PGM_RSRC2:SCRATCH_EN: 0
; COMPUTE_PGM_RSRC2:USER_SGPR: 6
; COMPUTE_PGM_RSRC2:TRAP_HANDLER: 0
; COMPUTE_PGM_RSRC2:TGID_X_EN: 1
; COMPUTE_PGM_RSRC2:TGID_Y_EN: 0
; COMPUTE_PGM_RSRC2:TGID_Z_EN: 0
; COMPUTE_PGM_RSRC2:TIDIG_COMP_CNT: 0
; COMPUTE_PGM_RSRC3_GFX90A:ACCUM_OFFSET: 4
; COMPUTE_PGM_RSRC3_GFX90A:TG_SPLIT: 0
	.section	.text._ZN5aiter24topk_softplus_kernel_optI12hip_bfloat166__halfLi256ELb1ELi1EEEvPKT_PKT0_PfPimiif,"axG",@progbits,_ZN5aiter24topk_softplus_kernel_optI12hip_bfloat166__halfLi256ELb1ELi1EEEvPKT_PKT0_PfPimiif,comdat
	.protected	_ZN5aiter24topk_softplus_kernel_optI12hip_bfloat166__halfLi256ELb1ELi1EEEvPKT_PKT0_PfPimiif ; -- Begin function _ZN5aiter24topk_softplus_kernel_optI12hip_bfloat166__halfLi256ELb1ELi1EEEvPKT_PKT0_PfPimiif
	.globl	_ZN5aiter24topk_softplus_kernel_optI12hip_bfloat166__halfLi256ELb1ELi1EEEvPKT_PKT0_PfPimiif
	.p2align	8
	.type	_ZN5aiter24topk_softplus_kernel_optI12hip_bfloat166__halfLi256ELb1ELi1EEEvPKT_PKT0_PfPimiif,@function
_ZN5aiter24topk_softplus_kernel_optI12hip_bfloat166__halfLi256ELb1ELi1EEEvPKT_PKT0_PfPimiif: ; @_ZN5aiter24topk_softplus_kernel_optI12hip_bfloat166__halfLi256ELb1ELi1EEEvPKT_PKT0_PfPimiif
; %bb.0:
	s_load_dwordx4 s[0:3], s[4:5], 0x0
	s_lshl_b32 s8, s6, 8
	s_ashr_i32 s9, s8, 31
	s_lshl_b64 s[8:9], s[8:9], 1
	v_lshlrev_b32_e32 v1, 1, v0
	s_waitcnt lgkmcnt(0)
	s_add_u32 s10, s0, s8
	s_addc_u32 s11, s1, s9
	global_load_ushort v2, v1, s[10:11]
	s_mov_b32 s0, 0xc2fc0000
	v_mov_b32_e32 v3, 0x42800000
	v_mov_b32_e32 v6, 0x1f800000
	s_cmp_lg_u64 s[2:3], 0
	v_mov_b32_e32 v5, s11
	s_cselect_b64 s[8:9], -1, 0
	s_waitcnt vmcnt(0)
	v_lshlrev_b32_e32 v2, 16, v2
	v_mul_f32_e32 v4, 0xbfb8aa3b, v2
	v_cmp_gt_f32_e32 vcc, s0, v4
	v_cndmask_b32_e32 v4, 0, v3, vcc
	v_fmac_f32_e32 v4, 0xbfb8aa3b, v2
	v_exp_f32_e32 v2, v4
	v_cndmask_b32_e32 v4, 1.0, v6, vcc
	v_fma_f32 v2, v2, v4, 1.0
	v_rcp_f32_e32 v2, v2
	v_add_co_u32_e32 v4, vcc, s10, v1
	v_addc_co_u32_e32 v5, vcc, 0, v5, vcc
	s_and_b64 vcc, exec, s[8:9]
	v_mov_b32_e32 v10, v2
	s_cbranch_vccz .LBB243_2
; %bb.1:
	global_load_ushort v7, v1, s[2:3]
	s_waitcnt vmcnt(0)
	v_cvt_f32_f16_e32 v7, v7
	v_add_f32_e32 v10, v2, v7
.LBB243_2:
	global_load_ushort v7, v[4:5], off offset:128
	s_waitcnt vmcnt(0)
	v_lshlrev_b32_e32 v7, 16, v7
	v_mul_f32_e32 v8, 0xbfb8aa3b, v7
	v_cmp_gt_f32_e32 vcc, s0, v8
	v_cndmask_b32_e32 v3, 0, v3, vcc
	v_fmac_f32_e32 v3, 0xbfb8aa3b, v7
	v_exp_f32_e32 v3, v3
	v_cndmask_b32_e32 v6, 1.0, v6, vcc
	s_andn2_b64 vcc, exec, s[8:9]
	v_fma_f32 v3, v3, v6, 1.0
	v_rcp_f32_e32 v9, v3
	v_cndmask_b32_e64 v3, 0, 1, s[8:9]
	v_cmp_ne_u32_e64 s[0:1], 1, v3
	v_mov_b32_e32 v12, v9
	s_cbranch_vccnz .LBB243_4
; %bb.3:
	global_load_ushort v3, v1, s[2:3] offset:128
	s_waitcnt vmcnt(0)
	v_cvt_f32_f16_e32 v3, v3
	v_add_f32_e32 v12, v9, v3
.LBB243_4:
	global_load_ushort v6, v[4:5], off offset:256
	s_mov_b32 s7, 0xc2fc0000
	v_mov_b32_e32 v3, 0x42800000
	s_waitcnt vmcnt(0)
	v_lshlrev_b32_e32 v6, 16, v6
	v_mul_f32_e32 v7, 0xbfb8aa3b, v6
	v_cmp_gt_f32_e32 vcc, s7, v7
	v_cndmask_b32_e32 v7, 0, v3, vcc
	v_fmac_f32_e32 v7, 0xbfb8aa3b, v6
	v_exp_f32_e32 v6, v7
	v_mov_b32_e32 v7, 0x1f800000
	v_cndmask_b32_e32 v8, 1.0, v7, vcc
	s_and_b64 vcc, exec, s[0:1]
	v_fma_f32 v6, v6, v8, 1.0
	v_rcp_f32_e32 v8, v6
	v_mov_b32_e32 v6, v8
	s_cbranch_vccnz .LBB243_6
; %bb.5:
	global_load_ushort v6, v1, s[2:3] offset:256
	s_waitcnt vmcnt(0)
	v_cvt_f32_f16_e32 v6, v6
	v_add_f32_e32 v6, v8, v6
.LBB243_6:
	global_load_ushort v4, v[4:5], off offset:384
	s_waitcnt vmcnt(0)
	v_lshlrev_b32_e32 v4, 16, v4
	v_mul_f32_e32 v5, 0xbfb8aa3b, v4
	v_cmp_gt_f32_e32 vcc, s7, v5
	v_cndmask_b32_e32 v3, 0, v3, vcc
	v_fmac_f32_e32 v3, 0xbfb8aa3b, v4
	v_exp_f32_e32 v3, v3
	v_cndmask_b32_e32 v4, 1.0, v7, vcc
	s_and_b64 vcc, exec, s[0:1]
	v_fma_f32 v3, v3, v4, 1.0
	v_rcp_f32_e32 v3, v3
	v_mov_b32_e32 v5, v3
	s_cbranch_vccnz .LBB243_8
; %bb.7:
	global_load_ushort v1, v1, s[2:3] offset:384
	s_waitcnt vmcnt(0)
	v_cvt_f32_f16_e32 v1, v1
	v_add_f32_e32 v5, v3, v1
.LBB243_8:
	v_add_u32_e32 v4, 64, v0
	v_cmp_lt_f32_e32 vcc, v10, v12
	v_add_u32_e32 v15, 0x80, v0
	v_add_u32_e32 v7, 0xc0, v0
	v_cndmask_b32_e32 v11, v9, v2, vcc
	v_cndmask_b32_e32 v2, v2, v9, vcc
	v_cndmask_b32_e32 v1, v4, v0, vcc
	v_cndmask_b32_e32 v4, v0, v4, vcc
	v_cndmask_b32_e32 v9, v12, v10, vcc
	v_cndmask_b32_e32 v14, v10, v12, vcc
	v_cmp_lt_f32_e32 vcc, v6, v5
	v_mov_b32_e32 v12, v6
	s_and_saveexec_b64 s[0:1], vcc
	s_xor_b64 s[0:1], exec, s[0:1]
; %bb.9:
	v_mov_b32_e32 v12, v15
	v_mov_b32_e32 v13, v6
	;; [unrolled: 1-line block ×4, first 2 shown]
	v_swap_b32 v8, v3
	v_swap_b32 v15, v7
	v_mov_b32_e32 v12, v5
	v_mov_b32_e32 v5, v13
; %bb.10:
	s_or_b64 exec, exec, s[0:1]
	v_cmp_lt_f32_e32 vcc, v14, v6
	v_cndmask_b32_e32 v13, v8, v2, vcc
	v_cndmask_b32_e32 v2, v2, v8, vcc
	;; [unrolled: 1-line block ×6, first 2 shown]
	v_cmp_lt_f32_e32 vcc, v9, v5
	v_mov_b32_e32 v14, v9
	s_and_saveexec_b64 s[0:1], vcc
; %bb.11:
	v_mov_b32_e32 v14, v1
	v_mov_b32_e32 v15, v9
	;; [unrolled: 1-line block ×4, first 2 shown]
	v_swap_b32 v11, v3
	v_swap_b32 v1, v7
	v_mov_b32_e32 v14, v5
	v_mov_b32_e32 v5, v15
; %bb.12:
	s_or_b64 exec, exec, s[0:1]
	s_load_dword s2, s[4:5], 0x28
	s_load_dwordx4 s[8:11], s[4:5], 0x10
	v_mov_b32_e32 v15, 0
	s_waitcnt lgkmcnt(0)
	s_cmp_lt_i32 s2, 1
	s_cbranch_scc1 .LBB243_18
; %bb.13:
	v_cmp_lt_f32_e32 vcc, v9, v12
	v_cndmask_b32_e32 v8, v10, v1, vcc
	v_cndmask_b32_e32 v1, v1, v10, vcc
	;; [unrolled: 1-line block ×6, first 2 shown]
	v_mbcnt_lo_u32_b32 v13, -1, 0
	v_mbcnt_hi_u32_b32 v13, -1, v13
	v_bfrev_b32_e32 v14, 0.5
	v_mov_b32_e32 v15, 0
	v_mov_b32_e32 v16, 0
	;; [unrolled: 1-line block ×3, first 2 shown]
	v_lshl_or_b32 v18, v13, 2, v14
	v_mov_b32_e32 v19, v0
	s_mov_b32 s3, s2
	v_mov_b32_e32 v13, 0
	v_mov_b32_e32 v14, 0
.LBB243_14:                             ; =>This Inner Loop Header: Depth=1
	v_cmp_eq_u32_e32 vcc, 1, v16
	v_cndmask_b32_e32 v20, v6, v9, vcc
	v_cmp_eq_u32_e64 s[0:1], 2, v16
	v_cndmask_b32_e64 v20, v20, v10, s[0:1]
	v_cndmask_b32_e32 v21, v4, v1, vcc
	v_cndmask_b32_e32 v22, v2, v11, vcc
	v_cmp_eq_u32_e32 vcc, 3, v16
	v_cndmask_b32_e32 v20, v20, v5, vcc
	v_cndmask_b32_e64 v21, v21, v8, s[0:1]
	v_cndmask_b32_e64 v22, v22, v12, s[0:1]
	v_cmp_gt_u32_e64 s[0:1], 4, v16
	v_cndmask_b32_e64 v20, v17, v20, s[0:1]
	;;#ASMSTART
	v_max_f32 v24, v20, v20 quad_perm:[1,0,3,2] row_mask:0xf bank_mask:0xf bound_ctrl:1
	;;#ASMEND
	;;#ASMSTART
	v_max_f32 v25, v24, v24 quad_perm:[2,3,0,1] row_mask:0xf bank_mask:0xf bound_ctrl:1
	;;#ASMEND
	;;#ASMSTART
	v_max_f32 v24, v25, v25 row_half_mirror row_mask:0xf bank_mask:0xf bound_ctrl:1
	;;#ASMEND
	;;#ASMSTART
	v_max_f32 v25, v24, v24 row_mirror row_mask:0xf bank_mask:0xf bound_ctrl:1
	;;#ASMEND
	;;#ASMSTART
	v_max_f32 v24, v25, v25 row_ror:4 row_mask:0xf bank_mask:0xf bound_ctrl:1
	;;#ASMEND
	;;#ASMSTART
	v_max_f32 v25, v24, v24 row_ror:8 row_mask:0xf bank_mask:0xf bound_ctrl:1
	;;#ASMEND
	;;#ASMSTART
	v_max_f32 v24, v25, v25 row_bcast:15 row_mask:0xf bank_mask:0xf bound_ctrl:1
	;;#ASMEND
	;;#ASMSTART
	v_max_f32 v25, v24, v24 row_bcast:31 row_mask:0xf bank_mask:0xf bound_ctrl:1
	;;#ASMEND
	ds_bpermute_b32 v24, v18, v25
	v_cndmask_b32_e32 v21, v21, v7, vcc
	v_cndmask_b32_e32 v22, v22, v3, vcc
	v_cndmask_b32_e64 v23, 0, v21, s[0:1]
	s_waitcnt lgkmcnt(0)
	v_cmp_eq_f32_e32 vcc, v20, v24
	s_ff1_i32_b64 s7, vcc
	s_cmp_lg_u64 vcc, 0
	s_cselect_b32 s7, s7, 0
	v_readlane_b32 s7, v23, s7
	v_cmp_eq_u32_e32 vcc, s7, v21
	s_and_b64 vcc, s[0:1], vcc
	s_and_b32 s12, s7, 63
	v_cndmask_b32_e32 v21, 0, v22, vcc
	v_addc_co_u32_e32 v16, vcc, 0, v16, vcc
	v_readlane_b32 s0, v21, s12
	s_add_i32 s3, s3, -1
	v_mov_b32_e32 v20, s7
	v_mov_b32_e32 v21, s0
	v_cmp_eq_u32_e32 vcc, 0, v19
	s_cmp_eq_u32 s3, 0
	v_add_f32_e32 v15, s0, v15
	v_add_u32_e32 v19, -1, v19
	v_cndmask_b32_e32 v14, v14, v21, vcc
	v_cndmask_b32_e32 v13, v13, v20, vcc
	s_cbranch_scc0 .LBB243_14
; %bb.15:
	v_cmp_gt_i32_e32 vcc, s2, v0
	s_and_saveexec_b64 s[0:1], vcc
	s_cbranch_execz .LBB243_17
.LBB243_16:
	s_load_dword s2, s[4:5], 0x30
	v_max_f32_e32 v1, v15, v15
	v_max_f32_e32 v1, 0x1e3ce508, v1
	v_lshlrev_b32_e32 v0, 2, v0
	s_waitcnt lgkmcnt(0)
	v_div_scale_f32 v2, s[0:1], v1, v1, s2
	v_rcp_f32_e32 v3, v2
	v_div_scale_f32 v4, vcc, s2, v1, s2
	s_load_dwordx2 s[0:1], s[4:5], 0x20
	v_fma_f32 v5, -v2, v3, 1.0
	v_fmac_f32_e32 v3, v5, v3
	v_mul_f32_e32 v5, v4, v3
	v_fma_f32 v6, -v2, v5, v4
	v_fmac_f32_e32 v5, v6, v3
	v_fma_f32 v2, -v2, v5, v4
	v_div_fmas_f32 v2, v2, v3, v5
	v_div_fixup_f32 v1, v2, v1, s2
	s_ashr_i32 s2, s6, 31
	s_waitcnt lgkmcnt(0)
	s_mul_i32 s1, s6, s1
	s_mul_hi_u32 s3, s6, s0
	s_add_i32 s1, s3, s1
	s_mul_i32 s2, s2, s0
	s_add_i32 s1, s1, s2
	s_mul_i32 s0, s6, s0
	s_lshl_b64 s[0:1], s[0:1], 2
	s_add_u32 s2, s8, s0
	s_addc_u32 s3, s9, s1
	s_add_u32 s0, s10, s0
	v_mul_f32_e32 v1, v14, v1
	s_addc_u32 s1, s11, s1
	global_store_dword v0, v1, s[2:3]
	global_store_dword v0, v13, s[0:1]
.LBB243_17:
	s_endpgm
.LBB243_18:
	v_mov_b32_e32 v13, 0
	v_mov_b32_e32 v14, 0
	v_cmp_gt_i32_e32 vcc, s2, v0
	s_and_saveexec_b64 s[0:1], vcc
	s_cbranch_execnz .LBB243_16
	s_branch .LBB243_17
	.section	.rodata,"a",@progbits
	.p2align	6, 0x0
	.amdhsa_kernel _ZN5aiter24topk_softplus_kernel_optI12hip_bfloat166__halfLi256ELb1ELi1EEEvPKT_PKT0_PfPimiif
		.amdhsa_group_segment_fixed_size 0
		.amdhsa_private_segment_fixed_size 0
		.amdhsa_kernarg_size 52
		.amdhsa_user_sgpr_count 6
		.amdhsa_user_sgpr_private_segment_buffer 1
		.amdhsa_user_sgpr_dispatch_ptr 0
		.amdhsa_user_sgpr_queue_ptr 0
		.amdhsa_user_sgpr_kernarg_segment_ptr 1
		.amdhsa_user_sgpr_dispatch_id 0
		.amdhsa_user_sgpr_flat_scratch_init 0
		.amdhsa_user_sgpr_kernarg_preload_length 0
		.amdhsa_user_sgpr_kernarg_preload_offset 0
		.amdhsa_user_sgpr_private_segment_size 0
		.amdhsa_uses_dynamic_stack 0
		.amdhsa_system_sgpr_private_segment_wavefront_offset 0
		.amdhsa_system_sgpr_workgroup_id_x 1
		.amdhsa_system_sgpr_workgroup_id_y 0
		.amdhsa_system_sgpr_workgroup_id_z 0
		.amdhsa_system_sgpr_workgroup_info 0
		.amdhsa_system_vgpr_workitem_id 0
		.amdhsa_next_free_vgpr 26
		.amdhsa_next_free_sgpr 13
		.amdhsa_accum_offset 28
		.amdhsa_reserve_vcc 1
		.amdhsa_reserve_flat_scratch 0
		.amdhsa_float_round_mode_32 0
		.amdhsa_float_round_mode_16_64 0
		.amdhsa_float_denorm_mode_32 3
		.amdhsa_float_denorm_mode_16_64 3
		.amdhsa_dx10_clamp 1
		.amdhsa_ieee_mode 1
		.amdhsa_fp16_overflow 0
		.amdhsa_tg_split 0
		.amdhsa_exception_fp_ieee_invalid_op 0
		.amdhsa_exception_fp_denorm_src 0
		.amdhsa_exception_fp_ieee_div_zero 0
		.amdhsa_exception_fp_ieee_overflow 0
		.amdhsa_exception_fp_ieee_underflow 0
		.amdhsa_exception_fp_ieee_inexact 0
		.amdhsa_exception_int_div_zero 0
	.end_amdhsa_kernel
	.section	.text._ZN5aiter24topk_softplus_kernel_optI12hip_bfloat166__halfLi256ELb1ELi1EEEvPKT_PKT0_PfPimiif,"axG",@progbits,_ZN5aiter24topk_softplus_kernel_optI12hip_bfloat166__halfLi256ELb1ELi1EEEvPKT_PKT0_PfPimiif,comdat
.Lfunc_end243:
	.size	_ZN5aiter24topk_softplus_kernel_optI12hip_bfloat166__halfLi256ELb1ELi1EEEvPKT_PKT0_PfPimiif, .Lfunc_end243-_ZN5aiter24topk_softplus_kernel_optI12hip_bfloat166__halfLi256ELb1ELi1EEEvPKT_PKT0_PfPimiif
                                        ; -- End function
	.section	.AMDGPU.csdata,"",@progbits
; Kernel info:
; codeLenInByte = 1260
; NumSgprs: 17
; NumVgprs: 26
; NumAgprs: 0
; TotalNumVgprs: 26
; ScratchSize: 0
; MemoryBound: 0
; FloatMode: 240
; IeeeMode: 1
; LDSByteSize: 0 bytes/workgroup (compile time only)
; SGPRBlocks: 2
; VGPRBlocks: 3
; NumSGPRsForWavesPerEU: 17
; NumVGPRsForWavesPerEU: 26
; AccumOffset: 28
; Occupancy: 8
; WaveLimiterHint : 0
; COMPUTE_PGM_RSRC2:SCRATCH_EN: 0
; COMPUTE_PGM_RSRC2:USER_SGPR: 6
; COMPUTE_PGM_RSRC2:TRAP_HANDLER: 0
; COMPUTE_PGM_RSRC2:TGID_X_EN: 1
; COMPUTE_PGM_RSRC2:TGID_Y_EN: 0
; COMPUTE_PGM_RSRC2:TGID_Z_EN: 0
; COMPUTE_PGM_RSRC2:TIDIG_COMP_CNT: 0
; COMPUTE_PGM_RSRC3_GFX90A:ACCUM_OFFSET: 6
; COMPUTE_PGM_RSRC3_GFX90A:TG_SPLIT: 0
	.section	.text._ZN5aiter24topk_softplus_kernel_optI12hip_bfloat166__halfLi256ELb0ELi1EEEvPKT_PKT0_PfPimiif,"axG",@progbits,_ZN5aiter24topk_softplus_kernel_optI12hip_bfloat166__halfLi256ELb0ELi1EEEvPKT_PKT0_PfPimiif,comdat
	.protected	_ZN5aiter24topk_softplus_kernel_optI12hip_bfloat166__halfLi256ELb0ELi1EEEvPKT_PKT0_PfPimiif ; -- Begin function _ZN5aiter24topk_softplus_kernel_optI12hip_bfloat166__halfLi256ELb0ELi1EEEvPKT_PKT0_PfPimiif
	.globl	_ZN5aiter24topk_softplus_kernel_optI12hip_bfloat166__halfLi256ELb0ELi1EEEvPKT_PKT0_PfPimiif
	.p2align	8
	.type	_ZN5aiter24topk_softplus_kernel_optI12hip_bfloat166__halfLi256ELb0ELi1EEEvPKT_PKT0_PfPimiif,@function
_ZN5aiter24topk_softplus_kernel_optI12hip_bfloat166__halfLi256ELb0ELi1EEEvPKT_PKT0_PfPimiif: ; @_ZN5aiter24topk_softplus_kernel_optI12hip_bfloat166__halfLi256ELb0ELi1EEEvPKT_PKT0_PfPimiif
; %bb.0:
	s_load_dwordx4 s[0:3], s[4:5], 0x0
	s_lshl_b32 s8, s6, 8
	s_ashr_i32 s9, s8, 31
	s_lshl_b64 s[8:9], s[8:9], 1
	v_lshlrev_b32_e32 v1, 1, v0
	s_waitcnt lgkmcnt(0)
	s_add_u32 s10, s0, s8
	s_addc_u32 s11, s1, s9
	global_load_ushort v2, v1, s[10:11]
	s_mov_b32 s0, 0xc2fc0000
	v_mov_b32_e32 v3, 0x42800000
	v_mov_b32_e32 v6, 0x1f800000
	s_cmp_lg_u64 s[2:3], 0
	v_mov_b32_e32 v5, s11
	s_cselect_b64 s[8:9], -1, 0
	s_waitcnt vmcnt(0)
	v_lshlrev_b32_e32 v2, 16, v2
	v_mul_f32_e32 v4, 0xbfb8aa3b, v2
	v_cmp_gt_f32_e32 vcc, s0, v4
	v_cndmask_b32_e32 v4, 0, v3, vcc
	v_fmac_f32_e32 v4, 0xbfb8aa3b, v2
	v_exp_f32_e32 v2, v4
	v_cndmask_b32_e32 v4, 1.0, v6, vcc
	v_fma_f32 v2, v2, v4, 1.0
	v_rcp_f32_e32 v2, v2
	v_add_co_u32_e32 v4, vcc, s10, v1
	v_addc_co_u32_e32 v5, vcc, 0, v5, vcc
	s_and_b64 vcc, exec, s[8:9]
	v_mov_b32_e32 v10, v2
	s_cbranch_vccz .LBB244_2
; %bb.1:
	global_load_ushort v7, v1, s[2:3]
	s_waitcnt vmcnt(0)
	v_cvt_f32_f16_e32 v7, v7
	v_add_f32_e32 v10, v2, v7
.LBB244_2:
	global_load_ushort v7, v[4:5], off offset:128
	s_waitcnt vmcnt(0)
	v_lshlrev_b32_e32 v7, 16, v7
	v_mul_f32_e32 v8, 0xbfb8aa3b, v7
	v_cmp_gt_f32_e32 vcc, s0, v8
	v_cndmask_b32_e32 v3, 0, v3, vcc
	v_fmac_f32_e32 v3, 0xbfb8aa3b, v7
	v_exp_f32_e32 v3, v3
	v_cndmask_b32_e32 v6, 1.0, v6, vcc
	s_andn2_b64 vcc, exec, s[8:9]
	v_fma_f32 v3, v3, v6, 1.0
	v_rcp_f32_e32 v9, v3
	v_cndmask_b32_e64 v3, 0, 1, s[8:9]
	v_cmp_ne_u32_e64 s[0:1], 1, v3
	v_mov_b32_e32 v12, v9
	s_cbranch_vccnz .LBB244_4
; %bb.3:
	global_load_ushort v3, v1, s[2:3] offset:128
	s_waitcnt vmcnt(0)
	v_cvt_f32_f16_e32 v3, v3
	v_add_f32_e32 v12, v9, v3
.LBB244_4:
	global_load_ushort v6, v[4:5], off offset:256
	s_mov_b32 s7, 0xc2fc0000
	v_mov_b32_e32 v3, 0x42800000
	s_waitcnt vmcnt(0)
	v_lshlrev_b32_e32 v6, 16, v6
	v_mul_f32_e32 v7, 0xbfb8aa3b, v6
	v_cmp_gt_f32_e32 vcc, s7, v7
	v_cndmask_b32_e32 v7, 0, v3, vcc
	v_fmac_f32_e32 v7, 0xbfb8aa3b, v6
	v_exp_f32_e32 v6, v7
	v_mov_b32_e32 v7, 0x1f800000
	v_cndmask_b32_e32 v8, 1.0, v7, vcc
	s_and_b64 vcc, exec, s[0:1]
	v_fma_f32 v6, v6, v8, 1.0
	v_rcp_f32_e32 v8, v6
	v_mov_b32_e32 v6, v8
	s_cbranch_vccnz .LBB244_6
; %bb.5:
	global_load_ushort v6, v1, s[2:3] offset:256
	s_waitcnt vmcnt(0)
	v_cvt_f32_f16_e32 v6, v6
	v_add_f32_e32 v6, v8, v6
.LBB244_6:
	global_load_ushort v4, v[4:5], off offset:384
	s_waitcnt vmcnt(0)
	v_lshlrev_b32_e32 v4, 16, v4
	v_mul_f32_e32 v5, 0xbfb8aa3b, v4
	v_cmp_gt_f32_e32 vcc, s7, v5
	v_cndmask_b32_e32 v3, 0, v3, vcc
	v_fmac_f32_e32 v3, 0xbfb8aa3b, v4
	v_exp_f32_e32 v3, v3
	v_cndmask_b32_e32 v4, 1.0, v7, vcc
	s_and_b64 vcc, exec, s[0:1]
	v_fma_f32 v3, v3, v4, 1.0
	v_rcp_f32_e32 v3, v3
	v_mov_b32_e32 v5, v3
	s_cbranch_vccnz .LBB244_8
; %bb.7:
	global_load_ushort v1, v1, s[2:3] offset:384
	s_waitcnt vmcnt(0)
	v_cvt_f32_f16_e32 v1, v1
	v_add_f32_e32 v5, v3, v1
.LBB244_8:
	v_add_u32_e32 v4, 64, v0
	v_cmp_lt_f32_e32 vcc, v10, v12
	v_add_u32_e32 v15, 0x80, v0
	v_add_u32_e32 v7, 0xc0, v0
	v_cndmask_b32_e32 v11, v9, v2, vcc
	v_cndmask_b32_e32 v2, v2, v9, vcc
	v_cndmask_b32_e32 v1, v4, v0, vcc
	v_cndmask_b32_e32 v4, v0, v4, vcc
	v_cndmask_b32_e32 v9, v12, v10, vcc
	v_cndmask_b32_e32 v14, v10, v12, vcc
	v_cmp_lt_f32_e32 vcc, v6, v5
	v_mov_b32_e32 v12, v6
	s_and_saveexec_b64 s[0:1], vcc
	s_xor_b64 s[0:1], exec, s[0:1]
; %bb.9:
	v_mov_b32_e32 v12, v15
	v_mov_b32_e32 v13, v6
	v_mov_b32_e32 v10, v8
	v_mov_b32_e32 v6, v5
	v_swap_b32 v8, v3
	v_swap_b32 v15, v7
	v_mov_b32_e32 v12, v5
	v_mov_b32_e32 v5, v13
; %bb.10:
	s_or_b64 exec, exec, s[0:1]
	v_cmp_lt_f32_e32 vcc, v14, v6
	v_cndmask_b32_e32 v13, v8, v2, vcc
	v_cndmask_b32_e32 v2, v2, v8, vcc
	v_cndmask_b32_e32 v10, v15, v4, vcc
	v_cndmask_b32_e32 v4, v4, v15, vcc
	v_cndmask_b32_e32 v12, v12, v14, vcc
	v_cndmask_b32_e32 v6, v14, v6, vcc
	v_cmp_lt_f32_e32 vcc, v9, v5
	v_mov_b32_e32 v14, v9
	s_and_saveexec_b64 s[0:1], vcc
; %bb.11:
	v_mov_b32_e32 v14, v1
	v_mov_b32_e32 v15, v9
	;; [unrolled: 1-line block ×4, first 2 shown]
	v_swap_b32 v11, v3
	v_swap_b32 v1, v7
	v_mov_b32_e32 v14, v5
	v_mov_b32_e32 v5, v15
; %bb.12:
	s_or_b64 exec, exec, s[0:1]
	s_load_dword s2, s[4:5], 0x28
	s_load_dwordx4 s[8:11], s[4:5], 0x10
	s_waitcnt lgkmcnt(0)
	s_cmp_lt_i32 s2, 1
	s_cbranch_scc1 .LBB244_18
; %bb.13:
	v_cmp_lt_f32_e32 vcc, v9, v12
	v_cndmask_b32_e32 v8, v10, v1, vcc
	v_cndmask_b32_e32 v1, v1, v10, vcc
	;; [unrolled: 1-line block ×6, first 2 shown]
	v_mbcnt_lo_u32_b32 v13, -1, 0
	v_mbcnt_hi_u32_b32 v13, -1, v13
	v_bfrev_b32_e32 v17, 0.5
	v_mov_b32_e32 v15, 0
	v_mov_b32_e32 v14, 0
	;; [unrolled: 1-line block ×3, first 2 shown]
	v_lshl_or_b32 v17, v13, 2, v17
	v_mov_b32_e32 v18, v0
	s_mov_b32 s3, s2
	v_mov_b32_e32 v13, 0
.LBB244_14:                             ; =>This Inner Loop Header: Depth=1
	v_cmp_eq_u32_e32 vcc, 1, v15
	v_cndmask_b32_e32 v19, v6, v9, vcc
	v_cmp_eq_u32_e64 s[0:1], 2, v15
	v_cndmask_b32_e64 v19, v19, v10, s[0:1]
	v_cndmask_b32_e32 v20, v4, v1, vcc
	v_cndmask_b32_e32 v21, v2, v11, vcc
	v_cmp_eq_u32_e32 vcc, 3, v15
	v_cndmask_b32_e32 v19, v19, v5, vcc
	v_cndmask_b32_e64 v20, v20, v8, s[0:1]
	v_cndmask_b32_e64 v21, v21, v12, s[0:1]
	v_cmp_gt_u32_e64 s[0:1], 4, v15
	v_cndmask_b32_e64 v19, v16, v19, s[0:1]
	;;#ASMSTART
	v_max_f32 v23, v19, v19 quad_perm:[1,0,3,2] row_mask:0xf bank_mask:0xf bound_ctrl:1
	;;#ASMEND
	;;#ASMSTART
	v_max_f32 v24, v23, v23 quad_perm:[2,3,0,1] row_mask:0xf bank_mask:0xf bound_ctrl:1
	;;#ASMEND
	;;#ASMSTART
	v_max_f32 v23, v24, v24 row_half_mirror row_mask:0xf bank_mask:0xf bound_ctrl:1
	;;#ASMEND
	;;#ASMSTART
	v_max_f32 v24, v23, v23 row_mirror row_mask:0xf bank_mask:0xf bound_ctrl:1
	;;#ASMEND
	;;#ASMSTART
	v_max_f32 v23, v24, v24 row_ror:4 row_mask:0xf bank_mask:0xf bound_ctrl:1
	;;#ASMEND
	;;#ASMSTART
	v_max_f32 v24, v23, v23 row_ror:8 row_mask:0xf bank_mask:0xf bound_ctrl:1
	;;#ASMEND
	;;#ASMSTART
	v_max_f32 v23, v24, v24 row_bcast:15 row_mask:0xf bank_mask:0xf bound_ctrl:1
	;;#ASMEND
	;;#ASMSTART
	v_max_f32 v24, v23, v23 row_bcast:31 row_mask:0xf bank_mask:0xf bound_ctrl:1
	;;#ASMEND
	ds_bpermute_b32 v23, v17, v24
	v_cndmask_b32_e32 v20, v20, v7, vcc
	v_cndmask_b32_e32 v21, v21, v3, vcc
	v_cndmask_b32_e64 v22, 0, v20, s[0:1]
	s_waitcnt lgkmcnt(0)
	v_cmp_eq_f32_e32 vcc, v19, v23
	s_ff1_i32_b64 s7, vcc
	s_cmp_lg_u64 vcc, 0
	s_cselect_b32 s7, s7, 0
	v_readlane_b32 s7, v22, s7
	v_cmp_eq_u32_e32 vcc, s7, v20
	s_and_b64 vcc, s[0:1], vcc
	s_and_b32 s12, s7, 63
	v_cndmask_b32_e32 v20, 0, v21, vcc
	v_addc_co_u32_e32 v15, vcc, 0, v15, vcc
	v_readlane_b32 s0, v20, s12
	s_add_i32 s3, s3, -1
	v_mov_b32_e32 v19, s7
	v_mov_b32_e32 v20, s0
	v_cmp_eq_u32_e32 vcc, 0, v18
	s_cmp_eq_u32 s3, 0
	v_add_u32_e32 v18, -1, v18
	v_cndmask_b32_e32 v14, v14, v20, vcc
	v_cndmask_b32_e32 v13, v13, v19, vcc
	s_cbranch_scc0 .LBB244_14
; %bb.15:
	v_cmp_gt_i32_e32 vcc, s2, v0
	s_and_saveexec_b64 s[0:1], vcc
	s_cbranch_execz .LBB244_17
.LBB244_16:
	s_load_dword s2, s[4:5], 0x30
	s_load_dwordx2 s[0:1], s[4:5], 0x20
	s_ashr_i32 s3, s6, 31
	v_lshlrev_b32_e32 v0, 2, v0
	s_waitcnt lgkmcnt(0)
	v_mul_f32_e32 v1, s2, v14
	s_mul_i32 s1, s6, s1
	s_mul_hi_u32 s2, s6, s0
	s_add_i32 s1, s2, s1
	s_mul_i32 s3, s3, s0
	s_add_i32 s1, s1, s3
	s_mul_i32 s0, s6, s0
	s_lshl_b64 s[0:1], s[0:1], 2
	s_add_u32 s2, s8, s0
	s_addc_u32 s3, s9, s1
	s_add_u32 s0, s10, s0
	s_addc_u32 s1, s11, s1
	global_store_dword v0, v1, s[2:3]
	global_store_dword v0, v13, s[0:1]
.LBB244_17:
	s_endpgm
.LBB244_18:
	v_mov_b32_e32 v13, 0
	v_mov_b32_e32 v14, 0
	v_cmp_gt_i32_e32 vcc, s2, v0
	s_and_saveexec_b64 s[0:1], vcc
	s_cbranch_execnz .LBB244_16
	s_branch .LBB244_17
	.section	.rodata,"a",@progbits
	.p2align	6, 0x0
	.amdhsa_kernel _ZN5aiter24topk_softplus_kernel_optI12hip_bfloat166__halfLi256ELb0ELi1EEEvPKT_PKT0_PfPimiif
		.amdhsa_group_segment_fixed_size 0
		.amdhsa_private_segment_fixed_size 0
		.amdhsa_kernarg_size 52
		.amdhsa_user_sgpr_count 6
		.amdhsa_user_sgpr_private_segment_buffer 1
		.amdhsa_user_sgpr_dispatch_ptr 0
		.amdhsa_user_sgpr_queue_ptr 0
		.amdhsa_user_sgpr_kernarg_segment_ptr 1
		.amdhsa_user_sgpr_dispatch_id 0
		.amdhsa_user_sgpr_flat_scratch_init 0
		.amdhsa_user_sgpr_kernarg_preload_length 0
		.amdhsa_user_sgpr_kernarg_preload_offset 0
		.amdhsa_user_sgpr_private_segment_size 0
		.amdhsa_uses_dynamic_stack 0
		.amdhsa_system_sgpr_private_segment_wavefront_offset 0
		.amdhsa_system_sgpr_workgroup_id_x 1
		.amdhsa_system_sgpr_workgroup_id_y 0
		.amdhsa_system_sgpr_workgroup_id_z 0
		.amdhsa_system_sgpr_workgroup_info 0
		.amdhsa_system_vgpr_workitem_id 0
		.amdhsa_next_free_vgpr 25
		.amdhsa_next_free_sgpr 13
		.amdhsa_accum_offset 28
		.amdhsa_reserve_vcc 1
		.amdhsa_reserve_flat_scratch 0
		.amdhsa_float_round_mode_32 0
		.amdhsa_float_round_mode_16_64 0
		.amdhsa_float_denorm_mode_32 3
		.amdhsa_float_denorm_mode_16_64 3
		.amdhsa_dx10_clamp 1
		.amdhsa_ieee_mode 1
		.amdhsa_fp16_overflow 0
		.amdhsa_tg_split 0
		.amdhsa_exception_fp_ieee_invalid_op 0
		.amdhsa_exception_fp_denorm_src 0
		.amdhsa_exception_fp_ieee_div_zero 0
		.amdhsa_exception_fp_ieee_overflow 0
		.amdhsa_exception_fp_ieee_underflow 0
		.amdhsa_exception_fp_ieee_inexact 0
		.amdhsa_exception_int_div_zero 0
	.end_amdhsa_kernel
	.section	.text._ZN5aiter24topk_softplus_kernel_optI12hip_bfloat166__halfLi256ELb0ELi1EEEvPKT_PKT0_PfPimiif,"axG",@progbits,_ZN5aiter24topk_softplus_kernel_optI12hip_bfloat166__halfLi256ELb0ELi1EEEvPKT_PKT0_PfPimiif,comdat
.Lfunc_end244:
	.size	_ZN5aiter24topk_softplus_kernel_optI12hip_bfloat166__halfLi256ELb0ELi1EEEvPKT_PKT0_PfPimiif, .Lfunc_end244-_ZN5aiter24topk_softplus_kernel_optI12hip_bfloat166__halfLi256ELb0ELi1EEEvPKT_PKT0_PfPimiif
                                        ; -- End function
	.section	.AMDGPU.csdata,"",@progbits
; Kernel info:
; codeLenInByte = 1160
; NumSgprs: 17
; NumVgprs: 25
; NumAgprs: 0
; TotalNumVgprs: 25
; ScratchSize: 0
; MemoryBound: 0
; FloatMode: 240
; IeeeMode: 1
; LDSByteSize: 0 bytes/workgroup (compile time only)
; SGPRBlocks: 2
; VGPRBlocks: 3
; NumSGPRsForWavesPerEU: 17
; NumVGPRsForWavesPerEU: 25
; AccumOffset: 28
; Occupancy: 8
; WaveLimiterHint : 0
; COMPUTE_PGM_RSRC2:SCRATCH_EN: 0
; COMPUTE_PGM_RSRC2:USER_SGPR: 6
; COMPUTE_PGM_RSRC2:TRAP_HANDLER: 0
; COMPUTE_PGM_RSRC2:TGID_X_EN: 1
; COMPUTE_PGM_RSRC2:TGID_Y_EN: 0
; COMPUTE_PGM_RSRC2:TGID_Z_EN: 0
; COMPUTE_PGM_RSRC2:TIDIG_COMP_CNT: 0
; COMPUTE_PGM_RSRC3_GFX90A:ACCUM_OFFSET: 6
; COMPUTE_PGM_RSRC3_GFX90A:TG_SPLIT: 0
	.section	.text._ZN5aiter24topk_softplus_kernel_optI12hip_bfloat166__halfLi384ELb1ELi1EEEvPKT_PKT0_PfPimiif,"axG",@progbits,_ZN5aiter24topk_softplus_kernel_optI12hip_bfloat166__halfLi384ELb1ELi1EEEvPKT_PKT0_PfPimiif,comdat
	.protected	_ZN5aiter24topk_softplus_kernel_optI12hip_bfloat166__halfLi384ELb1ELi1EEEvPKT_PKT0_PfPimiif ; -- Begin function _ZN5aiter24topk_softplus_kernel_optI12hip_bfloat166__halfLi384ELb1ELi1EEEvPKT_PKT0_PfPimiif
	.globl	_ZN5aiter24topk_softplus_kernel_optI12hip_bfloat166__halfLi384ELb1ELi1EEEvPKT_PKT0_PfPimiif
	.p2align	8
	.type	_ZN5aiter24topk_softplus_kernel_optI12hip_bfloat166__halfLi384ELb1ELi1EEEvPKT_PKT0_PfPimiif,@function
_ZN5aiter24topk_softplus_kernel_optI12hip_bfloat166__halfLi384ELb1ELi1EEEvPKT_PKT0_PfPimiif: ; @_ZN5aiter24topk_softplus_kernel_optI12hip_bfloat166__halfLi384ELb1ELi1EEEvPKT_PKT0_PfPimiif
; %bb.0:
	s_load_dwordx4 s[0:3], s[4:5], 0x0
	s_mul_i32 s8, s6, 0x180
	s_ashr_i32 s9, s8, 31
	s_lshl_b64 s[8:9], s[8:9], 1
	v_lshlrev_b32_e32 v1, 1, v0
	s_waitcnt lgkmcnt(0)
	s_add_u32 s10, s0, s8
	s_addc_u32 s11, s1, s9
	global_load_ushort v2, v1, s[10:11]
	s_mov_b32 s0, 0xc2fc0000
	v_mov_b32_e32 v6, 0x42800000
	v_mov_b32_e32 v7, 0x1f800000
	s_cmp_lg_u64 s[2:3], 0
	s_cselect_b64 s[8:9], -1, 0
	s_waitcnt vmcnt(0)
	v_lshlrev_b32_e32 v2, 16, v2
	v_mul_f32_e32 v3, 0xbfb8aa3b, v2
	v_cmp_gt_f32_e32 vcc, s0, v3
	v_cndmask_b32_e32 v3, 0, v6, vcc
	v_fmac_f32_e32 v3, 0xbfb8aa3b, v2
	v_exp_f32_e32 v2, v3
	v_cndmask_b32_e32 v4, 1.0, v7, vcc
	v_mov_b32_e32 v3, s11
	v_fma_f32 v2, v2, v4, 1.0
	v_rcp_f32_e32 v4, v2
	v_add_co_u32_e32 v2, vcc, s10, v1
	v_addc_co_u32_e32 v3, vcc, 0, v3, vcc
	s_and_b64 vcc, exec, s[8:9]
	v_mov_b32_e32 v5, v4
	s_cbranch_vccz .LBB245_2
; %bb.1:
	global_load_ushort v5, v1, s[2:3]
	s_waitcnt vmcnt(0)
	v_cvt_f32_f16_e32 v5, v5
	v_add_f32_e32 v5, v4, v5
.LBB245_2:
	global_load_ushort v8, v[2:3], off offset:128
	s_waitcnt vmcnt(0)
	v_lshlrev_b32_e32 v8, 16, v8
	v_mul_f32_e32 v9, 0xbfb8aa3b, v8
	v_cmp_gt_f32_e32 vcc, s0, v9
	v_cndmask_b32_e32 v6, 0, v6, vcc
	v_fmac_f32_e32 v6, 0xbfb8aa3b, v8
	v_exp_f32_e32 v6, v6
	v_cndmask_b32_e32 v7, 1.0, v7, vcc
	s_andn2_b64 vcc, exec, s[8:9]
	v_fma_f32 v6, v6, v7, 1.0
	v_rcp_f32_e32 v6, v6
	v_cndmask_b32_e64 v7, 0, 1, s[8:9]
	v_cmp_ne_u32_e64 s[0:1], 1, v7
	v_mov_b32_e32 v7, v6
	s_cbranch_vccnz .LBB245_4
; %bb.3:
	global_load_ushort v7, v1, s[2:3] offset:128
	s_waitcnt vmcnt(0)
	v_cvt_f32_f16_e32 v7, v7
	v_add_f32_e32 v7, v6, v7
.LBB245_4:
	global_load_ushort v8, v[2:3], off offset:256
	s_mov_b32 s7, 0xc2fc0000
	v_mov_b32_e32 v10, 0x42800000
	v_mov_b32_e32 v11, 0x1f800000
	s_waitcnt vmcnt(0)
	v_lshlrev_b32_e32 v8, 16, v8
	v_mul_f32_e32 v9, 0xbfb8aa3b, v8
	v_cmp_gt_f32_e32 vcc, s7, v9
	v_cndmask_b32_e32 v9, 0, v10, vcc
	v_fmac_f32_e32 v9, 0xbfb8aa3b, v8
	v_exp_f32_e32 v8, v9
	v_cndmask_b32_e32 v9, 1.0, v11, vcc
	s_and_b64 vcc, exec, s[0:1]
	v_fma_f32 v8, v8, v9, 1.0
	v_rcp_f32_e32 v8, v8
	v_mov_b32_e32 v9, v8
	s_cbranch_vccnz .LBB245_6
; %bb.5:
	global_load_ushort v9, v1, s[2:3] offset:256
	s_waitcnt vmcnt(0)
	v_cvt_f32_f16_e32 v9, v9
	v_add_f32_e32 v9, v8, v9
.LBB245_6:
	global_load_ushort v12, v[2:3], off offset:384
	s_waitcnt vmcnt(0)
	v_lshlrev_b32_e32 v12, 16, v12
	v_mul_f32_e32 v13, 0xbfb8aa3b, v12
	v_cmp_gt_f32_e32 vcc, s7, v13
	v_cndmask_b32_e32 v10, 0, v10, vcc
	v_fmac_f32_e32 v10, 0xbfb8aa3b, v12
	v_exp_f32_e32 v10, v10
	v_cndmask_b32_e32 v11, 1.0, v11, vcc
	s_and_b64 vcc, exec, s[0:1]
	v_fma_f32 v10, v10, v11, 1.0
	v_rcp_f32_e32 v10, v10
	v_mov_b32_e32 v11, v10
	s_cbranch_vccnz .LBB245_8
; %bb.7:
	global_load_ushort v11, v1, s[2:3] offset:384
	s_waitcnt vmcnt(0)
	v_cvt_f32_f16_e32 v11, v11
	v_add_f32_e32 v11, v10, v11
.LBB245_8:
	global_load_ushort v12, v[2:3], off offset:512
	v_mov_b32_e32 v14, 0x42800000
	v_mov_b32_e32 v15, 0x1f800000
	s_waitcnt vmcnt(0)
	v_lshlrev_b32_e32 v12, 16, v12
	v_mul_f32_e32 v13, 0xbfb8aa3b, v12
	v_cmp_gt_f32_e32 vcc, s7, v13
	v_cndmask_b32_e32 v13, 0, v14, vcc
	v_fmac_f32_e32 v13, 0xbfb8aa3b, v12
	v_exp_f32_e32 v12, v13
	v_cndmask_b32_e32 v13, 1.0, v15, vcc
	s_and_b64 vcc, exec, s[0:1]
	v_fma_f32 v12, v12, v13, 1.0
	v_rcp_f32_e32 v12, v12
	v_mov_b32_e32 v13, v12
	s_cbranch_vccnz .LBB245_10
; %bb.9:
	global_load_ushort v13, v1, s[2:3] offset:512
	s_waitcnt vmcnt(0)
	v_cvt_f32_f16_e32 v13, v13
	v_add_f32_e32 v13, v12, v13
.LBB245_10:
	global_load_ushort v2, v[2:3], off offset:640
	s_waitcnt vmcnt(0)
	v_lshlrev_b32_e32 v2, 16, v2
	v_mul_f32_e32 v3, 0xbfb8aa3b, v2
	v_cmp_gt_f32_e32 vcc, s7, v3
	v_cndmask_b32_e32 v3, 0, v14, vcc
	v_fmac_f32_e32 v3, 0xbfb8aa3b, v2
	v_exp_f32_e32 v2, v3
	v_cndmask_b32_e32 v3, 1.0, v15, vcc
	s_and_b64 vcc, exec, s[0:1]
	v_fma_f32 v2, v2, v3, 1.0
	v_rcp_f32_e32 v2, v2
	v_mov_b32_e32 v3, v2
	s_cbranch_vccnz .LBB245_12
; %bb.11:
	global_load_ushort v1, v1, s[2:3] offset:640
	s_waitcnt vmcnt(0)
	v_cvt_f32_f16_e32 v1, v1
	v_add_f32_e32 v3, v2, v1
.LBB245_12:
	v_add_u32_e32 v1, 64, v0
	v_cmp_lt_f32_e32 vcc, v5, v7
	v_add_u32_e32 v14, 0x80, v0
	v_add_u32_e32 v15, 0xc0, v0
	v_cndmask_b32_e32 v18, v6, v4, vcc
	v_cndmask_b32_e32 v4, v4, v6, vcc
	v_cndmask_b32_e32 v6, v1, v0, vcc
	v_cndmask_b32_e32 v1, v0, v1, vcc
	v_cndmask_b32_e32 v19, v7, v5, vcc
	v_cndmask_b32_e32 v5, v5, v7, vcc
	v_cmp_lt_f32_e32 vcc, v9, v11
	v_add_u32_e32 v16, 0x100, v0
	v_add_u32_e32 v17, 0x140, v0
	v_cndmask_b32_e32 v7, v10, v8, vcc
	v_cndmask_b32_e32 v8, v8, v10, vcc
	v_cndmask_b32_e32 v10, v15, v14, vcc
	v_cndmask_b32_e32 v14, v14, v15, vcc
	v_cndmask_b32_e32 v15, v11, v9, vcc
	v_cndmask_b32_e32 v9, v9, v11, vcc
	v_cmp_lt_f32_e32 vcc, v13, v3
	v_cndmask_b32_e32 v11, v2, v12, vcc
	v_cndmask_b32_e32 v2, v12, v2, vcc
	v_cndmask_b32_e32 v12, v17, v16, vcc
	v_cndmask_b32_e32 v16, v16, v17, vcc
	v_cndmask_b32_e32 v17, v3, v13, vcc
	v_cndmask_b32_e32 v3, v13, v3, vcc
	v_cmp_lt_f32_e32 vcc, v5, v9
	;; [unrolled: 7-line block ×7, first 2 shown]
	v_cndmask_b32_e32 v12, v21, v23, vcc
	v_cmp_lt_f32_e64 s[0:1], v26, v13
	v_cndmask_b32_e32 v5, v22, v9, vcc
	v_cndmask_b32_e32 v8, v9, v22, vcc
	;; [unrolled: 1-line block ×3, first 2 shown]
	v_cndmask_b32_e64 v18, v1, v24, s[0:1]
	v_cndmask_b32_e64 v14, v3, v25, s[0:1]
	;; [unrolled: 1-line block ×3, first 2 shown]
	v_cmp_lt_f32_e64 s[2:3], v16, v12
	v_cndmask_b32_e32 v10, v20, v11, vcc
	v_cndmask_b32_e32 v9, v23, v21, vcc
	v_cndmask_b32_e64 v1, v24, v1, s[0:1]
	v_cndmask_b32_e64 v3, v25, v3, s[0:1]
	;; [unrolled: 1-line block ×3, first 2 shown]
	s_and_saveexec_b64 s[0:1], s[2:3]
	s_xor_b64 s[0:1], exec, s[0:1]
; %bb.13:
	v_mov_b32_e32 v13, v19
	v_mov_b32_e32 v20, v15
	;; [unrolled: 1-line block ×3, first 2 shown]
	v_swap_b32 v16, v12
	v_swap_b32 v19, v8
	;; [unrolled: 1-line block ×3, first 2 shown]
; %bb.14:
	s_or_b64 exec, exec, s[0:1]
	s_load_dword s7, s[4:5], 0x28
	s_load_dwordx4 s[16:19], s[4:5], 0x10
	v_mov_b32_e32 v21, 0
	s_waitcnt lgkmcnt(0)
	s_cmp_lt_i32 s7, 1
	s_cbranch_scc1 .LBB245_20
; %bb.15:
	v_cmp_lt_f32_e32 vcc, v17, v16
	v_cndmask_b32_e32 v13, v15, v14, vcc
	v_cndmask_b32_e32 v14, v14, v15, vcc
	;; [unrolled: 1-line block ×6, first 2 shown]
	v_mbcnt_lo_u32_b32 v19, -1, 0
	v_mbcnt_hi_u32_b32 v19, -1, v19
	v_bfrev_b32_e32 v20, 0.5
	v_mov_b32_e32 v21, 0
	v_mov_b32_e32 v22, 0
	;; [unrolled: 1-line block ×3, first 2 shown]
	v_lshl_or_b32 v24, v19, 2, v20
	v_mov_b32_e32 v25, v0
	s_mov_b32 s20, s7
	v_mov_b32_e32 v19, 0
	v_mov_b32_e32 v20, 0
.LBB245_16:                             ; =>This Inner Loop Header: Depth=1
	v_cmp_eq_u32_e32 vcc, 1, v22
	v_cndmask_b32_e32 v26, v6, v11, vcc
	v_cmp_eq_u32_e64 s[0:1], 2, v22
	v_cndmask_b32_e64 v26, v26, v16, s[0:1]
	v_cmp_eq_u32_e64 s[2:3], 3, v22
	v_cndmask_b32_e64 v26, v26, v15, s[2:3]
	;; [unrolled: 2-line block ×4, first 2 shown]
	v_cmp_gt_u32_e64 s[12:13], 6, v22
	v_cndmask_b32_e64 v26, v23, v26, s[12:13]
	;;#ASMSTART
	v_max_f32 v27, v26, v26 quad_perm:[1,0,3,2] row_mask:0xf bank_mask:0xf bound_ctrl:1
	;;#ASMEND
	;;#ASMSTART
	v_max_f32 v28, v27, v27 quad_perm:[2,3,0,1] row_mask:0xf bank_mask:0xf bound_ctrl:1
	;;#ASMEND
	;;#ASMSTART
	v_max_f32 v27, v28, v28 row_half_mirror row_mask:0xf bank_mask:0xf bound_ctrl:1
	;;#ASMEND
	;;#ASMSTART
	v_max_f32 v28, v27, v27 row_mirror row_mask:0xf bank_mask:0xf bound_ctrl:1
	;;#ASMEND
	;;#ASMSTART
	v_max_f32 v27, v28, v28 row_ror:4 row_mask:0xf bank_mask:0xf bound_ctrl:1
	;;#ASMEND
	;;#ASMSTART
	v_max_f32 v28, v27, v27 row_ror:8 row_mask:0xf bank_mask:0xf bound_ctrl:1
	;;#ASMEND
	;;#ASMSTART
	v_max_f32 v27, v28, v28 row_bcast:15 row_mask:0xf bank_mask:0xf bound_ctrl:1
	;;#ASMEND
	;;#ASMSTART
	v_max_f32 v28, v27, v27 row_bcast:31 row_mask:0xf bank_mask:0xf bound_ctrl:1
	;;#ASMEND
	ds_bpermute_b32 v27, v24, v28
	s_waitcnt lgkmcnt(0)
	v_cmp_eq_f32_e64 s[14:15], v26, v27
	v_cndmask_b32_e32 v26, v4, v3, vcc
	v_cndmask_b32_e64 v26, v26, v14, s[0:1]
	v_cndmask_b32_e64 v26, v26, v13, s[2:3]
	;; [unrolled: 1-line block ×4, first 2 shown]
	s_ff1_i32_b64 s21, s[14:15]
	s_cmp_lg_u64 s[14:15], 0
	s_cselect_b32 s14, s21, 0
	v_cndmask_b32_e64 v27, 0, v26, s[12:13]
	v_readlane_b32 s21, v27, s14
	v_cmp_eq_u32_e64 s[14:15], s21, v26
	v_cndmask_b32_e32 v26, v2, v1, vcc
	v_cndmask_b32_e64 v26, v26, v18, s[0:1]
	v_cndmask_b32_e64 v26, v26, v17, s[2:3]
	;; [unrolled: 1-line block ×4, first 2 shown]
	s_and_b64 vcc, s[12:13], s[14:15]
	s_and_b32 s0, s21, 63
	v_cndmask_b32_e32 v26, 0, v26, vcc
	v_readlane_b32 s2, v26, s0
	v_mov_b32_e32 v26, s2
	v_cmp_eq_u32_e64 s[0:1], 0, v25
	v_cndmask_b32_e64 v20, v20, v26, s[0:1]
	v_mov_b32_e32 v26, s21
	s_add_i32 s20, s20, -1
	v_cndmask_b32_e64 v19, v19, v26, s[0:1]
	v_addc_co_u32_e32 v22, vcc, 0, v22, vcc
	s_cmp_eq_u32 s20, 0
	v_add_f32_e32 v21, s2, v21
	v_add_u32_e32 v25, -1, v25
	s_cbranch_scc0 .LBB245_16
; %bb.17:
	v_cmp_gt_i32_e32 vcc, s7, v0
	s_and_saveexec_b64 s[0:1], vcc
	s_cbranch_execz .LBB245_19
.LBB245_18:
	s_load_dword s2, s[4:5], 0x30
	v_max_f32_e32 v1, v21, v21
	v_max_f32_e32 v1, 0x1e3ce508, v1
	v_lshlrev_b32_e32 v0, 2, v0
	s_waitcnt lgkmcnt(0)
	v_div_scale_f32 v2, s[0:1], v1, v1, s2
	v_rcp_f32_e32 v3, v2
	v_div_scale_f32 v4, vcc, s2, v1, s2
	s_load_dwordx2 s[0:1], s[4:5], 0x20
	v_fma_f32 v5, -v2, v3, 1.0
	v_fmac_f32_e32 v3, v5, v3
	v_mul_f32_e32 v5, v4, v3
	v_fma_f32 v6, -v2, v5, v4
	v_fmac_f32_e32 v5, v6, v3
	v_fma_f32 v2, -v2, v5, v4
	v_div_fmas_f32 v2, v2, v3, v5
	v_div_fixup_f32 v1, v2, v1, s2
	s_ashr_i32 s2, s6, 31
	s_waitcnt lgkmcnt(0)
	s_mul_i32 s1, s6, s1
	s_mul_hi_u32 s3, s6, s0
	s_add_i32 s1, s3, s1
	s_mul_i32 s2, s2, s0
	s_add_i32 s1, s1, s2
	s_mul_i32 s0, s6, s0
	s_lshl_b64 s[0:1], s[0:1], 2
	s_add_u32 s2, s16, s0
	s_addc_u32 s3, s17, s1
	s_add_u32 s0, s18, s0
	v_mul_f32_e32 v1, v20, v1
	s_addc_u32 s1, s19, s1
	global_store_dword v0, v1, s[2:3]
	global_store_dword v0, v19, s[0:1]
.LBB245_19:
	s_endpgm
.LBB245_20:
	v_mov_b32_e32 v19, 0
	v_mov_b32_e32 v20, 0
	v_cmp_gt_i32_e32 vcc, s7, v0
	s_and_saveexec_b64 s[0:1], vcc
	s_cbranch_execnz .LBB245_18
	s_branch .LBB245_19
	.section	.rodata,"a",@progbits
	.p2align	6, 0x0
	.amdhsa_kernel _ZN5aiter24topk_softplus_kernel_optI12hip_bfloat166__halfLi384ELb1ELi1EEEvPKT_PKT0_PfPimiif
		.amdhsa_group_segment_fixed_size 0
		.amdhsa_private_segment_fixed_size 0
		.amdhsa_kernarg_size 52
		.amdhsa_user_sgpr_count 6
		.amdhsa_user_sgpr_private_segment_buffer 1
		.amdhsa_user_sgpr_dispatch_ptr 0
		.amdhsa_user_sgpr_queue_ptr 0
		.amdhsa_user_sgpr_kernarg_segment_ptr 1
		.amdhsa_user_sgpr_dispatch_id 0
		.amdhsa_user_sgpr_flat_scratch_init 0
		.amdhsa_user_sgpr_kernarg_preload_length 0
		.amdhsa_user_sgpr_kernarg_preload_offset 0
		.amdhsa_user_sgpr_private_segment_size 0
		.amdhsa_uses_dynamic_stack 0
		.amdhsa_system_sgpr_private_segment_wavefront_offset 0
		.amdhsa_system_sgpr_workgroup_id_x 1
		.amdhsa_system_sgpr_workgroup_id_y 0
		.amdhsa_system_sgpr_workgroup_id_z 0
		.amdhsa_system_sgpr_workgroup_info 0
		.amdhsa_system_vgpr_workitem_id 0
		.amdhsa_next_free_vgpr 29
		.amdhsa_next_free_sgpr 22
		.amdhsa_accum_offset 32
		.amdhsa_reserve_vcc 1
		.amdhsa_reserve_flat_scratch 0
		.amdhsa_float_round_mode_32 0
		.amdhsa_float_round_mode_16_64 0
		.amdhsa_float_denorm_mode_32 3
		.amdhsa_float_denorm_mode_16_64 3
		.amdhsa_dx10_clamp 1
		.amdhsa_ieee_mode 1
		.amdhsa_fp16_overflow 0
		.amdhsa_tg_split 0
		.amdhsa_exception_fp_ieee_invalid_op 0
		.amdhsa_exception_fp_denorm_src 0
		.amdhsa_exception_fp_ieee_div_zero 0
		.amdhsa_exception_fp_ieee_overflow 0
		.amdhsa_exception_fp_ieee_underflow 0
		.amdhsa_exception_fp_ieee_inexact 0
		.amdhsa_exception_int_div_zero 0
	.end_amdhsa_kernel
	.section	.text._ZN5aiter24topk_softplus_kernel_optI12hip_bfloat166__halfLi384ELb1ELi1EEEvPKT_PKT0_PfPimiif,"axG",@progbits,_ZN5aiter24topk_softplus_kernel_optI12hip_bfloat166__halfLi384ELb1ELi1EEEvPKT_PKT0_PfPimiif,comdat
.Lfunc_end245:
	.size	_ZN5aiter24topk_softplus_kernel_optI12hip_bfloat166__halfLi384ELb1ELi1EEEvPKT_PKT0_PfPimiif, .Lfunc_end245-_ZN5aiter24topk_softplus_kernel_optI12hip_bfloat166__halfLi384ELb1ELi1EEEvPKT_PKT0_PfPimiif
                                        ; -- End function
	.section	.AMDGPU.csdata,"",@progbits
; Kernel info:
; codeLenInByte = 1776
; NumSgprs: 26
; NumVgprs: 29
; NumAgprs: 0
; TotalNumVgprs: 29
; ScratchSize: 0
; MemoryBound: 0
; FloatMode: 240
; IeeeMode: 1
; LDSByteSize: 0 bytes/workgroup (compile time only)
; SGPRBlocks: 3
; VGPRBlocks: 3
; NumSGPRsForWavesPerEU: 26
; NumVGPRsForWavesPerEU: 29
; AccumOffset: 32
; Occupancy: 8
; WaveLimiterHint : 0
; COMPUTE_PGM_RSRC2:SCRATCH_EN: 0
; COMPUTE_PGM_RSRC2:USER_SGPR: 6
; COMPUTE_PGM_RSRC2:TRAP_HANDLER: 0
; COMPUTE_PGM_RSRC2:TGID_X_EN: 1
; COMPUTE_PGM_RSRC2:TGID_Y_EN: 0
; COMPUTE_PGM_RSRC2:TGID_Z_EN: 0
; COMPUTE_PGM_RSRC2:TIDIG_COMP_CNT: 0
; COMPUTE_PGM_RSRC3_GFX90A:ACCUM_OFFSET: 7
; COMPUTE_PGM_RSRC3_GFX90A:TG_SPLIT: 0
	.section	.text._ZN5aiter24topk_softplus_kernel_optI12hip_bfloat166__halfLi384ELb0ELi1EEEvPKT_PKT0_PfPimiif,"axG",@progbits,_ZN5aiter24topk_softplus_kernel_optI12hip_bfloat166__halfLi384ELb0ELi1EEEvPKT_PKT0_PfPimiif,comdat
	.protected	_ZN5aiter24topk_softplus_kernel_optI12hip_bfloat166__halfLi384ELb0ELi1EEEvPKT_PKT0_PfPimiif ; -- Begin function _ZN5aiter24topk_softplus_kernel_optI12hip_bfloat166__halfLi384ELb0ELi1EEEvPKT_PKT0_PfPimiif
	.globl	_ZN5aiter24topk_softplus_kernel_optI12hip_bfloat166__halfLi384ELb0ELi1EEEvPKT_PKT0_PfPimiif
	.p2align	8
	.type	_ZN5aiter24topk_softplus_kernel_optI12hip_bfloat166__halfLi384ELb0ELi1EEEvPKT_PKT0_PfPimiif,@function
_ZN5aiter24topk_softplus_kernel_optI12hip_bfloat166__halfLi384ELb0ELi1EEEvPKT_PKT0_PfPimiif: ; @_ZN5aiter24topk_softplus_kernel_optI12hip_bfloat166__halfLi384ELb0ELi1EEEvPKT_PKT0_PfPimiif
; %bb.0:
	s_load_dwordx4 s[0:3], s[4:5], 0x0
	s_mul_i32 s8, s6, 0x180
	s_ashr_i32 s9, s8, 31
	s_lshl_b64 s[8:9], s[8:9], 1
	v_lshlrev_b32_e32 v1, 1, v0
	s_waitcnt lgkmcnt(0)
	s_add_u32 s10, s0, s8
	s_addc_u32 s11, s1, s9
	global_load_ushort v2, v1, s[10:11]
	s_mov_b32 s0, 0xc2fc0000
	v_mov_b32_e32 v6, 0x42800000
	v_mov_b32_e32 v7, 0x1f800000
	s_cmp_lg_u64 s[2:3], 0
	s_cselect_b64 s[8:9], -1, 0
	s_waitcnt vmcnt(0)
	v_lshlrev_b32_e32 v2, 16, v2
	v_mul_f32_e32 v3, 0xbfb8aa3b, v2
	v_cmp_gt_f32_e32 vcc, s0, v3
	v_cndmask_b32_e32 v3, 0, v6, vcc
	v_fmac_f32_e32 v3, 0xbfb8aa3b, v2
	v_exp_f32_e32 v2, v3
	v_cndmask_b32_e32 v4, 1.0, v7, vcc
	v_mov_b32_e32 v3, s11
	v_fma_f32 v2, v2, v4, 1.0
	v_rcp_f32_e32 v4, v2
	v_add_co_u32_e32 v2, vcc, s10, v1
	v_addc_co_u32_e32 v3, vcc, 0, v3, vcc
	s_and_b64 vcc, exec, s[8:9]
	v_mov_b32_e32 v5, v4
	s_cbranch_vccz .LBB246_2
; %bb.1:
	global_load_ushort v5, v1, s[2:3]
	s_waitcnt vmcnt(0)
	v_cvt_f32_f16_e32 v5, v5
	v_add_f32_e32 v5, v4, v5
.LBB246_2:
	global_load_ushort v8, v[2:3], off offset:128
	s_waitcnt vmcnt(0)
	v_lshlrev_b32_e32 v8, 16, v8
	v_mul_f32_e32 v9, 0xbfb8aa3b, v8
	v_cmp_gt_f32_e32 vcc, s0, v9
	v_cndmask_b32_e32 v6, 0, v6, vcc
	v_fmac_f32_e32 v6, 0xbfb8aa3b, v8
	v_exp_f32_e32 v6, v6
	v_cndmask_b32_e32 v7, 1.0, v7, vcc
	s_andn2_b64 vcc, exec, s[8:9]
	v_fma_f32 v6, v6, v7, 1.0
	v_rcp_f32_e32 v6, v6
	v_cndmask_b32_e64 v7, 0, 1, s[8:9]
	v_cmp_ne_u32_e64 s[0:1], 1, v7
	v_mov_b32_e32 v7, v6
	s_cbranch_vccnz .LBB246_4
; %bb.3:
	global_load_ushort v7, v1, s[2:3] offset:128
	s_waitcnt vmcnt(0)
	v_cvt_f32_f16_e32 v7, v7
	v_add_f32_e32 v7, v6, v7
.LBB246_4:
	global_load_ushort v8, v[2:3], off offset:256
	s_mov_b32 s7, 0xc2fc0000
	v_mov_b32_e32 v10, 0x42800000
	v_mov_b32_e32 v11, 0x1f800000
	s_waitcnt vmcnt(0)
	v_lshlrev_b32_e32 v8, 16, v8
	v_mul_f32_e32 v9, 0xbfb8aa3b, v8
	v_cmp_gt_f32_e32 vcc, s7, v9
	v_cndmask_b32_e32 v9, 0, v10, vcc
	v_fmac_f32_e32 v9, 0xbfb8aa3b, v8
	v_exp_f32_e32 v8, v9
	v_cndmask_b32_e32 v9, 1.0, v11, vcc
	s_and_b64 vcc, exec, s[0:1]
	v_fma_f32 v8, v8, v9, 1.0
	v_rcp_f32_e32 v8, v8
	v_mov_b32_e32 v9, v8
	s_cbranch_vccnz .LBB246_6
; %bb.5:
	global_load_ushort v9, v1, s[2:3] offset:256
	s_waitcnt vmcnt(0)
	v_cvt_f32_f16_e32 v9, v9
	v_add_f32_e32 v9, v8, v9
.LBB246_6:
	global_load_ushort v12, v[2:3], off offset:384
	s_waitcnt vmcnt(0)
	v_lshlrev_b32_e32 v12, 16, v12
	v_mul_f32_e32 v13, 0xbfb8aa3b, v12
	v_cmp_gt_f32_e32 vcc, s7, v13
	v_cndmask_b32_e32 v10, 0, v10, vcc
	v_fmac_f32_e32 v10, 0xbfb8aa3b, v12
	v_exp_f32_e32 v10, v10
	v_cndmask_b32_e32 v11, 1.0, v11, vcc
	s_and_b64 vcc, exec, s[0:1]
	v_fma_f32 v10, v10, v11, 1.0
	v_rcp_f32_e32 v10, v10
	v_mov_b32_e32 v11, v10
	s_cbranch_vccnz .LBB246_8
; %bb.7:
	global_load_ushort v11, v1, s[2:3] offset:384
	s_waitcnt vmcnt(0)
	v_cvt_f32_f16_e32 v11, v11
	v_add_f32_e32 v11, v10, v11
.LBB246_8:
	global_load_ushort v12, v[2:3], off offset:512
	v_mov_b32_e32 v14, 0x42800000
	v_mov_b32_e32 v15, 0x1f800000
	s_waitcnt vmcnt(0)
	v_lshlrev_b32_e32 v12, 16, v12
	v_mul_f32_e32 v13, 0xbfb8aa3b, v12
	v_cmp_gt_f32_e32 vcc, s7, v13
	v_cndmask_b32_e32 v13, 0, v14, vcc
	v_fmac_f32_e32 v13, 0xbfb8aa3b, v12
	v_exp_f32_e32 v12, v13
	v_cndmask_b32_e32 v13, 1.0, v15, vcc
	s_and_b64 vcc, exec, s[0:1]
	v_fma_f32 v12, v12, v13, 1.0
	v_rcp_f32_e32 v12, v12
	v_mov_b32_e32 v13, v12
	s_cbranch_vccnz .LBB246_10
; %bb.9:
	global_load_ushort v13, v1, s[2:3] offset:512
	s_waitcnt vmcnt(0)
	v_cvt_f32_f16_e32 v13, v13
	v_add_f32_e32 v13, v12, v13
.LBB246_10:
	global_load_ushort v2, v[2:3], off offset:640
	s_waitcnt vmcnt(0)
	v_lshlrev_b32_e32 v2, 16, v2
	v_mul_f32_e32 v3, 0xbfb8aa3b, v2
	v_cmp_gt_f32_e32 vcc, s7, v3
	v_cndmask_b32_e32 v3, 0, v14, vcc
	v_fmac_f32_e32 v3, 0xbfb8aa3b, v2
	v_exp_f32_e32 v2, v3
	v_cndmask_b32_e32 v3, 1.0, v15, vcc
	s_and_b64 vcc, exec, s[0:1]
	v_fma_f32 v2, v2, v3, 1.0
	v_rcp_f32_e32 v2, v2
	v_mov_b32_e32 v3, v2
	s_cbranch_vccnz .LBB246_12
; %bb.11:
	global_load_ushort v1, v1, s[2:3] offset:640
	s_waitcnt vmcnt(0)
	v_cvt_f32_f16_e32 v1, v1
	v_add_f32_e32 v3, v2, v1
.LBB246_12:
	v_add_u32_e32 v1, 64, v0
	v_cmp_lt_f32_e32 vcc, v5, v7
	v_add_u32_e32 v14, 0x80, v0
	v_add_u32_e32 v15, 0xc0, v0
	v_cndmask_b32_e32 v18, v6, v4, vcc
	v_cndmask_b32_e32 v4, v4, v6, vcc
	;; [unrolled: 1-line block ×6, first 2 shown]
	v_cmp_lt_f32_e32 vcc, v9, v11
	v_add_u32_e32 v16, 0x100, v0
	v_add_u32_e32 v17, 0x140, v0
	v_cndmask_b32_e32 v7, v10, v8, vcc
	v_cndmask_b32_e32 v8, v8, v10, vcc
	v_cndmask_b32_e32 v10, v15, v14, vcc
	v_cndmask_b32_e32 v14, v14, v15, vcc
	v_cndmask_b32_e32 v15, v11, v9, vcc
	v_cndmask_b32_e32 v9, v9, v11, vcc
	v_cmp_lt_f32_e32 vcc, v13, v3
	v_cndmask_b32_e32 v11, v2, v12, vcc
	v_cndmask_b32_e32 v2, v12, v2, vcc
	v_cndmask_b32_e32 v12, v17, v16, vcc
	v_cndmask_b32_e32 v16, v16, v17, vcc
	v_cndmask_b32_e32 v17, v3, v13, vcc
	v_cndmask_b32_e32 v3, v13, v3, vcc
	v_cmp_lt_f32_e32 vcc, v5, v9
	;; [unrolled: 7-line block ×7, first 2 shown]
	v_cndmask_b32_e32 v12, v21, v23, vcc
	v_cmp_lt_f32_e64 s[0:1], v26, v13
	v_cndmask_b32_e32 v5, v22, v9, vcc
	v_cndmask_b32_e32 v8, v9, v22, vcc
	v_cndmask_b32_e32 v7, v11, v20, vcc
	v_cndmask_b32_e64 v18, v1, v24, s[0:1]
	v_cndmask_b32_e64 v14, v3, v25, s[0:1]
	;; [unrolled: 1-line block ×3, first 2 shown]
	v_cmp_lt_f32_e64 s[2:3], v16, v12
	v_cndmask_b32_e32 v10, v20, v11, vcc
	v_cndmask_b32_e32 v9, v23, v21, vcc
	v_cndmask_b32_e64 v1, v24, v1, s[0:1]
	v_cndmask_b32_e64 v3, v25, v3, s[0:1]
	;; [unrolled: 1-line block ×3, first 2 shown]
	s_and_saveexec_b64 s[0:1], s[2:3]
	s_xor_b64 s[0:1], exec, s[0:1]
; %bb.13:
	v_mov_b32_e32 v13, v19
	v_mov_b32_e32 v20, v15
	;; [unrolled: 1-line block ×3, first 2 shown]
	v_swap_b32 v16, v12
	v_swap_b32 v19, v8
	;; [unrolled: 1-line block ×3, first 2 shown]
; %bb.14:
	s_or_b64 exec, exec, s[0:1]
	s_load_dword s7, s[4:5], 0x28
	s_load_dwordx4 s[16:19], s[4:5], 0x10
	s_waitcnt lgkmcnt(0)
	s_cmp_lt_i32 s7, 1
	s_cbranch_scc1 .LBB246_20
; %bb.15:
	v_cmp_lt_f32_e32 vcc, v17, v16
	v_cndmask_b32_e32 v13, v15, v14, vcc
	v_cndmask_b32_e32 v14, v14, v15, vcc
	;; [unrolled: 1-line block ×6, first 2 shown]
	v_mbcnt_lo_u32_b32 v19, -1, 0
	v_mbcnt_hi_u32_b32 v19, -1, v19
	v_bfrev_b32_e32 v23, 0.5
	v_mov_b32_e32 v21, 0
	v_mov_b32_e32 v20, 0
	;; [unrolled: 1-line block ×3, first 2 shown]
	v_lshl_or_b32 v23, v19, 2, v23
	v_mov_b32_e32 v24, v0
	s_mov_b32 s20, s7
	v_mov_b32_e32 v19, 0
.LBB246_16:                             ; =>This Inner Loop Header: Depth=1
	v_cmp_eq_u32_e32 vcc, 1, v21
	v_cndmask_b32_e32 v25, v6, v11, vcc
	v_cmp_eq_u32_e64 s[0:1], 2, v21
	v_cndmask_b32_e64 v25, v25, v16, s[0:1]
	v_cmp_eq_u32_e64 s[2:3], 3, v21
	v_cndmask_b32_e64 v25, v25, v15, s[2:3]
	;; [unrolled: 2-line block ×4, first 2 shown]
	v_cmp_gt_u32_e64 s[12:13], 6, v21
	v_cndmask_b32_e64 v25, v22, v25, s[12:13]
	;;#ASMSTART
	v_max_f32 v26, v25, v25 quad_perm:[1,0,3,2] row_mask:0xf bank_mask:0xf bound_ctrl:1
	;;#ASMEND
	;;#ASMSTART
	v_max_f32 v27, v26, v26 quad_perm:[2,3,0,1] row_mask:0xf bank_mask:0xf bound_ctrl:1
	;;#ASMEND
	;;#ASMSTART
	v_max_f32 v26, v27, v27 row_half_mirror row_mask:0xf bank_mask:0xf bound_ctrl:1
	;;#ASMEND
	;;#ASMSTART
	v_max_f32 v27, v26, v26 row_mirror row_mask:0xf bank_mask:0xf bound_ctrl:1
	;;#ASMEND
	;;#ASMSTART
	v_max_f32 v26, v27, v27 row_ror:4 row_mask:0xf bank_mask:0xf bound_ctrl:1
	;;#ASMEND
	;;#ASMSTART
	v_max_f32 v27, v26, v26 row_ror:8 row_mask:0xf bank_mask:0xf bound_ctrl:1
	;;#ASMEND
	;;#ASMSTART
	v_max_f32 v26, v27, v27 row_bcast:15 row_mask:0xf bank_mask:0xf bound_ctrl:1
	;;#ASMEND
	;;#ASMSTART
	v_max_f32 v27, v26, v26 row_bcast:31 row_mask:0xf bank_mask:0xf bound_ctrl:1
	;;#ASMEND
	ds_bpermute_b32 v26, v23, v27
	s_waitcnt lgkmcnt(0)
	v_cmp_eq_f32_e64 s[14:15], v25, v26
	v_cndmask_b32_e32 v25, v4, v3, vcc
	v_cndmask_b32_e64 v25, v25, v14, s[0:1]
	v_cndmask_b32_e64 v25, v25, v13, s[2:3]
	;; [unrolled: 1-line block ×4, first 2 shown]
	s_ff1_i32_b64 s21, s[14:15]
	s_cmp_lg_u64 s[14:15], 0
	s_cselect_b32 s14, s21, 0
	v_cndmask_b32_e64 v26, 0, v25, s[12:13]
	v_readlane_b32 s21, v26, s14
	v_cmp_eq_u32_e64 s[14:15], s21, v25
	v_cndmask_b32_e32 v25, v2, v1, vcc
	v_cndmask_b32_e64 v25, v25, v18, s[0:1]
	v_cndmask_b32_e64 v25, v25, v17, s[2:3]
	;; [unrolled: 1-line block ×4, first 2 shown]
	s_and_b64 vcc, s[12:13], s[14:15]
	s_and_b32 s0, s21, 63
	v_cndmask_b32_e32 v25, 0, v25, vcc
	v_readlane_b32 s0, v25, s0
	v_mov_b32_e32 v25, s0
	v_cmp_eq_u32_e64 s[0:1], 0, v24
	v_cndmask_b32_e64 v20, v20, v25, s[0:1]
	v_mov_b32_e32 v25, s21
	s_add_i32 s20, s20, -1
	v_cndmask_b32_e64 v19, v19, v25, s[0:1]
	v_addc_co_u32_e32 v21, vcc, 0, v21, vcc
	s_cmp_eq_u32 s20, 0
	v_add_u32_e32 v24, -1, v24
	s_cbranch_scc0 .LBB246_16
; %bb.17:
	v_cmp_gt_i32_e32 vcc, s7, v0
	s_and_saveexec_b64 s[0:1], vcc
	s_cbranch_execz .LBB246_19
.LBB246_18:
	s_load_dword s2, s[4:5], 0x30
	s_load_dwordx2 s[0:1], s[4:5], 0x20
	s_ashr_i32 s3, s6, 31
	v_lshlrev_b32_e32 v0, 2, v0
	s_waitcnt lgkmcnt(0)
	v_mul_f32_e32 v1, s2, v20
	s_mul_i32 s1, s6, s1
	s_mul_hi_u32 s2, s6, s0
	s_add_i32 s1, s2, s1
	s_mul_i32 s3, s3, s0
	s_add_i32 s1, s1, s3
	s_mul_i32 s0, s6, s0
	s_lshl_b64 s[0:1], s[0:1], 2
	s_add_u32 s2, s16, s0
	s_addc_u32 s3, s17, s1
	s_add_u32 s0, s18, s0
	s_addc_u32 s1, s19, s1
	global_store_dword v0, v1, s[2:3]
	global_store_dword v0, v19, s[0:1]
.LBB246_19:
	s_endpgm
.LBB246_20:
	v_mov_b32_e32 v19, 0
	v_mov_b32_e32 v20, 0
	v_cmp_gt_i32_e32 vcc, s7, v0
	s_and_saveexec_b64 s[0:1], vcc
	s_cbranch_execnz .LBB246_18
	s_branch .LBB246_19
	.section	.rodata,"a",@progbits
	.p2align	6, 0x0
	.amdhsa_kernel _ZN5aiter24topk_softplus_kernel_optI12hip_bfloat166__halfLi384ELb0ELi1EEEvPKT_PKT0_PfPimiif
		.amdhsa_group_segment_fixed_size 0
		.amdhsa_private_segment_fixed_size 0
		.amdhsa_kernarg_size 52
		.amdhsa_user_sgpr_count 6
		.amdhsa_user_sgpr_private_segment_buffer 1
		.amdhsa_user_sgpr_dispatch_ptr 0
		.amdhsa_user_sgpr_queue_ptr 0
		.amdhsa_user_sgpr_kernarg_segment_ptr 1
		.amdhsa_user_sgpr_dispatch_id 0
		.amdhsa_user_sgpr_flat_scratch_init 0
		.amdhsa_user_sgpr_kernarg_preload_length 0
		.amdhsa_user_sgpr_kernarg_preload_offset 0
		.amdhsa_user_sgpr_private_segment_size 0
		.amdhsa_uses_dynamic_stack 0
		.amdhsa_system_sgpr_private_segment_wavefront_offset 0
		.amdhsa_system_sgpr_workgroup_id_x 1
		.amdhsa_system_sgpr_workgroup_id_y 0
		.amdhsa_system_sgpr_workgroup_id_z 0
		.amdhsa_system_sgpr_workgroup_info 0
		.amdhsa_system_vgpr_workitem_id 0
		.amdhsa_next_free_vgpr 28
		.amdhsa_next_free_sgpr 22
		.amdhsa_accum_offset 28
		.amdhsa_reserve_vcc 1
		.amdhsa_reserve_flat_scratch 0
		.amdhsa_float_round_mode_32 0
		.amdhsa_float_round_mode_16_64 0
		.amdhsa_float_denorm_mode_32 3
		.amdhsa_float_denorm_mode_16_64 3
		.amdhsa_dx10_clamp 1
		.amdhsa_ieee_mode 1
		.amdhsa_fp16_overflow 0
		.amdhsa_tg_split 0
		.amdhsa_exception_fp_ieee_invalid_op 0
		.amdhsa_exception_fp_denorm_src 0
		.amdhsa_exception_fp_ieee_div_zero 0
		.amdhsa_exception_fp_ieee_overflow 0
		.amdhsa_exception_fp_ieee_underflow 0
		.amdhsa_exception_fp_ieee_inexact 0
		.amdhsa_exception_int_div_zero 0
	.end_amdhsa_kernel
	.section	.text._ZN5aiter24topk_softplus_kernel_optI12hip_bfloat166__halfLi384ELb0ELi1EEEvPKT_PKT0_PfPimiif,"axG",@progbits,_ZN5aiter24topk_softplus_kernel_optI12hip_bfloat166__halfLi384ELb0ELi1EEEvPKT_PKT0_PfPimiif,comdat
.Lfunc_end246:
	.size	_ZN5aiter24topk_softplus_kernel_optI12hip_bfloat166__halfLi384ELb0ELi1EEEvPKT_PKT0_PfPimiif, .Lfunc_end246-_ZN5aiter24topk_softplus_kernel_optI12hip_bfloat166__halfLi384ELb0ELi1EEEvPKT_PKT0_PfPimiif
                                        ; -- End function
	.section	.AMDGPU.csdata,"",@progbits
; Kernel info:
; codeLenInByte = 1676
; NumSgprs: 26
; NumVgprs: 28
; NumAgprs: 0
; TotalNumVgprs: 28
; ScratchSize: 0
; MemoryBound: 0
; FloatMode: 240
; IeeeMode: 1
; LDSByteSize: 0 bytes/workgroup (compile time only)
; SGPRBlocks: 3
; VGPRBlocks: 3
; NumSGPRsForWavesPerEU: 26
; NumVGPRsForWavesPerEU: 28
; AccumOffset: 28
; Occupancy: 8
; WaveLimiterHint : 0
; COMPUTE_PGM_RSRC2:SCRATCH_EN: 0
; COMPUTE_PGM_RSRC2:USER_SGPR: 6
; COMPUTE_PGM_RSRC2:TRAP_HANDLER: 0
; COMPUTE_PGM_RSRC2:TGID_X_EN: 1
; COMPUTE_PGM_RSRC2:TGID_Y_EN: 0
; COMPUTE_PGM_RSRC2:TGID_Z_EN: 0
; COMPUTE_PGM_RSRC2:TIDIG_COMP_CNT: 0
; COMPUTE_PGM_RSRC3_GFX90A:ACCUM_OFFSET: 6
; COMPUTE_PGM_RSRC3_GFX90A:TG_SPLIT: 0
	.section	.text._ZN5aiter20topk_softplus_kernelI12hip_bfloat166__halfDv4_fLb1ELi1EEEvPKT_PKT0_PfPimiiif,"axG",@progbits,_ZN5aiter20topk_softplus_kernelI12hip_bfloat166__halfDv4_fLb1ELi1EEEvPKT_PKT0_PfPimiiif,comdat
	.protected	_ZN5aiter20topk_softplus_kernelI12hip_bfloat166__halfDv4_fLb1ELi1EEEvPKT_PKT0_PfPimiiif ; -- Begin function _ZN5aiter20topk_softplus_kernelI12hip_bfloat166__halfDv4_fLb1ELi1EEEvPKT_PKT0_PfPimiiif
	.globl	_ZN5aiter20topk_softplus_kernelI12hip_bfloat166__halfDv4_fLb1ELi1EEEvPKT_PKT0_PfPimiiif
	.p2align	8
	.type	_ZN5aiter20topk_softplus_kernelI12hip_bfloat166__halfDv4_fLb1ELi1EEEvPKT_PKT0_PfPimiiif,@function
_ZN5aiter20topk_softplus_kernelI12hip_bfloat166__halfDv4_fLb1ELi1EEEvPKT_PKT0_PfPimiiif: ; @_ZN5aiter20topk_softplus_kernelI12hip_bfloat166__halfDv4_fLb1ELi1EEEvPKT_PKT0_PfPimiiif
; %bb.0:
	s_load_dwordx2 s[16:17], s[4:5], 0x28
	s_load_dwordx8 s[8:15], s[4:5], 0x0
	v_lshlrev_b32_e32 v1, 2, v0
	v_lshl_add_u32 v12, v0, 4, 0
	s_waitcnt lgkmcnt(0)
	s_ashr_i32 s0, s16, 31
	s_lshr_b32 s0, s0, 30
	s_add_i32 s0, s16, s0
	s_mul_i32 s18, s6, s16
	s_ashr_i32 s7, s0, 2
	s_ashr_i32 s19, s18, 31
	v_cmp_gt_i32_e64 s[0:1], s7, v0
	s_and_saveexec_b64 s[20:21], s[0:1]
	s_cbranch_execz .LBB247_11
; %bb.1:
	s_load_dword s24, s[4:5], 0x44
	s_cmp_lg_u64 s[10:11], 0
	s_cselect_b64 s[2:3], -1, 0
	v_lshlrev_b32_e32 v2, 3, v0
	s_mov_b64 s[22:23], 0
	s_waitcnt lgkmcnt(0)
	s_and_b32 s24, s24, 0xffff
	s_add_u32 s25, s10, 2
	s_addc_u32 s26, s11, 0
	s_add_u32 s27, s10, 4
	s_addc_u32 s28, s11, 0
	;; [unrolled: 2-line block ×3, first 2 shown]
	s_lshl_b64 s[34:35], s[18:19], 1
	s_add_u32 s33, s8, s34
	s_addc_u32 s34, s9, s35
	v_mov_b32_e32 v3, s34
	v_add_co_u32_e32 v6, vcc, s33, v2
	v_cndmask_b32_e64 v2, 0, 1, s[2:3]
	s_mov_b32 s31, 0
	v_addc_co_u32_e32 v7, vcc, 0, v3, vcc
	s_lshl_b32 s33, s24, 3
	v_lshlrev_b32_e32 v8, 2, v0
	s_lshl_b32 s34, s24, 2
	v_lshl_add_u32 v13, v0, 4, 0
	s_lshl_b32 s35, s24, 4
	v_mov_b32_e32 v9, 0
	s_mov_b32 s36, 0xc2fc0000
	v_mov_b32_e32 v14, 0x42800000
	v_mov_b32_e32 v15, 0x1f800000
	v_cmp_ne_u32_e64 s[2:3], 1, v2
	v_mov_b32_e32 v16, v0
	s_branch .LBB247_3
.LBB247_2:                              ;   in Loop: Header=BB247_3 Depth=1
	ds_write_b128 v13, v[2:5]
	v_mov_b32_e32 v2, s31
	v_add_co_u32_e32 v6, vcc, s33, v6
	v_add_u32_e32 v16, s24, v16
	v_addc_co_u32_e32 v7, vcc, v7, v2, vcc
	v_cmp_le_i32_e32 vcc, s7, v16
	v_add_u32_e32 v8, s34, v8
	s_or_b64 s[22:23], vcc, s[22:23]
	v_add_u32_e32 v13, s35, v13
	s_andn2_b64 exec, exec, s[22:23]
	s_cbranch_execz .LBB247_11
.LBB247_3:                              ; =>This Inner Loop Header: Depth=1
	global_load_dwordx2 v[4:5], v[6:7], off
	v_lshlrev_b64 v[10:11], 1, v[8:9]
	s_waitcnt vmcnt(0)
	v_cvt_f32_u32_sdwa v2, v4 dst_sel:DWORD dst_unused:UNUSED_PAD src0_sel:WORD_0
	v_mul_f32_e32 v3, 0xbfb8aa3b, v2
	v_cmp_gt_f32_e32 vcc, s36, v3
	v_cndmask_b32_e32 v3, 0, v14, vcc
	v_fmac_f32_e32 v3, 0xbfb8aa3b, v2
	v_exp_f32_e32 v2, v3
	v_cndmask_b32_e32 v3, 1.0, v15, vcc
	s_and_b64 vcc, exec, s[2:3]
	v_fma_f32 v2, v2, v3, 1.0
	v_rcp_f32_e32 v2, v2
	s_cbranch_vccnz .LBB247_5
; %bb.4:                                ;   in Loop: Header=BB247_3 Depth=1
	v_mov_b32_e32 v3, s11
	v_add_co_u32_e32 v18, vcc, s10, v10
	v_addc_co_u32_e32 v19, vcc, v3, v11, vcc
	global_load_ushort v3, v[18:19], off
	s_waitcnt vmcnt(0)
	v_cvt_f32_f16_e32 v3, v3
	v_add_f32_e32 v2, v2, v3
.LBB247_5:                              ;   in Loop: Header=BB247_3 Depth=1
	v_cvt_f32_u32_sdwa v3, v4 dst_sel:DWORD dst_unused:UNUSED_PAD src0_sel:WORD_1
	v_mul_f32_e32 v4, 0xbfb8aa3b, v3
	v_cmp_gt_f32_e32 vcc, s36, v4
	v_cndmask_b32_e32 v4, 0, v14, vcc
	v_fmac_f32_e32 v4, 0xbfb8aa3b, v3
	v_exp_f32_e32 v3, v4
	v_cndmask_b32_e32 v4, 1.0, v15, vcc
	s_and_b64 vcc, exec, s[2:3]
	v_fma_f32 v3, v3, v4, 1.0
	v_rcp_f32_e32 v3, v3
	s_cbranch_vccnz .LBB247_7
; %bb.6:                                ;   in Loop: Header=BB247_3 Depth=1
	v_mov_b32_e32 v4, s26
	v_add_co_u32_e32 v18, vcc, s25, v10
	v_addc_co_u32_e32 v19, vcc, v4, v11, vcc
	global_load_ushort v4, v[18:19], off
	s_waitcnt vmcnt(0)
	v_cvt_f32_f16_e32 v4, v4
	v_add_f32_e32 v3, v3, v4
.LBB247_7:                              ;   in Loop: Header=BB247_3 Depth=1
	v_cvt_f32_u32_sdwa v4, v5 dst_sel:DWORD dst_unused:UNUSED_PAD src0_sel:WORD_0
	v_mul_f32_e32 v17, 0xbfb8aa3b, v4
	v_cmp_gt_f32_e32 vcc, s36, v17
	v_cndmask_b32_e32 v17, 0, v14, vcc
	v_fmac_f32_e32 v17, 0xbfb8aa3b, v4
	v_exp_f32_e32 v4, v17
	v_cndmask_b32_e32 v17, 1.0, v15, vcc
	s_and_b64 vcc, exec, s[2:3]
	v_fma_f32 v4, v4, v17, 1.0
	v_rcp_f32_e32 v4, v4
	s_cbranch_vccnz .LBB247_9
; %bb.8:                                ;   in Loop: Header=BB247_3 Depth=1
	v_mov_b32_e32 v17, s28
	v_add_co_u32_e32 v18, vcc, s27, v10
	v_addc_co_u32_e32 v19, vcc, v17, v11, vcc
	global_load_ushort v17, v[18:19], off
	s_waitcnt vmcnt(0)
	v_cvt_f32_f16_e32 v17, v17
	v_add_f32_e32 v4, v4, v17
.LBB247_9:                              ;   in Loop: Header=BB247_3 Depth=1
	v_cvt_f32_u32_sdwa v5, v5 dst_sel:DWORD dst_unused:UNUSED_PAD src0_sel:WORD_1
	v_mul_f32_e32 v17, 0xbfb8aa3b, v5
	v_cmp_gt_f32_e32 vcc, s36, v17
	v_cndmask_b32_e32 v17, 0, v14, vcc
	v_fmac_f32_e32 v17, 0xbfb8aa3b, v5
	v_exp_f32_e32 v5, v17
	v_cndmask_b32_e32 v17, 1.0, v15, vcc
	s_and_b64 vcc, exec, s[2:3]
	v_fma_f32 v5, v5, v17, 1.0
	v_rcp_f32_e32 v5, v5
	s_cbranch_vccnz .LBB247_2
; %bb.10:                               ;   in Loop: Header=BB247_3 Depth=1
	v_mov_b32_e32 v17, s30
	v_add_co_u32_e32 v10, vcc, s29, v10
	v_addc_co_u32_e32 v11, vcc, v17, v11, vcc
	global_load_ushort v10, v[10:11], off
	s_waitcnt vmcnt(0)
	v_cvt_f32_f16_e32 v10, v10
	v_add_f32_e32 v5, v5, v10
	s_branch .LBB247_2
.LBB247_11:
	s_or_b64 exec, exec, s[20:21]
	v_lshl_add_u32 v2, s7, 2, v0
	v_cmp_gt_i32_e32 vcc, s16, v2
	s_and_saveexec_b64 s[20:21], vcc
	s_cbranch_execz .LBB247_16
; %bb.12:
	s_lshl_b64 s[2:3], s[18:19], 1
	s_load_dword s19, s[4:5], 0x44
	s_add_u32 s18, s8, s2
	s_addc_u32 s23, s9, s3
	s_cmp_lg_u64 s[10:11], 0
	s_cselect_b64 s[2:3], -1, 0
	s_lshl_b32 s22, s7, 4
	s_waitcnt lgkmcnt(0)
	s_and_b32 s19, s19, 0xffff
	s_add_i32 s22, s22, 0
	v_cndmask_b32_e64 v3, 0, 1, s[2:3]
	s_mov_b64 s[8:9], 0
	v_lshl_add_u32 v6, v0, 2, s22
	s_lshl_b32 s22, s19, 2
	v_mov_b32_e32 v7, s23
	s_mov_b32 s23, 0xc2fc0000
	v_mov_b32_e32 v8, 0x42800000
	v_mov_b32_e32 v9, 0x1f800000
	v_cmp_ne_u32_e64 s[2:3], 1, v3
	s_branch .LBB247_14
.LBB247_13:                             ;   in Loop: Header=BB247_14 Depth=1
	v_add_u32_e32 v2, s19, v2
	v_cmp_le_i32_e32 vcc, s16, v2
	s_or_b64 s[8:9], vcc, s[8:9]
	v_add_u32_e32 v6, s22, v6
	s_andn2_b64 exec, exec, s[8:9]
	s_cbranch_execz .LBB247_16
.LBB247_14:                             ; =>This Inner Loop Header: Depth=1
	v_ashrrev_i32_e32 v3, 31, v2
	v_lshlrev_b64 v[4:5], 1, v[2:3]
	v_add_co_u32_e32 v10, vcc, s18, v4
	v_addc_co_u32_e32 v11, vcc, v7, v5, vcc
	global_load_ushort v3, v[10:11], off
	s_waitcnt vmcnt(0)
	v_lshlrev_b32_e32 v3, 16, v3
	v_mul_f32_e32 v10, 0xbfb8aa3b, v3
	v_cmp_gt_f32_e32 vcc, s23, v10
	v_cndmask_b32_e32 v10, 0, v8, vcc
	v_fmac_f32_e32 v10, 0xbfb8aa3b, v3
	v_exp_f32_e32 v3, v10
	v_cndmask_b32_e32 v10, 1.0, v9, vcc
	s_and_b64 vcc, exec, s[2:3]
	v_fma_f32 v3, v3, v10, 1.0
	v_rcp_f32_e32 v3, v3
	ds_write_b32 v6, v3
	s_cbranch_vccnz .LBB247_13
; %bb.15:                               ;   in Loop: Header=BB247_14 Depth=1
	v_mov_b32_e32 v10, s11
	v_add_co_u32_e32 v4, vcc, s10, v4
	v_addc_co_u32_e32 v5, vcc, v10, v5, vcc
	global_load_ushort v4, v[4:5], off
	s_waitcnt vmcnt(0)
	v_cvt_f32_f16_e32 v4, v4
	v_add_f32_e32 v3, v3, v4
	ds_write_b32 v6, v3
	s_branch .LBB247_13
.LBB247_16:
	s_or_b64 exec, exec, s[20:21]
	s_cmp_lt_i32 s17, 1
	v_mov_b32_e32 v3, 0
	s_waitcnt lgkmcnt(0)
	s_barrier
	s_cbranch_scc1 .LBB247_25
; %bb.17:
	s_add_u32 s2, s4, 56
	s_addc_u32 s3, s5, 0
	v_mbcnt_lo_u32_b32 v2, -1, 0
	s_cmp_lg_u64 s[10:11], 0
	v_mbcnt_hi_u32_b32 v2, -1, v2
	v_bfrev_b32_e32 v4, 0.5
	s_cselect_b64 s[8:9], -1, 0
	s_mov_b32 s16, 0
	v_mov_b32_e32 v3, 0
	v_lshl_or_b32 v5, v2, 2, v4
	v_mov_b32_e32 v6, 0
	v_mov_b32_e32 v7, 0xff800000
	;; [unrolled: 1-line block ×4, first 2 shown]
	s_branch .LBB247_19
.LBB247_18:                             ;   in Loop: Header=BB247_19 Depth=1
	s_lshl_b32 s19, s18, 2
	s_add_i32 s19, s19, 0
	v_mov_b32_e32 v8, s19
	ds_write_b32 v8, v7
	v_mov_b32_e32 v8, s18
	v_cmp_eq_u32_e32 vcc, s16, v0
	s_add_i32 s16, s16, 1
	v_cndmask_b32_e32 v2, v2, v8, vcc
	v_cndmask_b32_e32 v3, v3, v10, vcc
	s_cmp_eq_u32 s16, s17
	v_add_f32_e32 v4, v4, v10
	s_cbranch_scc1 .LBB247_26
.LBB247_19:                             ; =>This Loop Header: Depth=1
                                        ;     Child Loop BB247_21 Depth 2
	v_mov_b32_e32 v8, s16
	v_mov_b32_e32 v9, 0xff800000
	s_and_saveexec_b64 s[18:19], s[0:1]
	s_cbranch_execz .LBB247_23
; %bb.20:                               ;   in Loop: Header=BB247_19 Depth=1
	s_load_dword s22, s[2:3], 0xc
	s_mov_b64 s[20:21], 0
	v_mov_b32_e32 v8, s16
	v_mov_b32_e32 v9, 0xff800000
	v_mov_b32_e32 v10, v12
	s_waitcnt lgkmcnt(0)
	s_and_b32 s22, s22, 0xffff
	s_lshl_b32 s23, s22, 2
	s_lshl_b32 s24, s22, 4
	v_mov_b32_e32 v11, v1
	v_mov_b32_e32 v13, v0
.LBB247_21:                             ;   Parent Loop BB247_19 Depth=1
                                        ; =>  This Inner Loop Header: Depth=2
	ds_read_b128 v[14:17], v10
	v_add_u32_e32 v13, s22, v13
	v_cmp_le_i32_e32 vcc, s7, v13
	s_or_b64 s[20:21], vcc, s[20:21]
	v_add_u32_e32 v18, 1, v11
	s_waitcnt lgkmcnt(0)
	v_cmp_gt_f32_e32 vcc, v14, v9
	v_cndmask_b32_e32 v9, v9, v14, vcc
	v_cndmask_b32_e32 v8, v8, v11, vcc
	v_cmp_gt_f32_e32 vcc, v15, v9
	v_cndmask_b32_e32 v9, v9, v15, vcc
	v_cndmask_b32_e32 v8, v8, v18, vcc
	v_cmp_gt_f32_e32 vcc, v16, v9
	v_add_u32_e32 v19, 2, v11
	v_cndmask_b32_e32 v9, v9, v16, vcc
	v_add_u32_e32 v20, 3, v11
	v_cndmask_b32_e32 v8, v8, v19, vcc
	v_cmp_gt_f32_e32 vcc, v17, v9
	v_add_u32_e32 v10, s24, v10
	v_add_u32_e32 v11, s23, v11
	v_cndmask_b32_e32 v9, v9, v17, vcc
	v_cndmask_b32_e32 v8, v8, v20, vcc
	s_andn2_b64 exec, exec, s[20:21]
	s_cbranch_execnz .LBB247_21
; %bb.22:                               ;   in Loop: Header=BB247_19 Depth=1
	s_or_b64 exec, exec, s[20:21]
.LBB247_23:                             ;   in Loop: Header=BB247_19 Depth=1
	s_or_b64 exec, exec, s[18:19]
	;;#ASMSTART
	v_max_f32 v10, v9, v9 quad_perm:[1,0,3,2] row_mask:0xf bank_mask:0xf bound_ctrl:1
	;;#ASMEND
	;;#ASMSTART
	v_max_f32 v11, v10, v10 quad_perm:[2,3,0,1] row_mask:0xf bank_mask:0xf bound_ctrl:1
	;;#ASMEND
	;;#ASMSTART
	v_max_f32 v10, v11, v11 row_half_mirror row_mask:0xf bank_mask:0xf bound_ctrl:1
	;;#ASMEND
	;;#ASMSTART
	v_max_f32 v11, v10, v10 row_mirror row_mask:0xf bank_mask:0xf bound_ctrl:1
	;;#ASMEND
	;;#ASMSTART
	v_max_f32 v10, v11, v11 row_ror:4 row_mask:0xf bank_mask:0xf bound_ctrl:1
	;;#ASMEND
	;;#ASMSTART
	v_max_f32 v11, v10, v10 row_ror:8 row_mask:0xf bank_mask:0xf bound_ctrl:1
	;;#ASMEND
	;;#ASMSTART
	v_max_f32 v10, v11, v11 row_bcast:15 row_mask:0xf bank_mask:0xf bound_ctrl:1
	;;#ASMEND
	;;#ASMSTART
	v_max_f32 v11, v10, v10 row_bcast:31 row_mask:0xf bank_mask:0xf bound_ctrl:1
	;;#ASMEND
	ds_bpermute_b32 v10, v5, v11
	s_waitcnt lgkmcnt(0)
	v_cmp_eq_f32_e32 vcc, v9, v10
	s_ff1_i32_b64 s18, vcc
	s_cmp_lg_u64 vcc, 0
	s_cselect_b32 s18, s18, 0
	s_and_b64 vcc, exec, s[8:9]
	v_readlane_b32 s18, v8, s18
	s_cbranch_vccz .LBB247_18
; %bb.24:                               ;   in Loop: Header=BB247_19 Depth=1
	s_ashr_i32 s19, s18, 31
	s_lshl_b64 s[20:21], s[18:19], 1
	s_add_u32 s20, s10, s20
	s_addc_u32 s21, s11, s21
	global_load_ushort v8, v6, s[20:21]
	s_waitcnt vmcnt(0)
	v_cvt_f32_f16_e32 v8, v8
	v_sub_f32_e32 v10, v10, v8
	s_branch .LBB247_18
.LBB247_25:
	v_mov_b32_e32 v2, 0
	v_mov_b32_e32 v4, 0
.LBB247_26:
	v_cmp_gt_i32_e32 vcc, s17, v0
	s_and_saveexec_b64 s[0:1], vcc
	s_cbranch_execz .LBB247_29
; %bb.27:
	s_load_dword s2, s[4:5], 0x34
	v_max_f32_e32 v1, v4, v4
	v_max_f32_e32 v1, 0x1e3ce508, v1
	s_load_dword s3, s[4:5], 0x44
	s_waitcnt lgkmcnt(0)
	v_div_scale_f32 v4, s[0:1], v1, v1, s2
	s_load_dwordx2 s[0:1], s[4:5], 0x20
	v_rcp_f32_e32 v5, v4
	v_div_scale_f32 v6, vcc, s2, v1, s2
	s_and_b32 s3, s3, 0xffff
	v_fma_f32 v7, -v4, v5, 1.0
	v_fmac_f32_e32 v5, v7, v5
	v_mul_f32_e32 v7, v6, v5
	v_fma_f32 v8, -v4, v7, v6
	v_fmac_f32_e32 v7, v8, v5
	v_fma_f32 v4, -v4, v7, v6
	v_div_fmas_f32 v4, v4, v5, v7
	v_div_fixup_f32 v1, v4, v1, s2
	s_ashr_i32 s2, s6, 31
	s_waitcnt lgkmcnt(0)
	s_mul_i32 s1, s6, s1
	s_mul_hi_u32 s4, s6, s0
	s_add_i32 s1, s4, s1
	s_mul_i32 s2, s2, s0
	s_add_i32 s4, s1, s2
	v_mul_f32_e32 v1, v3, v1
	s_mul_i32 s2, s6, s0
	s_mov_b64 s[0:1], 0
	v_mov_b32_e32 v3, s4
	v_mov_b32_e32 v4, s13
	;; [unrolled: 1-line block ×3, first 2 shown]
.LBB247_28:                             ; =>This Inner Loop Header: Depth=1
	v_ashrrev_i32_e32 v7, 31, v0
	v_add_co_u32_e32 v6, vcc, s2, v0
	v_addc_co_u32_e32 v7, vcc, v3, v7, vcc
	v_add_u32_e32 v0, s3, v0
	v_cmp_le_i32_e32 vcc, s17, v0
	v_lshlrev_b64 v[6:7], 2, v[6:7]
	s_or_b64 s[0:1], vcc, s[0:1]
	v_add_co_u32_e32 v8, vcc, s12, v6
	v_addc_co_u32_e32 v9, vcc, v4, v7, vcc
	v_add_co_u32_e32 v6, vcc, s14, v6
	v_addc_co_u32_e32 v7, vcc, v5, v7, vcc
	global_store_dword v[8:9], v1, off
	global_store_dword v[6:7], v2, off
	s_andn2_b64 exec, exec, s[0:1]
	s_cbranch_execnz .LBB247_28
.LBB247_29:
	s_endpgm
	.section	.rodata,"a",@progbits
	.p2align	6, 0x0
	.amdhsa_kernel _ZN5aiter20topk_softplus_kernelI12hip_bfloat166__halfDv4_fLb1ELi1EEEvPKT_PKT0_PfPimiiif
		.amdhsa_group_segment_fixed_size 0
		.amdhsa_private_segment_fixed_size 0
		.amdhsa_kernarg_size 312
		.amdhsa_user_sgpr_count 6
		.amdhsa_user_sgpr_private_segment_buffer 1
		.amdhsa_user_sgpr_dispatch_ptr 0
		.amdhsa_user_sgpr_queue_ptr 0
		.amdhsa_user_sgpr_kernarg_segment_ptr 1
		.amdhsa_user_sgpr_dispatch_id 0
		.amdhsa_user_sgpr_flat_scratch_init 0
		.amdhsa_user_sgpr_kernarg_preload_length 0
		.amdhsa_user_sgpr_kernarg_preload_offset 0
		.amdhsa_user_sgpr_private_segment_size 0
		.amdhsa_uses_dynamic_stack 0
		.amdhsa_system_sgpr_private_segment_wavefront_offset 0
		.amdhsa_system_sgpr_workgroup_id_x 1
		.amdhsa_system_sgpr_workgroup_id_y 0
		.amdhsa_system_sgpr_workgroup_id_z 0
		.amdhsa_system_sgpr_workgroup_info 0
		.amdhsa_system_vgpr_workitem_id 0
		.amdhsa_next_free_vgpr 21
		.amdhsa_next_free_sgpr 37
		.amdhsa_accum_offset 24
		.amdhsa_reserve_vcc 1
		.amdhsa_reserve_flat_scratch 0
		.amdhsa_float_round_mode_32 0
		.amdhsa_float_round_mode_16_64 0
		.amdhsa_float_denorm_mode_32 3
		.amdhsa_float_denorm_mode_16_64 3
		.amdhsa_dx10_clamp 1
		.amdhsa_ieee_mode 1
		.amdhsa_fp16_overflow 0
		.amdhsa_tg_split 0
		.amdhsa_exception_fp_ieee_invalid_op 0
		.amdhsa_exception_fp_denorm_src 0
		.amdhsa_exception_fp_ieee_div_zero 0
		.amdhsa_exception_fp_ieee_overflow 0
		.amdhsa_exception_fp_ieee_underflow 0
		.amdhsa_exception_fp_ieee_inexact 0
		.amdhsa_exception_int_div_zero 0
	.end_amdhsa_kernel
	.section	.text._ZN5aiter20topk_softplus_kernelI12hip_bfloat166__halfDv4_fLb1ELi1EEEvPKT_PKT0_PfPimiiif,"axG",@progbits,_ZN5aiter20topk_softplus_kernelI12hip_bfloat166__halfDv4_fLb1ELi1EEEvPKT_PKT0_PfPimiiif,comdat
.Lfunc_end247:
	.size	_ZN5aiter20topk_softplus_kernelI12hip_bfloat166__halfDv4_fLb1ELi1EEEvPKT_PKT0_PfPimiiif, .Lfunc_end247-_ZN5aiter20topk_softplus_kernelI12hip_bfloat166__halfDv4_fLb1ELi1EEEvPKT_PKT0_PfPimiiif
                                        ; -- End function
	.section	.AMDGPU.csdata,"",@progbits
; Kernel info:
; codeLenInByte = 1728
; NumSgprs: 41
; NumVgprs: 21
; NumAgprs: 0
; TotalNumVgprs: 21
; ScratchSize: 0
; MemoryBound: 0
; FloatMode: 240
; IeeeMode: 1
; LDSByteSize: 0 bytes/workgroup (compile time only)
; SGPRBlocks: 5
; VGPRBlocks: 2
; NumSGPRsForWavesPerEU: 41
; NumVGPRsForWavesPerEU: 21
; AccumOffset: 24
; Occupancy: 8
; WaveLimiterHint : 0
; COMPUTE_PGM_RSRC2:SCRATCH_EN: 0
; COMPUTE_PGM_RSRC2:USER_SGPR: 6
; COMPUTE_PGM_RSRC2:TRAP_HANDLER: 0
; COMPUTE_PGM_RSRC2:TGID_X_EN: 1
; COMPUTE_PGM_RSRC2:TGID_Y_EN: 0
; COMPUTE_PGM_RSRC2:TGID_Z_EN: 0
; COMPUTE_PGM_RSRC2:TIDIG_COMP_CNT: 0
; COMPUTE_PGM_RSRC3_GFX90A:ACCUM_OFFSET: 5
; COMPUTE_PGM_RSRC3_GFX90A:TG_SPLIT: 0
	.section	.text._ZN5aiter20topk_softplus_kernelI12hip_bfloat166__halfDv4_fLb0ELi1EEEvPKT_PKT0_PfPimiiif,"axG",@progbits,_ZN5aiter20topk_softplus_kernelI12hip_bfloat166__halfDv4_fLb0ELi1EEEvPKT_PKT0_PfPimiiif,comdat
	.protected	_ZN5aiter20topk_softplus_kernelI12hip_bfloat166__halfDv4_fLb0ELi1EEEvPKT_PKT0_PfPimiiif ; -- Begin function _ZN5aiter20topk_softplus_kernelI12hip_bfloat166__halfDv4_fLb0ELi1EEEvPKT_PKT0_PfPimiiif
	.globl	_ZN5aiter20topk_softplus_kernelI12hip_bfloat166__halfDv4_fLb0ELi1EEEvPKT_PKT0_PfPimiiif
	.p2align	8
	.type	_ZN5aiter20topk_softplus_kernelI12hip_bfloat166__halfDv4_fLb0ELi1EEEvPKT_PKT0_PfPimiiif,@function
_ZN5aiter20topk_softplus_kernelI12hip_bfloat166__halfDv4_fLb0ELi1EEEvPKT_PKT0_PfPimiiif: ; @_ZN5aiter20topk_softplus_kernelI12hip_bfloat166__halfDv4_fLb0ELi1EEEvPKT_PKT0_PfPimiiif
; %bb.0:
	s_load_dwordx2 s[16:17], s[4:5], 0x28
	s_load_dwordx8 s[8:15], s[4:5], 0x0
	v_lshlrev_b32_e32 v1, 2, v0
	v_lshl_add_u32 v12, v0, 4, 0
	s_waitcnt lgkmcnt(0)
	s_ashr_i32 s0, s16, 31
	s_lshr_b32 s0, s0, 30
	s_add_i32 s0, s16, s0
	s_mul_i32 s18, s6, s16
	s_ashr_i32 s7, s0, 2
	s_ashr_i32 s19, s18, 31
	v_cmp_gt_i32_e64 s[0:1], s7, v0
	s_and_saveexec_b64 s[20:21], s[0:1]
	s_cbranch_execz .LBB248_11
; %bb.1:
	s_load_dword s24, s[4:5], 0x44
	s_cmp_lg_u64 s[10:11], 0
	s_cselect_b64 s[2:3], -1, 0
	v_lshlrev_b32_e32 v2, 3, v0
	s_mov_b64 s[22:23], 0
	s_waitcnt lgkmcnt(0)
	s_and_b32 s24, s24, 0xffff
	s_add_u32 s25, s10, 2
	s_addc_u32 s26, s11, 0
	s_add_u32 s27, s10, 4
	s_addc_u32 s28, s11, 0
	;; [unrolled: 2-line block ×3, first 2 shown]
	s_lshl_b64 s[34:35], s[18:19], 1
	s_add_u32 s33, s8, s34
	s_addc_u32 s34, s9, s35
	v_mov_b32_e32 v3, s34
	v_add_co_u32_e32 v6, vcc, s33, v2
	v_cndmask_b32_e64 v2, 0, 1, s[2:3]
	s_mov_b32 s31, 0
	v_addc_co_u32_e32 v7, vcc, 0, v3, vcc
	s_lshl_b32 s33, s24, 3
	v_lshlrev_b32_e32 v8, 2, v0
	s_lshl_b32 s34, s24, 2
	v_lshl_add_u32 v13, v0, 4, 0
	s_lshl_b32 s35, s24, 4
	v_mov_b32_e32 v9, 0
	s_mov_b32 s36, 0xc2fc0000
	v_mov_b32_e32 v14, 0x42800000
	v_mov_b32_e32 v15, 0x1f800000
	v_cmp_ne_u32_e64 s[2:3], 1, v2
	v_mov_b32_e32 v16, v0
	s_branch .LBB248_3
.LBB248_2:                              ;   in Loop: Header=BB248_3 Depth=1
	ds_write_b128 v13, v[2:5]
	v_mov_b32_e32 v2, s31
	v_add_co_u32_e32 v6, vcc, s33, v6
	v_add_u32_e32 v16, s24, v16
	v_addc_co_u32_e32 v7, vcc, v7, v2, vcc
	v_cmp_le_i32_e32 vcc, s7, v16
	v_add_u32_e32 v8, s34, v8
	s_or_b64 s[22:23], vcc, s[22:23]
	v_add_u32_e32 v13, s35, v13
	s_andn2_b64 exec, exec, s[22:23]
	s_cbranch_execz .LBB248_11
.LBB248_3:                              ; =>This Inner Loop Header: Depth=1
	global_load_dwordx2 v[4:5], v[6:7], off
	v_lshlrev_b64 v[10:11], 1, v[8:9]
	s_waitcnt vmcnt(0)
	v_cvt_f32_u32_sdwa v2, v4 dst_sel:DWORD dst_unused:UNUSED_PAD src0_sel:WORD_0
	v_mul_f32_e32 v3, 0xbfb8aa3b, v2
	v_cmp_gt_f32_e32 vcc, s36, v3
	v_cndmask_b32_e32 v3, 0, v14, vcc
	v_fmac_f32_e32 v3, 0xbfb8aa3b, v2
	v_exp_f32_e32 v2, v3
	v_cndmask_b32_e32 v3, 1.0, v15, vcc
	s_and_b64 vcc, exec, s[2:3]
	v_fma_f32 v2, v2, v3, 1.0
	v_rcp_f32_e32 v2, v2
	s_cbranch_vccnz .LBB248_5
; %bb.4:                                ;   in Loop: Header=BB248_3 Depth=1
	v_mov_b32_e32 v3, s11
	v_add_co_u32_e32 v18, vcc, s10, v10
	v_addc_co_u32_e32 v19, vcc, v3, v11, vcc
	global_load_ushort v3, v[18:19], off
	s_waitcnt vmcnt(0)
	v_cvt_f32_f16_e32 v3, v3
	v_add_f32_e32 v2, v2, v3
.LBB248_5:                              ;   in Loop: Header=BB248_3 Depth=1
	v_cvt_f32_u32_sdwa v3, v4 dst_sel:DWORD dst_unused:UNUSED_PAD src0_sel:WORD_1
	v_mul_f32_e32 v4, 0xbfb8aa3b, v3
	v_cmp_gt_f32_e32 vcc, s36, v4
	v_cndmask_b32_e32 v4, 0, v14, vcc
	v_fmac_f32_e32 v4, 0xbfb8aa3b, v3
	v_exp_f32_e32 v3, v4
	v_cndmask_b32_e32 v4, 1.0, v15, vcc
	s_and_b64 vcc, exec, s[2:3]
	v_fma_f32 v3, v3, v4, 1.0
	v_rcp_f32_e32 v3, v3
	s_cbranch_vccnz .LBB248_7
; %bb.6:                                ;   in Loop: Header=BB248_3 Depth=1
	v_mov_b32_e32 v4, s26
	v_add_co_u32_e32 v18, vcc, s25, v10
	v_addc_co_u32_e32 v19, vcc, v4, v11, vcc
	global_load_ushort v4, v[18:19], off
	s_waitcnt vmcnt(0)
	v_cvt_f32_f16_e32 v4, v4
	v_add_f32_e32 v3, v3, v4
.LBB248_7:                              ;   in Loop: Header=BB248_3 Depth=1
	v_cvt_f32_u32_sdwa v4, v5 dst_sel:DWORD dst_unused:UNUSED_PAD src0_sel:WORD_0
	v_mul_f32_e32 v17, 0xbfb8aa3b, v4
	v_cmp_gt_f32_e32 vcc, s36, v17
	v_cndmask_b32_e32 v17, 0, v14, vcc
	v_fmac_f32_e32 v17, 0xbfb8aa3b, v4
	v_exp_f32_e32 v4, v17
	v_cndmask_b32_e32 v17, 1.0, v15, vcc
	s_and_b64 vcc, exec, s[2:3]
	v_fma_f32 v4, v4, v17, 1.0
	v_rcp_f32_e32 v4, v4
	s_cbranch_vccnz .LBB248_9
; %bb.8:                                ;   in Loop: Header=BB248_3 Depth=1
	v_mov_b32_e32 v17, s28
	v_add_co_u32_e32 v18, vcc, s27, v10
	v_addc_co_u32_e32 v19, vcc, v17, v11, vcc
	global_load_ushort v17, v[18:19], off
	s_waitcnt vmcnt(0)
	v_cvt_f32_f16_e32 v17, v17
	v_add_f32_e32 v4, v4, v17
.LBB248_9:                              ;   in Loop: Header=BB248_3 Depth=1
	v_cvt_f32_u32_sdwa v5, v5 dst_sel:DWORD dst_unused:UNUSED_PAD src0_sel:WORD_1
	v_mul_f32_e32 v17, 0xbfb8aa3b, v5
	v_cmp_gt_f32_e32 vcc, s36, v17
	v_cndmask_b32_e32 v17, 0, v14, vcc
	v_fmac_f32_e32 v17, 0xbfb8aa3b, v5
	v_exp_f32_e32 v5, v17
	v_cndmask_b32_e32 v17, 1.0, v15, vcc
	s_and_b64 vcc, exec, s[2:3]
	v_fma_f32 v5, v5, v17, 1.0
	v_rcp_f32_e32 v5, v5
	s_cbranch_vccnz .LBB248_2
; %bb.10:                               ;   in Loop: Header=BB248_3 Depth=1
	v_mov_b32_e32 v17, s30
	v_add_co_u32_e32 v10, vcc, s29, v10
	v_addc_co_u32_e32 v11, vcc, v17, v11, vcc
	global_load_ushort v10, v[10:11], off
	s_waitcnt vmcnt(0)
	v_cvt_f32_f16_e32 v10, v10
	v_add_f32_e32 v5, v5, v10
	s_branch .LBB248_2
.LBB248_11:
	s_or_b64 exec, exec, s[20:21]
	v_lshl_add_u32 v2, s7, 2, v0
	v_cmp_gt_i32_e32 vcc, s16, v2
	s_and_saveexec_b64 s[20:21], vcc
	s_cbranch_execz .LBB248_16
; %bb.12:
	s_lshl_b64 s[2:3], s[18:19], 1
	s_load_dword s19, s[4:5], 0x44
	s_add_u32 s18, s8, s2
	s_addc_u32 s23, s9, s3
	s_cmp_lg_u64 s[10:11], 0
	s_cselect_b64 s[2:3], -1, 0
	s_lshl_b32 s22, s7, 4
	s_waitcnt lgkmcnt(0)
	s_and_b32 s19, s19, 0xffff
	s_add_i32 s22, s22, 0
	v_cndmask_b32_e64 v3, 0, 1, s[2:3]
	s_mov_b64 s[8:9], 0
	v_lshl_add_u32 v6, v0, 2, s22
	s_lshl_b32 s22, s19, 2
	v_mov_b32_e32 v7, s23
	s_mov_b32 s23, 0xc2fc0000
	v_mov_b32_e32 v8, 0x42800000
	v_mov_b32_e32 v9, 0x1f800000
	v_cmp_ne_u32_e64 s[2:3], 1, v3
	s_branch .LBB248_14
.LBB248_13:                             ;   in Loop: Header=BB248_14 Depth=1
	v_add_u32_e32 v2, s19, v2
	v_cmp_le_i32_e32 vcc, s16, v2
	s_or_b64 s[8:9], vcc, s[8:9]
	v_add_u32_e32 v6, s22, v6
	s_andn2_b64 exec, exec, s[8:9]
	s_cbranch_execz .LBB248_16
.LBB248_14:                             ; =>This Inner Loop Header: Depth=1
	v_ashrrev_i32_e32 v3, 31, v2
	v_lshlrev_b64 v[4:5], 1, v[2:3]
	v_add_co_u32_e32 v10, vcc, s18, v4
	v_addc_co_u32_e32 v11, vcc, v7, v5, vcc
	global_load_ushort v3, v[10:11], off
	s_waitcnt vmcnt(0)
	v_lshlrev_b32_e32 v3, 16, v3
	v_mul_f32_e32 v10, 0xbfb8aa3b, v3
	v_cmp_gt_f32_e32 vcc, s23, v10
	v_cndmask_b32_e32 v10, 0, v8, vcc
	v_fmac_f32_e32 v10, 0xbfb8aa3b, v3
	v_exp_f32_e32 v3, v10
	v_cndmask_b32_e32 v10, 1.0, v9, vcc
	s_and_b64 vcc, exec, s[2:3]
	v_fma_f32 v3, v3, v10, 1.0
	v_rcp_f32_e32 v3, v3
	ds_write_b32 v6, v3
	s_cbranch_vccnz .LBB248_13
; %bb.15:                               ;   in Loop: Header=BB248_14 Depth=1
	v_mov_b32_e32 v10, s11
	v_add_co_u32_e32 v4, vcc, s10, v4
	v_addc_co_u32_e32 v5, vcc, v10, v5, vcc
	global_load_ushort v4, v[4:5], off
	s_waitcnt vmcnt(0)
	v_cvt_f32_f16_e32 v4, v4
	v_add_f32_e32 v3, v3, v4
	ds_write_b32 v6, v3
	s_branch .LBB248_13
.LBB248_16:
	s_or_b64 exec, exec, s[20:21]
	s_cmp_lt_i32 s17, 1
	s_waitcnt lgkmcnt(0)
	s_barrier
	s_cbranch_scc1 .LBB248_25
; %bb.17:
	s_add_u32 s2, s4, 56
	s_addc_u32 s3, s5, 0
	v_mbcnt_lo_u32_b32 v3, -1, 0
	s_cmp_lg_u64 s[10:11], 0
	v_mbcnt_hi_u32_b32 v3, -1, v3
	v_bfrev_b32_e32 v5, 0.5
	s_cselect_b64 s[8:9], -1, 0
	s_mov_b32 s16, 0
	v_mov_b32_e32 v2, 0
	v_mov_b32_e32 v4, 0
	v_lshl_or_b32 v5, v3, 2, v5
	v_mov_b32_e32 v6, 0xff800000
	v_mov_b32_e32 v3, 0
	s_branch .LBB248_19
.LBB248_18:                             ;   in Loop: Header=BB248_19 Depth=1
	s_lshl_b32 s19, s18, 2
	s_add_i32 s19, s19, 0
	v_mov_b32_e32 v7, s19
	ds_write_b32 v7, v6
	v_mov_b32_e32 v7, s18
	v_cmp_eq_u32_e32 vcc, s16, v0
	s_add_i32 s16, s16, 1
	v_cndmask_b32_e32 v2, v2, v7, vcc
	s_cmp_eq_u32 s16, s17
	v_cndmask_b32_e32 v3, v3, v9, vcc
	s_cbranch_scc1 .LBB248_26
.LBB248_19:                             ; =>This Loop Header: Depth=1
                                        ;     Child Loop BB248_21 Depth 2
	v_mov_b32_e32 v7, s16
	v_mov_b32_e32 v8, 0xff800000
	s_and_saveexec_b64 s[18:19], s[0:1]
	s_cbranch_execz .LBB248_23
; %bb.20:                               ;   in Loop: Header=BB248_19 Depth=1
	s_load_dword s22, s[2:3], 0xc
	s_mov_b64 s[20:21], 0
	v_mov_b32_e32 v7, s16
	v_mov_b32_e32 v8, 0xff800000
	;; [unrolled: 1-line block ×3, first 2 shown]
	s_waitcnt lgkmcnt(0)
	s_and_b32 s22, s22, 0xffff
	s_lshl_b32 s23, s22, 2
	s_lshl_b32 s24, s22, 4
	v_mov_b32_e32 v10, v1
	v_mov_b32_e32 v11, v0
.LBB248_21:                             ;   Parent Loop BB248_19 Depth=1
                                        ; =>  This Inner Loop Header: Depth=2
	ds_read_b128 v[14:17], v9
	v_add_u32_e32 v11, s22, v11
	v_cmp_le_i32_e32 vcc, s7, v11
	s_or_b64 s[20:21], vcc, s[20:21]
	v_add_u32_e32 v13, 1, v10
	s_waitcnt lgkmcnt(0)
	v_cmp_gt_f32_e32 vcc, v14, v8
	v_cndmask_b32_e32 v8, v8, v14, vcc
	v_cndmask_b32_e32 v7, v7, v10, vcc
	v_cmp_gt_f32_e32 vcc, v15, v8
	v_cndmask_b32_e32 v8, v8, v15, vcc
	v_cndmask_b32_e32 v7, v7, v13, vcc
	v_cmp_gt_f32_e32 vcc, v16, v8
	v_add_u32_e32 v18, 2, v10
	v_cndmask_b32_e32 v8, v8, v16, vcc
	v_add_u32_e32 v19, 3, v10
	v_cndmask_b32_e32 v7, v7, v18, vcc
	v_cmp_gt_f32_e32 vcc, v17, v8
	v_add_u32_e32 v9, s24, v9
	v_add_u32_e32 v10, s23, v10
	v_cndmask_b32_e32 v8, v8, v17, vcc
	v_cndmask_b32_e32 v7, v7, v19, vcc
	s_andn2_b64 exec, exec, s[20:21]
	s_cbranch_execnz .LBB248_21
; %bb.22:                               ;   in Loop: Header=BB248_19 Depth=1
	s_or_b64 exec, exec, s[20:21]
.LBB248_23:                             ;   in Loop: Header=BB248_19 Depth=1
	s_or_b64 exec, exec, s[18:19]
	;;#ASMSTART
	v_max_f32 v9, v8, v8 quad_perm:[1,0,3,2] row_mask:0xf bank_mask:0xf bound_ctrl:1
	;;#ASMEND
	;;#ASMSTART
	v_max_f32 v10, v9, v9 quad_perm:[2,3,0,1] row_mask:0xf bank_mask:0xf bound_ctrl:1
	;;#ASMEND
	;;#ASMSTART
	v_max_f32 v9, v10, v10 row_half_mirror row_mask:0xf bank_mask:0xf bound_ctrl:1
	;;#ASMEND
	;;#ASMSTART
	v_max_f32 v10, v9, v9 row_mirror row_mask:0xf bank_mask:0xf bound_ctrl:1
	;;#ASMEND
	;;#ASMSTART
	v_max_f32 v9, v10, v10 row_ror:4 row_mask:0xf bank_mask:0xf bound_ctrl:1
	;;#ASMEND
	;;#ASMSTART
	v_max_f32 v10, v9, v9 row_ror:8 row_mask:0xf bank_mask:0xf bound_ctrl:1
	;;#ASMEND
	;;#ASMSTART
	v_max_f32 v9, v10, v10 row_bcast:15 row_mask:0xf bank_mask:0xf bound_ctrl:1
	;;#ASMEND
	;;#ASMSTART
	v_max_f32 v10, v9, v9 row_bcast:31 row_mask:0xf bank_mask:0xf bound_ctrl:1
	;;#ASMEND
	ds_bpermute_b32 v9, v5, v10
	s_waitcnt lgkmcnt(0)
	v_cmp_eq_f32_e32 vcc, v8, v9
	s_ff1_i32_b64 s18, vcc
	s_cmp_lg_u64 vcc, 0
	s_cselect_b32 s18, s18, 0
	s_and_b64 vcc, exec, s[8:9]
	v_readlane_b32 s18, v7, s18
	s_cbranch_vccz .LBB248_18
; %bb.24:                               ;   in Loop: Header=BB248_19 Depth=1
	s_ashr_i32 s19, s18, 31
	s_lshl_b64 s[20:21], s[18:19], 1
	s_add_u32 s20, s10, s20
	s_addc_u32 s21, s11, s21
	global_load_ushort v7, v4, s[20:21]
	s_waitcnt vmcnt(0)
	v_cvt_f32_f16_e32 v7, v7
	v_sub_f32_e32 v9, v9, v7
	s_branch .LBB248_18
.LBB248_25:
	v_mov_b32_e32 v3, 0
	v_mov_b32_e32 v2, 0
.LBB248_26:
	v_cmp_gt_i32_e32 vcc, s17, v0
	s_and_saveexec_b64 s[0:1], vcc
	s_cbranch_execz .LBB248_29
; %bb.27:
	s_load_dword s2, s[4:5], 0x34
	s_load_dwordx2 s[0:1], s[4:5], 0x20
	s_ashr_i32 s3, s6, 31
	s_load_dword s4, s[4:5], 0x44
	v_mov_b32_e32 v4, s13
	s_waitcnt lgkmcnt(0)
	v_mul_f32_e32 v1, s2, v3
	s_mul_i32 s1, s6, s1
	s_mul_hi_u32 s2, s6, s0
	s_add_i32 s1, s2, s1
	s_mul_i32 s3, s3, s0
	s_add_i32 s5, s1, s3
	s_mul_i32 s2, s6, s0
	s_and_b32 s3, s4, 0xffff
	s_mov_b64 s[0:1], 0
	v_mov_b32_e32 v3, s5
	v_mov_b32_e32 v5, s15
.LBB248_28:                             ; =>This Inner Loop Header: Depth=1
	v_ashrrev_i32_e32 v7, 31, v0
	v_add_co_u32_e32 v6, vcc, s2, v0
	v_addc_co_u32_e32 v7, vcc, v3, v7, vcc
	v_add_u32_e32 v0, s3, v0
	v_cmp_le_i32_e32 vcc, s17, v0
	v_lshlrev_b64 v[6:7], 2, v[6:7]
	s_or_b64 s[0:1], vcc, s[0:1]
	v_add_co_u32_e32 v8, vcc, s12, v6
	v_addc_co_u32_e32 v9, vcc, v4, v7, vcc
	v_add_co_u32_e32 v6, vcc, s14, v6
	v_addc_co_u32_e32 v7, vcc, v5, v7, vcc
	global_store_dword v[8:9], v1, off
	global_store_dword v[6:7], v2, off
	s_andn2_b64 exec, exec, s[0:1]
	s_cbranch_execnz .LBB248_28
.LBB248_29:
	s_endpgm
	.section	.rodata,"a",@progbits
	.p2align	6, 0x0
	.amdhsa_kernel _ZN5aiter20topk_softplus_kernelI12hip_bfloat166__halfDv4_fLb0ELi1EEEvPKT_PKT0_PfPimiiif
		.amdhsa_group_segment_fixed_size 0
		.amdhsa_private_segment_fixed_size 0
		.amdhsa_kernarg_size 312
		.amdhsa_user_sgpr_count 6
		.amdhsa_user_sgpr_private_segment_buffer 1
		.amdhsa_user_sgpr_dispatch_ptr 0
		.amdhsa_user_sgpr_queue_ptr 0
		.amdhsa_user_sgpr_kernarg_segment_ptr 1
		.amdhsa_user_sgpr_dispatch_id 0
		.amdhsa_user_sgpr_flat_scratch_init 0
		.amdhsa_user_sgpr_kernarg_preload_length 0
		.amdhsa_user_sgpr_kernarg_preload_offset 0
		.amdhsa_user_sgpr_private_segment_size 0
		.amdhsa_uses_dynamic_stack 0
		.amdhsa_system_sgpr_private_segment_wavefront_offset 0
		.amdhsa_system_sgpr_workgroup_id_x 1
		.amdhsa_system_sgpr_workgroup_id_y 0
		.amdhsa_system_sgpr_workgroup_id_z 0
		.amdhsa_system_sgpr_workgroup_info 0
		.amdhsa_system_vgpr_workitem_id 0
		.amdhsa_next_free_vgpr 20
		.amdhsa_next_free_sgpr 37
		.amdhsa_accum_offset 20
		.amdhsa_reserve_vcc 1
		.amdhsa_reserve_flat_scratch 0
		.amdhsa_float_round_mode_32 0
		.amdhsa_float_round_mode_16_64 0
		.amdhsa_float_denorm_mode_32 3
		.amdhsa_float_denorm_mode_16_64 3
		.amdhsa_dx10_clamp 1
		.amdhsa_ieee_mode 1
		.amdhsa_fp16_overflow 0
		.amdhsa_tg_split 0
		.amdhsa_exception_fp_ieee_invalid_op 0
		.amdhsa_exception_fp_denorm_src 0
		.amdhsa_exception_fp_ieee_div_zero 0
		.amdhsa_exception_fp_ieee_overflow 0
		.amdhsa_exception_fp_ieee_underflow 0
		.amdhsa_exception_fp_ieee_inexact 0
		.amdhsa_exception_int_div_zero 0
	.end_amdhsa_kernel
	.section	.text._ZN5aiter20topk_softplus_kernelI12hip_bfloat166__halfDv4_fLb0ELi1EEEvPKT_PKT0_PfPimiiif,"axG",@progbits,_ZN5aiter20topk_softplus_kernelI12hip_bfloat166__halfDv4_fLb0ELi1EEEvPKT_PKT0_PfPimiiif,comdat
.Lfunc_end248:
	.size	_ZN5aiter20topk_softplus_kernelI12hip_bfloat166__halfDv4_fLb0ELi1EEEvPKT_PKT0_PfPimiiif, .Lfunc_end248-_ZN5aiter20topk_softplus_kernelI12hip_bfloat166__halfDv4_fLb0ELi1EEEvPKT_PKT0_PfPimiiif
                                        ; -- End function
	.section	.AMDGPU.csdata,"",@progbits
; Kernel info:
; codeLenInByte = 1628
; NumSgprs: 41
; NumVgprs: 20
; NumAgprs: 0
; TotalNumVgprs: 20
; ScratchSize: 0
; MemoryBound: 0
; FloatMode: 240
; IeeeMode: 1
; LDSByteSize: 0 bytes/workgroup (compile time only)
; SGPRBlocks: 5
; VGPRBlocks: 2
; NumSGPRsForWavesPerEU: 41
; NumVGPRsForWavesPerEU: 20
; AccumOffset: 20
; Occupancy: 8
; WaveLimiterHint : 0
; COMPUTE_PGM_RSRC2:SCRATCH_EN: 0
; COMPUTE_PGM_RSRC2:USER_SGPR: 6
; COMPUTE_PGM_RSRC2:TRAP_HANDLER: 0
; COMPUTE_PGM_RSRC2:TGID_X_EN: 1
; COMPUTE_PGM_RSRC2:TGID_Y_EN: 0
; COMPUTE_PGM_RSRC2:TGID_Z_EN: 0
; COMPUTE_PGM_RSRC2:TIDIG_COMP_CNT: 0
; COMPUTE_PGM_RSRC3_GFX90A:ACCUM_OFFSET: 4
; COMPUTE_PGM_RSRC3_GFX90A:TG_SPLIT: 0
	.section	.text._ZN5aiter20topk_softplus_kernelI12hip_bfloat166__halfDv2_fLb1ELi1EEEvPKT_PKT0_PfPimiiif,"axG",@progbits,_ZN5aiter20topk_softplus_kernelI12hip_bfloat166__halfDv2_fLb1ELi1EEEvPKT_PKT0_PfPimiiif,comdat
	.protected	_ZN5aiter20topk_softplus_kernelI12hip_bfloat166__halfDv2_fLb1ELi1EEEvPKT_PKT0_PfPimiiif ; -- Begin function _ZN5aiter20topk_softplus_kernelI12hip_bfloat166__halfDv2_fLb1ELi1EEEvPKT_PKT0_PfPimiiif
	.globl	_ZN5aiter20topk_softplus_kernelI12hip_bfloat166__halfDv2_fLb1ELi1EEEvPKT_PKT0_PfPimiiif
	.p2align	8
	.type	_ZN5aiter20topk_softplus_kernelI12hip_bfloat166__halfDv2_fLb1ELi1EEEvPKT_PKT0_PfPimiiif,@function
_ZN5aiter20topk_softplus_kernelI12hip_bfloat166__halfDv2_fLb1ELi1EEEvPKT_PKT0_PfPimiiif: ; @_ZN5aiter20topk_softplus_kernelI12hip_bfloat166__halfDv2_fLb1ELi1EEEvPKT_PKT0_PfPimiiif
; %bb.0:
	s_load_dwordx2 s[16:17], s[4:5], 0x28
	s_load_dwordx8 s[8:15], s[4:5], 0x0
	v_lshl_add_u32 v6, v0, 3, 0
	s_waitcnt lgkmcnt(0)
	s_lshr_b32 s1, s16, 31
	s_mul_i32 s0, s6, s16
	s_add_i32 s1, s16, s1
	s_ashr_i32 s7, s1, 1
	s_ashr_i32 s1, s0, 31
	s_lshl_b64 s[0:1], s[0:1], 1
	s_add_u32 s20, s8, s0
	s_addc_u32 s21, s9, s1
	v_cmp_gt_i32_e64 s[0:1], s7, v0
	s_and_saveexec_b64 s[8:9], s[0:1]
	s_cbranch_execz .LBB249_7
; %bb.1:
	s_load_dword s22, s[4:5], 0x44
	s_cmp_lg_u64 s[10:11], 0
	s_cselect_b64 s[2:3], -1, 0
	s_mov_b32 s26, 0
	v_cndmask_b32_e64 v4, 0, 1, s[2:3]
	s_waitcnt lgkmcnt(0)
	s_and_b32 s22, s22, 0xffff
	s_mov_b64 s[18:19], 0
	v_lshlrev_b32_e32 v2, 2, v0
	v_mov_b32_e32 v1, 0
	s_lshl_b32 s23, s22, 2
	v_lshl_add_u32 v3, v0, 3, 0
	s_lshl_b32 s24, s22, 3
	v_mov_b32_e32 v7, s21
	s_mov_b32 s25, 0xc2fc0000
	v_mov_b32_e32 v8, 0x42800000
	v_mov_b32_e32 v9, 0x1f800000
	v_cmp_ne_u32_e64 s[2:3], 1, v4
	v_mov_b32_e32 v10, s26
	v_mov_b32_e32 v11, v0
	s_branch .LBB249_3
.LBB249_2:                              ;   in Loop: Header=BB249_3 Depth=1
	v_add_co_u32_e32 v2, vcc, s23, v2
	v_add_u32_e32 v11, s22, v11
	v_addc_co_u32_e32 v1, vcc, v1, v10, vcc
	v_cmp_le_i32_e32 vcc, s7, v11
	ds_write_b64 v3, v[4:5]
	s_or_b64 s[18:19], vcc, s[18:19]
	v_add_u32_e32 v3, s24, v3
	s_andn2_b64 exec, exec, s[18:19]
	s_cbranch_execz .LBB249_7
.LBB249_3:                              ; =>This Inner Loop Header: Depth=1
	v_add_co_u32_e32 v4, vcc, s20, v2
	v_addc_co_u32_e32 v5, vcc, v7, v1, vcc
	global_load_dword v5, v[4:5], off
	s_waitcnt vmcnt(0)
	v_cvt_f32_u32_sdwa v4, v5 dst_sel:DWORD dst_unused:UNUSED_PAD src0_sel:WORD_0
	v_mul_f32_e32 v12, 0xbfb8aa3b, v4
	v_cmp_gt_f32_e32 vcc, s25, v12
	v_cndmask_b32_e32 v12, 0, v8, vcc
	v_fmac_f32_e32 v12, 0xbfb8aa3b, v4
	v_exp_f32_e32 v4, v12
	v_cndmask_b32_e32 v12, 1.0, v9, vcc
	s_and_b64 vcc, exec, s[2:3]
	v_fma_f32 v4, v4, v12, 1.0
	v_rcp_f32_e32 v4, v4
	s_cbranch_vccnz .LBB249_5
; %bb.4:                                ;   in Loop: Header=BB249_3 Depth=1
	v_mov_b32_e32 v13, s11
	v_add_co_u32_e32 v12, vcc, s10, v2
	v_addc_co_u32_e32 v13, vcc, v13, v1, vcc
	global_load_ushort v12, v[12:13], off
	s_waitcnt vmcnt(0)
	v_cvt_f32_f16_e32 v12, v12
	v_add_f32_e32 v4, v4, v12
.LBB249_5:                              ;   in Loop: Header=BB249_3 Depth=1
	v_cvt_f32_u32_sdwa v5, v5 dst_sel:DWORD dst_unused:UNUSED_PAD src0_sel:WORD_1
	v_mul_f32_e32 v12, 0xbfb8aa3b, v5
	v_cmp_gt_f32_e32 vcc, s25, v12
	v_cndmask_b32_e32 v12, 0, v8, vcc
	v_fmac_f32_e32 v12, 0xbfb8aa3b, v5
	v_exp_f32_e32 v5, v12
	v_cndmask_b32_e32 v12, 1.0, v9, vcc
	s_and_b64 vcc, exec, s[2:3]
	v_fma_f32 v5, v5, v12, 1.0
	v_rcp_f32_e32 v5, v5
	s_cbranch_vccnz .LBB249_2
; %bb.6:                                ;   in Loop: Header=BB249_3 Depth=1
	v_mov_b32_e32 v13, s11
	v_add_co_u32_e32 v12, vcc, s10, v2
	v_addc_co_u32_e32 v13, vcc, v13, v1, vcc
	global_load_ushort v12, v[12:13], off offset:2
	s_waitcnt vmcnt(0)
	v_cvt_f32_f16_e32 v12, v12
	v_add_f32_e32 v5, v5, v12
	s_branch .LBB249_2
.LBB249_7:
	s_or_b64 exec, exec, s[8:9]
	v_lshl_add_u32 v2, s7, 1, v0
	v_cmp_gt_i32_e32 vcc, s16, v2
	s_and_saveexec_b64 s[8:9], vcc
	s_cbranch_execz .LBB249_12
; %bb.8:
	s_load_dword s22, s[4:5], 0x44
	s_cmp_lg_u64 s[10:11], 0
	s_cselect_b64 s[2:3], -1, 0
	s_lshl_b32 s23, s7, 3
	s_add_i32 s23, s23, 0
	s_waitcnt lgkmcnt(0)
	s_and_b32 s22, s22, 0xffff
	v_cndmask_b32_e64 v3, 0, 1, s[2:3]
	s_mov_b64 s[18:19], 0
	v_lshl_add_u32 v1, v0, 2, s23
	s_lshl_b32 s23, s22, 2
	v_mov_b32_e32 v7, s21
	s_mov_b32 s21, 0xc2fc0000
	v_mov_b32_e32 v8, 0x42800000
	v_mov_b32_e32 v9, 0x1f800000
	v_cmp_ne_u32_e64 s[2:3], 1, v3
	s_branch .LBB249_10
.LBB249_9:                              ;   in Loop: Header=BB249_10 Depth=1
	v_add_u32_e32 v2, s22, v2
	v_cmp_le_i32_e32 vcc, s16, v2
	s_or_b64 s[18:19], vcc, s[18:19]
	v_add_u32_e32 v1, s23, v1
	s_andn2_b64 exec, exec, s[18:19]
	s_cbranch_execz .LBB249_12
.LBB249_10:                             ; =>This Inner Loop Header: Depth=1
	v_ashrrev_i32_e32 v3, 31, v2
	v_lshlrev_b64 v[4:5], 1, v[2:3]
	v_add_co_u32_e32 v10, vcc, s20, v4
	v_addc_co_u32_e32 v11, vcc, v7, v5, vcc
	global_load_ushort v3, v[10:11], off
	s_waitcnt vmcnt(0)
	v_lshlrev_b32_e32 v3, 16, v3
	v_mul_f32_e32 v10, 0xbfb8aa3b, v3
	v_cmp_gt_f32_e32 vcc, s21, v10
	v_cndmask_b32_e32 v10, 0, v8, vcc
	v_fmac_f32_e32 v10, 0xbfb8aa3b, v3
	v_exp_f32_e32 v3, v10
	v_cndmask_b32_e32 v10, 1.0, v9, vcc
	s_and_b64 vcc, exec, s[2:3]
	v_fma_f32 v3, v3, v10, 1.0
	v_rcp_f32_e32 v3, v3
	ds_write_b32 v1, v3
	s_cbranch_vccnz .LBB249_9
; %bb.11:                               ;   in Loop: Header=BB249_10 Depth=1
	v_mov_b32_e32 v10, s11
	v_add_co_u32_e32 v4, vcc, s10, v4
	v_addc_co_u32_e32 v5, vcc, v10, v5, vcc
	global_load_ushort v4, v[4:5], off
	s_waitcnt vmcnt(0)
	v_cvt_f32_f16_e32 v4, v4
	v_add_f32_e32 v3, v3, v4
	ds_write_b32 v1, v3
	s_branch .LBB249_9
.LBB249_12:
	s_or_b64 exec, exec, s[8:9]
	s_cmp_lt_i32 s17, 1
	v_mov_b32_e32 v2, 0
	s_waitcnt lgkmcnt(0)
	s_barrier
	s_cbranch_scc1 .LBB249_21
; %bb.13:
	s_add_u32 s2, s4, 56
	s_addc_u32 s3, s5, 0
	v_mbcnt_lo_u32_b32 v1, -1, 0
	s_cmp_lg_u64 s[10:11], 0
	v_mbcnt_hi_u32_b32 v1, -1, v1
	v_bfrev_b32_e32 v3, 0.5
	s_cselect_b64 s[8:9], -1, 0
	v_lshlrev_b32_e32 v4, 1, v0
	s_mov_b32 s16, 0
	v_mov_b32_e32 v2, 0
	v_lshl_or_b32 v5, v1, 2, v3
	v_mov_b32_e32 v7, 0
	v_mov_b32_e32 v8, 0xff800000
	;; [unrolled: 1-line block ×4, first 2 shown]
	s_branch .LBB249_15
.LBB249_14:                             ;   in Loop: Header=BB249_15 Depth=1
	s_lshl_b32 s19, s18, 2
	s_add_i32 s19, s19, 0
	v_mov_b32_e32 v9, s19
	ds_write_b32 v9, v8
	v_mov_b32_e32 v9, s18
	v_cmp_eq_u32_e32 vcc, s16, v0
	s_add_i32 s16, s16, 1
	v_cndmask_b32_e32 v1, v1, v9, vcc
	v_cndmask_b32_e32 v2, v2, v11, vcc
	s_cmp_eq_u32 s16, s17
	v_add_f32_e32 v3, v3, v11
	s_cbranch_scc1 .LBB249_22
.LBB249_15:                             ; =>This Loop Header: Depth=1
                                        ;     Child Loop BB249_17 Depth 2
	v_mov_b32_e32 v9, s16
	v_mov_b32_e32 v10, 0xff800000
	s_and_saveexec_b64 s[18:19], s[0:1]
	s_cbranch_execz .LBB249_19
; %bb.16:                               ;   in Loop: Header=BB249_15 Depth=1
	s_load_dword s22, s[2:3], 0xc
	s_mov_b64 s[20:21], 0
	v_mov_b32_e32 v9, s16
	v_mov_b32_e32 v10, 0xff800000
	;; [unrolled: 1-line block ×3, first 2 shown]
	s_waitcnt lgkmcnt(0)
	s_and_b32 s22, s22, 0xffff
	s_lshl_b32 s23, s22, 1
	s_lshl_b32 s24, s22, 3
	v_mov_b32_e32 v12, v4
	v_mov_b32_e32 v13, v0
.LBB249_17:                             ;   Parent Loop BB249_15 Depth=1
                                        ; =>  This Inner Loop Header: Depth=2
	ds_read_b64 v[14:15], v11
	v_add_u32_e32 v13, s22, v13
	v_cmp_le_i32_e32 vcc, s7, v13
	s_or_b64 s[20:21], vcc, s[20:21]
	v_add_u32_e32 v16, 1, v12
	s_waitcnt lgkmcnt(0)
	v_cmp_gt_f32_e32 vcc, v14, v10
	v_cndmask_b32_e32 v10, v10, v14, vcc
	v_cndmask_b32_e32 v9, v9, v12, vcc
	v_cmp_gt_f32_e32 vcc, v15, v10
	v_add_u32_e32 v11, s24, v11
	v_cndmask_b32_e32 v10, v10, v15, vcc
	v_add_u32_e32 v12, s23, v12
	v_cndmask_b32_e32 v9, v9, v16, vcc
	s_andn2_b64 exec, exec, s[20:21]
	s_cbranch_execnz .LBB249_17
; %bb.18:                               ;   in Loop: Header=BB249_15 Depth=1
	s_or_b64 exec, exec, s[20:21]
.LBB249_19:                             ;   in Loop: Header=BB249_15 Depth=1
	s_or_b64 exec, exec, s[18:19]
	;;#ASMSTART
	v_max_f32 v11, v10, v10 quad_perm:[1,0,3,2] row_mask:0xf bank_mask:0xf bound_ctrl:1
	;;#ASMEND
	;;#ASMSTART
	v_max_f32 v12, v11, v11 quad_perm:[2,3,0,1] row_mask:0xf bank_mask:0xf bound_ctrl:1
	;;#ASMEND
	;;#ASMSTART
	v_max_f32 v11, v12, v12 row_half_mirror row_mask:0xf bank_mask:0xf bound_ctrl:1
	;;#ASMEND
	;;#ASMSTART
	v_max_f32 v12, v11, v11 row_mirror row_mask:0xf bank_mask:0xf bound_ctrl:1
	;;#ASMEND
	;;#ASMSTART
	v_max_f32 v11, v12, v12 row_ror:4 row_mask:0xf bank_mask:0xf bound_ctrl:1
	;;#ASMEND
	;;#ASMSTART
	v_max_f32 v12, v11, v11 row_ror:8 row_mask:0xf bank_mask:0xf bound_ctrl:1
	;;#ASMEND
	;;#ASMSTART
	v_max_f32 v11, v12, v12 row_bcast:15 row_mask:0xf bank_mask:0xf bound_ctrl:1
	;;#ASMEND
	;;#ASMSTART
	v_max_f32 v12, v11, v11 row_bcast:31 row_mask:0xf bank_mask:0xf bound_ctrl:1
	;;#ASMEND
	ds_bpermute_b32 v11, v5, v12
	s_waitcnt lgkmcnt(0)
	v_cmp_eq_f32_e32 vcc, v10, v11
	s_ff1_i32_b64 s18, vcc
	s_cmp_lg_u64 vcc, 0
	s_cselect_b32 s18, s18, 0
	s_and_b64 vcc, exec, s[8:9]
	v_readlane_b32 s18, v9, s18
	s_cbranch_vccz .LBB249_14
; %bb.20:                               ;   in Loop: Header=BB249_15 Depth=1
	s_ashr_i32 s19, s18, 31
	s_lshl_b64 s[20:21], s[18:19], 1
	s_add_u32 s20, s10, s20
	s_addc_u32 s21, s11, s21
	global_load_ushort v9, v7, s[20:21]
	s_waitcnt vmcnt(0)
	v_cvt_f32_f16_e32 v9, v9
	v_sub_f32_e32 v11, v11, v9
	s_branch .LBB249_14
.LBB249_21:
	v_mov_b32_e32 v1, 0
	v_mov_b32_e32 v3, 0
.LBB249_22:
	v_cmp_gt_i32_e32 vcc, s17, v0
	s_and_saveexec_b64 s[0:1], vcc
	s_cbranch_execz .LBB249_25
; %bb.23:
	s_load_dword s2, s[4:5], 0x34
	v_max_f32_e32 v3, v3, v3
	v_max_f32_e32 v3, 0x1e3ce508, v3
	s_load_dword s3, s[4:5], 0x44
	s_waitcnt lgkmcnt(0)
	v_div_scale_f32 v4, s[0:1], v3, v3, s2
	s_load_dwordx2 s[0:1], s[4:5], 0x20
	v_rcp_f32_e32 v5, v4
	v_div_scale_f32 v6, vcc, s2, v3, s2
	s_and_b32 s3, s3, 0xffff
	v_fma_f32 v7, -v4, v5, 1.0
	v_fmac_f32_e32 v5, v7, v5
	v_mul_f32_e32 v7, v6, v5
	v_fma_f32 v8, -v4, v7, v6
	v_fmac_f32_e32 v7, v8, v5
	v_fma_f32 v4, -v4, v7, v6
	v_div_fmas_f32 v4, v4, v5, v7
	v_div_fixup_f32 v3, v4, v3, s2
	s_ashr_i32 s2, s6, 31
	s_waitcnt lgkmcnt(0)
	s_mul_i32 s1, s6, s1
	s_mul_hi_u32 s4, s6, s0
	s_add_i32 s1, s4, s1
	s_mul_i32 s2, s2, s0
	s_add_i32 s4, s1, s2
	v_mul_f32_e32 v2, v2, v3
	s_mul_i32 s2, s6, s0
	s_mov_b64 s[0:1], 0
	v_mov_b32_e32 v3, s4
	v_mov_b32_e32 v4, s13
	;; [unrolled: 1-line block ×3, first 2 shown]
.LBB249_24:                             ; =>This Inner Loop Header: Depth=1
	v_ashrrev_i32_e32 v7, 31, v0
	v_add_co_u32_e32 v6, vcc, s2, v0
	v_addc_co_u32_e32 v7, vcc, v3, v7, vcc
	v_add_u32_e32 v0, s3, v0
	v_cmp_le_i32_e32 vcc, s17, v0
	v_lshlrev_b64 v[6:7], 2, v[6:7]
	s_or_b64 s[0:1], vcc, s[0:1]
	v_add_co_u32_e32 v8, vcc, s12, v6
	v_addc_co_u32_e32 v9, vcc, v4, v7, vcc
	v_add_co_u32_e32 v6, vcc, s14, v6
	v_addc_co_u32_e32 v7, vcc, v5, v7, vcc
	global_store_dword v[8:9], v2, off
	global_store_dword v[6:7], v1, off
	s_andn2_b64 exec, exec, s[0:1]
	s_cbranch_execnz .LBB249_24
.LBB249_25:
	s_endpgm
	.section	.rodata,"a",@progbits
	.p2align	6, 0x0
	.amdhsa_kernel _ZN5aiter20topk_softplus_kernelI12hip_bfloat166__halfDv2_fLb1ELi1EEEvPKT_PKT0_PfPimiiif
		.amdhsa_group_segment_fixed_size 0
		.amdhsa_private_segment_fixed_size 0
		.amdhsa_kernarg_size 312
		.amdhsa_user_sgpr_count 6
		.amdhsa_user_sgpr_private_segment_buffer 1
		.amdhsa_user_sgpr_dispatch_ptr 0
		.amdhsa_user_sgpr_queue_ptr 0
		.amdhsa_user_sgpr_kernarg_segment_ptr 1
		.amdhsa_user_sgpr_dispatch_id 0
		.amdhsa_user_sgpr_flat_scratch_init 0
		.amdhsa_user_sgpr_kernarg_preload_length 0
		.amdhsa_user_sgpr_kernarg_preload_offset 0
		.amdhsa_user_sgpr_private_segment_size 0
		.amdhsa_uses_dynamic_stack 0
		.amdhsa_system_sgpr_private_segment_wavefront_offset 0
		.amdhsa_system_sgpr_workgroup_id_x 1
		.amdhsa_system_sgpr_workgroup_id_y 0
		.amdhsa_system_sgpr_workgroup_id_z 0
		.amdhsa_system_sgpr_workgroup_info 0
		.amdhsa_system_vgpr_workitem_id 0
		.amdhsa_next_free_vgpr 17
		.amdhsa_next_free_sgpr 27
		.amdhsa_accum_offset 20
		.amdhsa_reserve_vcc 1
		.amdhsa_reserve_flat_scratch 0
		.amdhsa_float_round_mode_32 0
		.amdhsa_float_round_mode_16_64 0
		.amdhsa_float_denorm_mode_32 3
		.amdhsa_float_denorm_mode_16_64 3
		.amdhsa_dx10_clamp 1
		.amdhsa_ieee_mode 1
		.amdhsa_fp16_overflow 0
		.amdhsa_tg_split 0
		.amdhsa_exception_fp_ieee_invalid_op 0
		.amdhsa_exception_fp_denorm_src 0
		.amdhsa_exception_fp_ieee_div_zero 0
		.amdhsa_exception_fp_ieee_overflow 0
		.amdhsa_exception_fp_ieee_underflow 0
		.amdhsa_exception_fp_ieee_inexact 0
		.amdhsa_exception_int_div_zero 0
	.end_amdhsa_kernel
	.section	.text._ZN5aiter20topk_softplus_kernelI12hip_bfloat166__halfDv2_fLb1ELi1EEEvPKT_PKT0_PfPimiiif,"axG",@progbits,_ZN5aiter20topk_softplus_kernelI12hip_bfloat166__halfDv2_fLb1ELi1EEEvPKT_PKT0_PfPimiiif,comdat
.Lfunc_end249:
	.size	_ZN5aiter20topk_softplus_kernelI12hip_bfloat166__halfDv2_fLb1ELi1EEEvPKT_PKT0_PfPimiiif, .Lfunc_end249-_ZN5aiter20topk_softplus_kernelI12hip_bfloat166__halfDv2_fLb1ELi1EEEvPKT_PKT0_PfPimiiif
                                        ; -- End function
	.section	.AMDGPU.csdata,"",@progbits
; Kernel info:
; codeLenInByte = 1452
; NumSgprs: 31
; NumVgprs: 17
; NumAgprs: 0
; TotalNumVgprs: 17
; ScratchSize: 0
; MemoryBound: 0
; FloatMode: 240
; IeeeMode: 1
; LDSByteSize: 0 bytes/workgroup (compile time only)
; SGPRBlocks: 3
; VGPRBlocks: 2
; NumSGPRsForWavesPerEU: 31
; NumVGPRsForWavesPerEU: 17
; AccumOffset: 20
; Occupancy: 8
; WaveLimiterHint : 0
; COMPUTE_PGM_RSRC2:SCRATCH_EN: 0
; COMPUTE_PGM_RSRC2:USER_SGPR: 6
; COMPUTE_PGM_RSRC2:TRAP_HANDLER: 0
; COMPUTE_PGM_RSRC2:TGID_X_EN: 1
; COMPUTE_PGM_RSRC2:TGID_Y_EN: 0
; COMPUTE_PGM_RSRC2:TGID_Z_EN: 0
; COMPUTE_PGM_RSRC2:TIDIG_COMP_CNT: 0
; COMPUTE_PGM_RSRC3_GFX90A:ACCUM_OFFSET: 4
; COMPUTE_PGM_RSRC3_GFX90A:TG_SPLIT: 0
	.section	.text._ZN5aiter20topk_softplus_kernelI12hip_bfloat166__halfDv2_fLb0ELi1EEEvPKT_PKT0_PfPimiiif,"axG",@progbits,_ZN5aiter20topk_softplus_kernelI12hip_bfloat166__halfDv2_fLb0ELi1EEEvPKT_PKT0_PfPimiiif,comdat
	.protected	_ZN5aiter20topk_softplus_kernelI12hip_bfloat166__halfDv2_fLb0ELi1EEEvPKT_PKT0_PfPimiiif ; -- Begin function _ZN5aiter20topk_softplus_kernelI12hip_bfloat166__halfDv2_fLb0ELi1EEEvPKT_PKT0_PfPimiiif
	.globl	_ZN5aiter20topk_softplus_kernelI12hip_bfloat166__halfDv2_fLb0ELi1EEEvPKT_PKT0_PfPimiiif
	.p2align	8
	.type	_ZN5aiter20topk_softplus_kernelI12hip_bfloat166__halfDv2_fLb0ELi1EEEvPKT_PKT0_PfPimiiif,@function
_ZN5aiter20topk_softplus_kernelI12hip_bfloat166__halfDv2_fLb0ELi1EEEvPKT_PKT0_PfPimiiif: ; @_ZN5aiter20topk_softplus_kernelI12hip_bfloat166__halfDv2_fLb0ELi1EEEvPKT_PKT0_PfPimiiif
; %bb.0:
	s_load_dwordx2 s[16:17], s[4:5], 0x28
	s_load_dwordx8 s[8:15], s[4:5], 0x0
	v_lshl_add_u32 v6, v0, 3, 0
	s_waitcnt lgkmcnt(0)
	s_lshr_b32 s1, s16, 31
	s_mul_i32 s0, s6, s16
	s_add_i32 s1, s16, s1
	s_ashr_i32 s7, s1, 1
	s_ashr_i32 s1, s0, 31
	s_lshl_b64 s[0:1], s[0:1], 1
	s_add_u32 s20, s8, s0
	s_addc_u32 s21, s9, s1
	v_cmp_gt_i32_e64 s[0:1], s7, v0
	s_and_saveexec_b64 s[8:9], s[0:1]
	s_cbranch_execz .LBB250_7
; %bb.1:
	s_load_dword s22, s[4:5], 0x44
	s_cmp_lg_u64 s[10:11], 0
	s_cselect_b64 s[2:3], -1, 0
	s_mov_b32 s26, 0
	v_cndmask_b32_e64 v4, 0, 1, s[2:3]
	s_waitcnt lgkmcnt(0)
	s_and_b32 s22, s22, 0xffff
	s_mov_b64 s[18:19], 0
	v_lshlrev_b32_e32 v2, 2, v0
	v_mov_b32_e32 v1, 0
	s_lshl_b32 s23, s22, 2
	v_lshl_add_u32 v3, v0, 3, 0
	s_lshl_b32 s24, s22, 3
	v_mov_b32_e32 v7, s21
	s_mov_b32 s25, 0xc2fc0000
	v_mov_b32_e32 v8, 0x42800000
	v_mov_b32_e32 v9, 0x1f800000
	v_cmp_ne_u32_e64 s[2:3], 1, v4
	v_mov_b32_e32 v10, s26
	v_mov_b32_e32 v11, v0
	s_branch .LBB250_3
.LBB250_2:                              ;   in Loop: Header=BB250_3 Depth=1
	v_add_co_u32_e32 v2, vcc, s23, v2
	v_add_u32_e32 v11, s22, v11
	v_addc_co_u32_e32 v1, vcc, v1, v10, vcc
	v_cmp_le_i32_e32 vcc, s7, v11
	ds_write_b64 v3, v[4:5]
	s_or_b64 s[18:19], vcc, s[18:19]
	v_add_u32_e32 v3, s24, v3
	s_andn2_b64 exec, exec, s[18:19]
	s_cbranch_execz .LBB250_7
.LBB250_3:                              ; =>This Inner Loop Header: Depth=1
	v_add_co_u32_e32 v4, vcc, s20, v2
	v_addc_co_u32_e32 v5, vcc, v7, v1, vcc
	global_load_dword v5, v[4:5], off
	s_waitcnt vmcnt(0)
	v_cvt_f32_u32_sdwa v4, v5 dst_sel:DWORD dst_unused:UNUSED_PAD src0_sel:WORD_0
	v_mul_f32_e32 v12, 0xbfb8aa3b, v4
	v_cmp_gt_f32_e32 vcc, s25, v12
	v_cndmask_b32_e32 v12, 0, v8, vcc
	v_fmac_f32_e32 v12, 0xbfb8aa3b, v4
	v_exp_f32_e32 v4, v12
	v_cndmask_b32_e32 v12, 1.0, v9, vcc
	s_and_b64 vcc, exec, s[2:3]
	v_fma_f32 v4, v4, v12, 1.0
	v_rcp_f32_e32 v4, v4
	s_cbranch_vccnz .LBB250_5
; %bb.4:                                ;   in Loop: Header=BB250_3 Depth=1
	v_mov_b32_e32 v13, s11
	v_add_co_u32_e32 v12, vcc, s10, v2
	v_addc_co_u32_e32 v13, vcc, v13, v1, vcc
	global_load_ushort v12, v[12:13], off
	s_waitcnt vmcnt(0)
	v_cvt_f32_f16_e32 v12, v12
	v_add_f32_e32 v4, v4, v12
.LBB250_5:                              ;   in Loop: Header=BB250_3 Depth=1
	v_cvt_f32_u32_sdwa v5, v5 dst_sel:DWORD dst_unused:UNUSED_PAD src0_sel:WORD_1
	v_mul_f32_e32 v12, 0xbfb8aa3b, v5
	v_cmp_gt_f32_e32 vcc, s25, v12
	v_cndmask_b32_e32 v12, 0, v8, vcc
	v_fmac_f32_e32 v12, 0xbfb8aa3b, v5
	v_exp_f32_e32 v5, v12
	v_cndmask_b32_e32 v12, 1.0, v9, vcc
	s_and_b64 vcc, exec, s[2:3]
	v_fma_f32 v5, v5, v12, 1.0
	v_rcp_f32_e32 v5, v5
	s_cbranch_vccnz .LBB250_2
; %bb.6:                                ;   in Loop: Header=BB250_3 Depth=1
	v_mov_b32_e32 v13, s11
	v_add_co_u32_e32 v12, vcc, s10, v2
	v_addc_co_u32_e32 v13, vcc, v13, v1, vcc
	global_load_ushort v12, v[12:13], off offset:2
	s_waitcnt vmcnt(0)
	v_cvt_f32_f16_e32 v12, v12
	v_add_f32_e32 v5, v5, v12
	s_branch .LBB250_2
.LBB250_7:
	s_or_b64 exec, exec, s[8:9]
	v_lshl_add_u32 v2, s7, 1, v0
	v_cmp_gt_i32_e32 vcc, s16, v2
	s_and_saveexec_b64 s[8:9], vcc
	s_cbranch_execz .LBB250_12
; %bb.8:
	s_load_dword s22, s[4:5], 0x44
	s_cmp_lg_u64 s[10:11], 0
	s_cselect_b64 s[2:3], -1, 0
	s_lshl_b32 s23, s7, 3
	s_add_i32 s23, s23, 0
	s_waitcnt lgkmcnt(0)
	s_and_b32 s22, s22, 0xffff
	v_cndmask_b32_e64 v3, 0, 1, s[2:3]
	s_mov_b64 s[18:19], 0
	v_lshl_add_u32 v1, v0, 2, s23
	s_lshl_b32 s23, s22, 2
	v_mov_b32_e32 v7, s21
	s_mov_b32 s21, 0xc2fc0000
	v_mov_b32_e32 v8, 0x42800000
	v_mov_b32_e32 v9, 0x1f800000
	v_cmp_ne_u32_e64 s[2:3], 1, v3
	s_branch .LBB250_10
.LBB250_9:                              ;   in Loop: Header=BB250_10 Depth=1
	v_add_u32_e32 v2, s22, v2
	v_cmp_le_i32_e32 vcc, s16, v2
	s_or_b64 s[18:19], vcc, s[18:19]
	v_add_u32_e32 v1, s23, v1
	s_andn2_b64 exec, exec, s[18:19]
	s_cbranch_execz .LBB250_12
.LBB250_10:                             ; =>This Inner Loop Header: Depth=1
	v_ashrrev_i32_e32 v3, 31, v2
	v_lshlrev_b64 v[4:5], 1, v[2:3]
	v_add_co_u32_e32 v10, vcc, s20, v4
	v_addc_co_u32_e32 v11, vcc, v7, v5, vcc
	global_load_ushort v3, v[10:11], off
	s_waitcnt vmcnt(0)
	v_lshlrev_b32_e32 v3, 16, v3
	v_mul_f32_e32 v10, 0xbfb8aa3b, v3
	v_cmp_gt_f32_e32 vcc, s21, v10
	v_cndmask_b32_e32 v10, 0, v8, vcc
	v_fmac_f32_e32 v10, 0xbfb8aa3b, v3
	v_exp_f32_e32 v3, v10
	v_cndmask_b32_e32 v10, 1.0, v9, vcc
	s_and_b64 vcc, exec, s[2:3]
	v_fma_f32 v3, v3, v10, 1.0
	v_rcp_f32_e32 v3, v3
	ds_write_b32 v1, v3
	s_cbranch_vccnz .LBB250_9
; %bb.11:                               ;   in Loop: Header=BB250_10 Depth=1
	v_mov_b32_e32 v10, s11
	v_add_co_u32_e32 v4, vcc, s10, v4
	v_addc_co_u32_e32 v5, vcc, v10, v5, vcc
	global_load_ushort v4, v[4:5], off
	s_waitcnt vmcnt(0)
	v_cvt_f32_f16_e32 v4, v4
	v_add_f32_e32 v3, v3, v4
	ds_write_b32 v1, v3
	s_branch .LBB250_9
.LBB250_12:
	s_or_b64 exec, exec, s[8:9]
	s_cmp_lt_i32 s17, 1
	s_waitcnt lgkmcnt(0)
	s_barrier
	s_cbranch_scc1 .LBB250_21
; %bb.13:
	s_add_u32 s2, s4, 56
	s_addc_u32 s3, s5, 0
	v_mbcnt_lo_u32_b32 v2, -1, 0
	s_cmp_lg_u64 s[10:11], 0
	v_mbcnt_hi_u32_b32 v2, -1, v2
	v_bfrev_b32_e32 v5, 0.5
	s_cselect_b64 s[8:9], -1, 0
	v_lshlrev_b32_e32 v3, 1, v0
	s_mov_b32 s16, 0
	v_mov_b32_e32 v1, 0
	v_mov_b32_e32 v4, 0
	v_lshl_or_b32 v5, v2, 2, v5
	v_mov_b32_e32 v7, 0xff800000
	v_mov_b32_e32 v2, 0
	s_branch .LBB250_15
.LBB250_14:                             ;   in Loop: Header=BB250_15 Depth=1
	s_lshl_b32 s19, s18, 2
	s_add_i32 s19, s19, 0
	v_mov_b32_e32 v8, s19
	ds_write_b32 v8, v7
	v_mov_b32_e32 v8, s18
	v_cmp_eq_u32_e32 vcc, s16, v0
	s_add_i32 s16, s16, 1
	v_cndmask_b32_e32 v1, v1, v8, vcc
	s_cmp_eq_u32 s16, s17
	v_cndmask_b32_e32 v2, v2, v10, vcc
	s_cbranch_scc1 .LBB250_22
.LBB250_15:                             ; =>This Loop Header: Depth=1
                                        ;     Child Loop BB250_17 Depth 2
	v_mov_b32_e32 v8, s16
	v_mov_b32_e32 v9, 0xff800000
	s_and_saveexec_b64 s[18:19], s[0:1]
	s_cbranch_execz .LBB250_19
; %bb.16:                               ;   in Loop: Header=BB250_15 Depth=1
	s_load_dword s22, s[2:3], 0xc
	s_mov_b64 s[20:21], 0
	v_mov_b32_e32 v8, s16
	v_mov_b32_e32 v9, 0xff800000
	;; [unrolled: 1-line block ×3, first 2 shown]
	s_waitcnt lgkmcnt(0)
	s_and_b32 s22, s22, 0xffff
	s_lshl_b32 s23, s22, 1
	s_lshl_b32 s24, s22, 3
	v_mov_b32_e32 v11, v3
	v_mov_b32_e32 v12, v0
.LBB250_17:                             ;   Parent Loop BB250_15 Depth=1
                                        ; =>  This Inner Loop Header: Depth=2
	ds_read_b64 v[14:15], v10
	v_add_u32_e32 v12, s22, v12
	v_cmp_le_i32_e32 vcc, s7, v12
	s_or_b64 s[20:21], vcc, s[20:21]
	v_add_u32_e32 v13, 1, v11
	s_waitcnt lgkmcnt(0)
	v_cmp_gt_f32_e32 vcc, v14, v9
	v_cndmask_b32_e32 v9, v9, v14, vcc
	v_cndmask_b32_e32 v8, v8, v11, vcc
	v_cmp_gt_f32_e32 vcc, v15, v9
	v_add_u32_e32 v10, s24, v10
	v_cndmask_b32_e32 v9, v9, v15, vcc
	v_add_u32_e32 v11, s23, v11
	v_cndmask_b32_e32 v8, v8, v13, vcc
	s_andn2_b64 exec, exec, s[20:21]
	s_cbranch_execnz .LBB250_17
; %bb.18:                               ;   in Loop: Header=BB250_15 Depth=1
	s_or_b64 exec, exec, s[20:21]
.LBB250_19:                             ;   in Loop: Header=BB250_15 Depth=1
	s_or_b64 exec, exec, s[18:19]
	;;#ASMSTART
	v_max_f32 v10, v9, v9 quad_perm:[1,0,3,2] row_mask:0xf bank_mask:0xf bound_ctrl:1
	;;#ASMEND
	;;#ASMSTART
	v_max_f32 v11, v10, v10 quad_perm:[2,3,0,1] row_mask:0xf bank_mask:0xf bound_ctrl:1
	;;#ASMEND
	;;#ASMSTART
	v_max_f32 v10, v11, v11 row_half_mirror row_mask:0xf bank_mask:0xf bound_ctrl:1
	;;#ASMEND
	;;#ASMSTART
	v_max_f32 v11, v10, v10 row_mirror row_mask:0xf bank_mask:0xf bound_ctrl:1
	;;#ASMEND
	;;#ASMSTART
	v_max_f32 v10, v11, v11 row_ror:4 row_mask:0xf bank_mask:0xf bound_ctrl:1
	;;#ASMEND
	;;#ASMSTART
	v_max_f32 v11, v10, v10 row_ror:8 row_mask:0xf bank_mask:0xf bound_ctrl:1
	;;#ASMEND
	;;#ASMSTART
	v_max_f32 v10, v11, v11 row_bcast:15 row_mask:0xf bank_mask:0xf bound_ctrl:1
	;;#ASMEND
	;;#ASMSTART
	v_max_f32 v11, v10, v10 row_bcast:31 row_mask:0xf bank_mask:0xf bound_ctrl:1
	;;#ASMEND
	ds_bpermute_b32 v10, v5, v11
	s_waitcnt lgkmcnt(0)
	v_cmp_eq_f32_e32 vcc, v9, v10
	s_ff1_i32_b64 s18, vcc
	s_cmp_lg_u64 vcc, 0
	s_cselect_b32 s18, s18, 0
	s_and_b64 vcc, exec, s[8:9]
	v_readlane_b32 s18, v8, s18
	s_cbranch_vccz .LBB250_14
; %bb.20:                               ;   in Loop: Header=BB250_15 Depth=1
	s_ashr_i32 s19, s18, 31
	s_lshl_b64 s[20:21], s[18:19], 1
	s_add_u32 s20, s10, s20
	s_addc_u32 s21, s11, s21
	global_load_ushort v8, v4, s[20:21]
	s_waitcnt vmcnt(0)
	v_cvt_f32_f16_e32 v8, v8
	v_sub_f32_e32 v10, v10, v8
	s_branch .LBB250_14
.LBB250_21:
	v_mov_b32_e32 v2, 0
	v_mov_b32_e32 v1, 0
.LBB250_22:
	v_cmp_gt_i32_e32 vcc, s17, v0
	s_and_saveexec_b64 s[0:1], vcc
	s_cbranch_execz .LBB250_25
; %bb.23:
	s_load_dword s2, s[4:5], 0x34
	s_load_dwordx2 s[0:1], s[4:5], 0x20
	s_ashr_i32 s3, s6, 31
	s_load_dword s4, s[4:5], 0x44
	v_mov_b32_e32 v4, s13
	s_waitcnt lgkmcnt(0)
	v_mul_f32_e32 v2, s2, v2
	s_mul_i32 s1, s6, s1
	s_mul_hi_u32 s2, s6, s0
	s_add_i32 s1, s2, s1
	s_mul_i32 s3, s3, s0
	s_add_i32 s5, s1, s3
	s_mul_i32 s2, s6, s0
	s_and_b32 s3, s4, 0xffff
	s_mov_b64 s[0:1], 0
	v_mov_b32_e32 v3, s5
	v_mov_b32_e32 v5, s15
.LBB250_24:                             ; =>This Inner Loop Header: Depth=1
	v_ashrrev_i32_e32 v7, 31, v0
	v_add_co_u32_e32 v6, vcc, s2, v0
	v_addc_co_u32_e32 v7, vcc, v3, v7, vcc
	v_add_u32_e32 v0, s3, v0
	v_cmp_le_i32_e32 vcc, s17, v0
	v_lshlrev_b64 v[6:7], 2, v[6:7]
	s_or_b64 s[0:1], vcc, s[0:1]
	v_add_co_u32_e32 v8, vcc, s12, v6
	v_addc_co_u32_e32 v9, vcc, v4, v7, vcc
	v_add_co_u32_e32 v6, vcc, s14, v6
	v_addc_co_u32_e32 v7, vcc, v5, v7, vcc
	global_store_dword v[8:9], v2, off
	global_store_dword v[6:7], v1, off
	s_andn2_b64 exec, exec, s[0:1]
	s_cbranch_execnz .LBB250_24
.LBB250_25:
	s_endpgm
	.section	.rodata,"a",@progbits
	.p2align	6, 0x0
	.amdhsa_kernel _ZN5aiter20topk_softplus_kernelI12hip_bfloat166__halfDv2_fLb0ELi1EEEvPKT_PKT0_PfPimiiif
		.amdhsa_group_segment_fixed_size 0
		.amdhsa_private_segment_fixed_size 0
		.amdhsa_kernarg_size 312
		.amdhsa_user_sgpr_count 6
		.amdhsa_user_sgpr_private_segment_buffer 1
		.amdhsa_user_sgpr_dispatch_ptr 0
		.amdhsa_user_sgpr_queue_ptr 0
		.amdhsa_user_sgpr_kernarg_segment_ptr 1
		.amdhsa_user_sgpr_dispatch_id 0
		.amdhsa_user_sgpr_flat_scratch_init 0
		.amdhsa_user_sgpr_kernarg_preload_length 0
		.amdhsa_user_sgpr_kernarg_preload_offset 0
		.amdhsa_user_sgpr_private_segment_size 0
		.amdhsa_uses_dynamic_stack 0
		.amdhsa_system_sgpr_private_segment_wavefront_offset 0
		.amdhsa_system_sgpr_workgroup_id_x 1
		.amdhsa_system_sgpr_workgroup_id_y 0
		.amdhsa_system_sgpr_workgroup_id_z 0
		.amdhsa_system_sgpr_workgroup_info 0
		.amdhsa_system_vgpr_workitem_id 0
		.amdhsa_next_free_vgpr 16
		.amdhsa_next_free_sgpr 27
		.amdhsa_accum_offset 16
		.amdhsa_reserve_vcc 1
		.amdhsa_reserve_flat_scratch 0
		.amdhsa_float_round_mode_32 0
		.amdhsa_float_round_mode_16_64 0
		.amdhsa_float_denorm_mode_32 3
		.amdhsa_float_denorm_mode_16_64 3
		.amdhsa_dx10_clamp 1
		.amdhsa_ieee_mode 1
		.amdhsa_fp16_overflow 0
		.amdhsa_tg_split 0
		.amdhsa_exception_fp_ieee_invalid_op 0
		.amdhsa_exception_fp_denorm_src 0
		.amdhsa_exception_fp_ieee_div_zero 0
		.amdhsa_exception_fp_ieee_overflow 0
		.amdhsa_exception_fp_ieee_underflow 0
		.amdhsa_exception_fp_ieee_inexact 0
		.amdhsa_exception_int_div_zero 0
	.end_amdhsa_kernel
	.section	.text._ZN5aiter20topk_softplus_kernelI12hip_bfloat166__halfDv2_fLb0ELi1EEEvPKT_PKT0_PfPimiiif,"axG",@progbits,_ZN5aiter20topk_softplus_kernelI12hip_bfloat166__halfDv2_fLb0ELi1EEEvPKT_PKT0_PfPimiiif,comdat
.Lfunc_end250:
	.size	_ZN5aiter20topk_softplus_kernelI12hip_bfloat166__halfDv2_fLb0ELi1EEEvPKT_PKT0_PfPimiiif, .Lfunc_end250-_ZN5aiter20topk_softplus_kernelI12hip_bfloat166__halfDv2_fLb0ELi1EEEvPKT_PKT0_PfPimiiif
                                        ; -- End function
	.section	.AMDGPU.csdata,"",@progbits
; Kernel info:
; codeLenInByte = 1352
; NumSgprs: 31
; NumVgprs: 16
; NumAgprs: 0
; TotalNumVgprs: 16
; ScratchSize: 0
; MemoryBound: 0
; FloatMode: 240
; IeeeMode: 1
; LDSByteSize: 0 bytes/workgroup (compile time only)
; SGPRBlocks: 3
; VGPRBlocks: 1
; NumSGPRsForWavesPerEU: 31
; NumVGPRsForWavesPerEU: 16
; AccumOffset: 16
; Occupancy: 8
; WaveLimiterHint : 0
; COMPUTE_PGM_RSRC2:SCRATCH_EN: 0
; COMPUTE_PGM_RSRC2:USER_SGPR: 6
; COMPUTE_PGM_RSRC2:TRAP_HANDLER: 0
; COMPUTE_PGM_RSRC2:TGID_X_EN: 1
; COMPUTE_PGM_RSRC2:TGID_Y_EN: 0
; COMPUTE_PGM_RSRC2:TGID_Z_EN: 0
; COMPUTE_PGM_RSRC2:TIDIG_COMP_CNT: 0
; COMPUTE_PGM_RSRC3_GFX90A:ACCUM_OFFSET: 3
; COMPUTE_PGM_RSRC3_GFX90A:TG_SPLIT: 0
	.section	.text._ZN5aiter20topk_softplus_kernelI12hip_bfloat166__halfDv1_fLb1ELi1EEEvPKT_PKT0_PfPimiiif,"axG",@progbits,_ZN5aiter20topk_softplus_kernelI12hip_bfloat166__halfDv1_fLb1ELi1EEEvPKT_PKT0_PfPimiiif,comdat
	.protected	_ZN5aiter20topk_softplus_kernelI12hip_bfloat166__halfDv1_fLb1ELi1EEEvPKT_PKT0_PfPimiiif ; -- Begin function _ZN5aiter20topk_softplus_kernelI12hip_bfloat166__halfDv1_fLb1ELi1EEEvPKT_PKT0_PfPimiiif
	.globl	_ZN5aiter20topk_softplus_kernelI12hip_bfloat166__halfDv1_fLb1ELi1EEEvPKT_PKT0_PfPimiiif
	.p2align	8
	.type	_ZN5aiter20topk_softplus_kernelI12hip_bfloat166__halfDv1_fLb1ELi1EEEvPKT_PKT0_PfPimiiif,@function
_ZN5aiter20topk_softplus_kernelI12hip_bfloat166__halfDv1_fLb1ELi1EEEvPKT_PKT0_PfPimiiif: ; @_ZN5aiter20topk_softplus_kernelI12hip_bfloat166__halfDv1_fLb1ELi1EEEvPKT_PKT0_PfPimiiif
; %bb.0:
	s_load_dwordx2 s[16:17], s[4:5], 0x28
	s_load_dwordx8 s[8:15], s[4:5], 0x0
	v_lshl_add_u32 v1, v0, 2, 0
	s_waitcnt lgkmcnt(0)
	s_mul_i32 s2, s6, s16
	s_ashr_i32 s3, s2, 31
	s_lshl_b64 s[2:3], s[2:3], 1
	s_add_u32 s7, s8, s2
	v_cmp_gt_i32_e64 s[0:1], s16, v0
	s_addc_u32 s20, s9, s3
	s_and_saveexec_b64 s[8:9], s[0:1]
	s_cbranch_execz .LBB251_5
; %bb.1:
	s_load_dword s21, s[4:5], 0x44
	s_cmp_lg_u64 s[10:11], 0
	s_cselect_b64 s[2:3], -1, 0
	v_cndmask_b32_e64 v2, 0, 1, s[2:3]
	s_mov_b64 s[18:19], 0
	s_waitcnt lgkmcnt(0)
	s_and_b32 s21, s21, 0xffff
	v_lshl_add_u32 v6, v0, 2, 0
	s_lshl_b32 s22, s21, 2
	v_mov_b32_e32 v7, s20
	s_mov_b32 s23, 0xc2fc0000
	v_mov_b32_e32 v8, 0x42800000
	v_mov_b32_e32 v9, 0x1f800000
	v_cmp_ne_u32_e64 s[2:3], 1, v2
	v_mov_b32_e32 v2, v0
	s_branch .LBB251_3
.LBB251_2:                              ;   in Loop: Header=BB251_3 Depth=1
	v_add_u32_e32 v2, s21, v2
	v_cmp_le_i32_e32 vcc, s16, v2
	ds_write_b32 v6, v3
	s_or_b64 s[18:19], vcc, s[18:19]
	v_add_u32_e32 v6, s22, v6
	s_andn2_b64 exec, exec, s[18:19]
	s_cbranch_execz .LBB251_5
.LBB251_3:                              ; =>This Inner Loop Header: Depth=1
	v_ashrrev_i32_e32 v3, 31, v2
	v_lshlrev_b64 v[4:5], 1, v[2:3]
	v_add_co_u32_e32 v10, vcc, s7, v4
	v_addc_co_u32_e32 v11, vcc, v7, v5, vcc
	global_load_ushort v3, v[10:11], off
	s_waitcnt vmcnt(0)
	v_cvt_f32_u32_e32 v3, v3
	v_mul_f32_e32 v10, 0xbfb8aa3b, v3
	v_cmp_gt_f32_e32 vcc, s23, v10
	v_cndmask_b32_e32 v10, 0, v8, vcc
	v_fmac_f32_e32 v10, 0xbfb8aa3b, v3
	v_exp_f32_e32 v3, v10
	v_cndmask_b32_e32 v10, 1.0, v9, vcc
	s_and_b64 vcc, exec, s[2:3]
	v_fma_f32 v3, v3, v10, 1.0
	v_rcp_f32_e32 v3, v3
	s_cbranch_vccnz .LBB251_2
; %bb.4:                                ;   in Loop: Header=BB251_3 Depth=1
	v_mov_b32_e32 v10, s11
	v_add_co_u32_e32 v4, vcc, s10, v4
	v_addc_co_u32_e32 v5, vcc, v10, v5, vcc
	global_load_ushort v4, v[4:5], off
	s_waitcnt vmcnt(0)
	v_cvt_f32_f16_e32 v4, v4
	v_add_f32_e32 v3, v3, v4
	s_branch .LBB251_2
.LBB251_5:
	s_or_b64 exec, exec, s[8:9]
	v_add_u32_e32 v2, s16, v0
	v_cmp_gt_i32_e32 vcc, s16, v2
	s_and_saveexec_b64 s[8:9], vcc
	s_cbranch_execz .LBB251_10
; %bb.6:
	s_load_dword s21, s[4:5], 0x44
	s_cmp_lg_u64 s[10:11], 0
	s_cselect_b64 s[2:3], -1, 0
	v_cndmask_b32_e64 v3, 0, 1, s[2:3]
	s_mov_b64 s[18:19], 0
	s_waitcnt lgkmcnt(0)
	s_and_b32 s21, s21, 0xffff
	v_lshl_add_u32 v6, v2, 2, 0
	s_lshl_b32 s22, s21, 2
	v_mov_b32_e32 v7, s20
	s_mov_b32 s20, 0xc2fc0000
	v_mov_b32_e32 v8, 0x42800000
	v_mov_b32_e32 v9, 0x1f800000
	v_cmp_ne_u32_e64 s[2:3], 1, v3
	s_branch .LBB251_8
.LBB251_7:                              ;   in Loop: Header=BB251_8 Depth=1
	v_add_u32_e32 v2, s21, v2
	v_cmp_le_i32_e32 vcc, s16, v2
	s_or_b64 s[18:19], vcc, s[18:19]
	v_add_u32_e32 v6, s22, v6
	s_andn2_b64 exec, exec, s[18:19]
	s_cbranch_execz .LBB251_10
.LBB251_8:                              ; =>This Inner Loop Header: Depth=1
	v_ashrrev_i32_e32 v3, 31, v2
	v_lshlrev_b64 v[4:5], 1, v[2:3]
	v_add_co_u32_e32 v10, vcc, s7, v4
	v_addc_co_u32_e32 v11, vcc, v7, v5, vcc
	global_load_ushort v3, v[10:11], off
	s_waitcnt vmcnt(0)
	v_lshlrev_b32_e32 v3, 16, v3
	v_mul_f32_e32 v10, 0xbfb8aa3b, v3
	v_cmp_gt_f32_e32 vcc, s20, v10
	v_cndmask_b32_e32 v10, 0, v8, vcc
	v_fmac_f32_e32 v10, 0xbfb8aa3b, v3
	v_exp_f32_e32 v3, v10
	v_cndmask_b32_e32 v10, 1.0, v9, vcc
	s_and_b64 vcc, exec, s[2:3]
	v_fma_f32 v3, v3, v10, 1.0
	v_rcp_f32_e32 v3, v3
	ds_write_b32 v6, v3
	s_cbranch_vccnz .LBB251_7
; %bb.9:                                ;   in Loop: Header=BB251_8 Depth=1
	v_mov_b32_e32 v10, s11
	v_add_co_u32_e32 v4, vcc, s10, v4
	v_addc_co_u32_e32 v5, vcc, v10, v5, vcc
	global_load_ushort v4, v[4:5], off
	s_waitcnt vmcnt(0)
	v_cvt_f32_f16_e32 v4, v4
	v_add_f32_e32 v3, v3, v4
	ds_write_b32 v6, v3
	s_branch .LBB251_7
.LBB251_10:
	s_or_b64 exec, exec, s[8:9]
	s_cmp_lt_i32 s17, 1
	v_mov_b32_e32 v3, 0
	s_waitcnt lgkmcnt(0)
	s_barrier
	s_cbranch_scc1 .LBB251_19
; %bb.11:
	s_add_u32 s2, s4, 56
	s_addc_u32 s3, s5, 0
	v_mbcnt_lo_u32_b32 v2, -1, 0
	s_cmp_lg_u64 s[10:11], 0
	v_mbcnt_hi_u32_b32 v2, -1, v2
	v_bfrev_b32_e32 v4, 0.5
	s_cselect_b64 s[8:9], -1, 0
	s_mov_b32 s7, 0
	v_mov_b32_e32 v3, 0
	v_lshl_or_b32 v5, v2, 2, v4
	v_mov_b32_e32 v6, 0
	v_mov_b32_e32 v7, 0xff800000
	;; [unrolled: 1-line block ×4, first 2 shown]
	s_branch .LBB251_13
.LBB251_12:                             ;   in Loop: Header=BB251_13 Depth=1
	s_lshl_b32 s19, s18, 2
	s_add_i32 s19, s19, 0
	v_mov_b32_e32 v8, s19
	ds_write_b32 v8, v7
	v_mov_b32_e32 v8, s18
	v_cmp_eq_u32_e32 vcc, s7, v0
	s_add_i32 s7, s7, 1
	v_cndmask_b32_e32 v2, v2, v8, vcc
	v_cndmask_b32_e32 v3, v3, v10, vcc
	s_cmp_eq_u32 s7, s17
	v_add_f32_e32 v4, v4, v10
	s_cbranch_scc1 .LBB251_20
.LBB251_13:                             ; =>This Loop Header: Depth=1
                                        ;     Child Loop BB251_15 Depth 2
	v_mov_b32_e32 v8, s7
	v_mov_b32_e32 v9, 0xff800000
	s_and_saveexec_b64 s[18:19], s[0:1]
	s_cbranch_execz .LBB251_17
; %bb.14:                               ;   in Loop: Header=BB251_13 Depth=1
	s_load_dword s22, s[2:3], 0xc
	s_mov_b64 s[20:21], 0
	v_mov_b32_e32 v8, s7
	v_mov_b32_e32 v9, 0xff800000
	;; [unrolled: 1-line block ×3, first 2 shown]
	s_waitcnt lgkmcnt(0)
	s_and_b32 s22, s22, 0xffff
	s_lshl_b32 s23, s22, 2
	v_mov_b32_e32 v11, v0
.LBB251_15:                             ;   Parent Loop BB251_13 Depth=1
                                        ; =>  This Inner Loop Header: Depth=2
	ds_read_b32 v12, v10
	v_add_u32_e32 v10, s23, v10
	s_waitcnt lgkmcnt(0)
	v_cmp_gt_f32_e32 vcc, v12, v9
	v_cndmask_b32_e32 v8, v8, v11, vcc
	v_add_u32_e32 v11, s22, v11
	v_cndmask_b32_e32 v9, v9, v12, vcc
	v_cmp_le_i32_e32 vcc, s16, v11
	s_or_b64 s[20:21], vcc, s[20:21]
	s_andn2_b64 exec, exec, s[20:21]
	s_cbranch_execnz .LBB251_15
; %bb.16:                               ;   in Loop: Header=BB251_13 Depth=1
	s_or_b64 exec, exec, s[20:21]
.LBB251_17:                             ;   in Loop: Header=BB251_13 Depth=1
	s_or_b64 exec, exec, s[18:19]
	;;#ASMSTART
	v_max_f32 v10, v9, v9 quad_perm:[1,0,3,2] row_mask:0xf bank_mask:0xf bound_ctrl:1
	;;#ASMEND
	;;#ASMSTART
	v_max_f32 v11, v10, v10 quad_perm:[2,3,0,1] row_mask:0xf bank_mask:0xf bound_ctrl:1
	;;#ASMEND
	;;#ASMSTART
	v_max_f32 v10, v11, v11 row_half_mirror row_mask:0xf bank_mask:0xf bound_ctrl:1
	;;#ASMEND
	;;#ASMSTART
	v_max_f32 v11, v10, v10 row_mirror row_mask:0xf bank_mask:0xf bound_ctrl:1
	;;#ASMEND
	;;#ASMSTART
	v_max_f32 v10, v11, v11 row_ror:4 row_mask:0xf bank_mask:0xf bound_ctrl:1
	;;#ASMEND
	;;#ASMSTART
	v_max_f32 v11, v10, v10 row_ror:8 row_mask:0xf bank_mask:0xf bound_ctrl:1
	;;#ASMEND
	;;#ASMSTART
	v_max_f32 v10, v11, v11 row_bcast:15 row_mask:0xf bank_mask:0xf bound_ctrl:1
	;;#ASMEND
	;;#ASMSTART
	v_max_f32 v11, v10, v10 row_bcast:31 row_mask:0xf bank_mask:0xf bound_ctrl:1
	;;#ASMEND
	ds_bpermute_b32 v10, v5, v11
	s_waitcnt lgkmcnt(0)
	v_cmp_eq_f32_e32 vcc, v9, v10
	s_ff1_i32_b64 s18, vcc
	s_cmp_lg_u64 vcc, 0
	s_cselect_b32 s18, s18, 0
	s_and_b64 vcc, exec, s[8:9]
	v_readlane_b32 s18, v8, s18
	s_cbranch_vccz .LBB251_12
; %bb.18:                               ;   in Loop: Header=BB251_13 Depth=1
	s_ashr_i32 s19, s18, 31
	s_lshl_b64 s[20:21], s[18:19], 1
	s_add_u32 s20, s10, s20
	s_addc_u32 s21, s11, s21
	global_load_ushort v8, v6, s[20:21]
	s_waitcnt vmcnt(0)
	v_cvt_f32_f16_e32 v8, v8
	v_sub_f32_e32 v10, v10, v8
	s_branch .LBB251_12
.LBB251_19:
	v_mov_b32_e32 v2, 0
	v_mov_b32_e32 v4, 0
.LBB251_20:
	v_cmp_gt_i32_e32 vcc, s17, v0
	s_and_saveexec_b64 s[0:1], vcc
	s_cbranch_execz .LBB251_23
; %bb.21:
	s_load_dword s2, s[4:5], 0x34
	v_max_f32_e32 v1, v4, v4
	v_max_f32_e32 v1, 0x1e3ce508, v1
	s_load_dword s3, s[4:5], 0x44
	s_waitcnt lgkmcnt(0)
	v_div_scale_f32 v4, s[0:1], v1, v1, s2
	s_load_dwordx2 s[0:1], s[4:5], 0x20
	v_rcp_f32_e32 v5, v4
	v_div_scale_f32 v6, vcc, s2, v1, s2
	s_and_b32 s3, s3, 0xffff
	v_fma_f32 v7, -v4, v5, 1.0
	v_fmac_f32_e32 v5, v7, v5
	v_mul_f32_e32 v7, v6, v5
	v_fma_f32 v8, -v4, v7, v6
	v_fmac_f32_e32 v7, v8, v5
	v_fma_f32 v4, -v4, v7, v6
	v_div_fmas_f32 v4, v4, v5, v7
	v_div_fixup_f32 v1, v4, v1, s2
	s_ashr_i32 s2, s6, 31
	s_waitcnt lgkmcnt(0)
	s_mul_i32 s1, s6, s1
	s_mul_hi_u32 s4, s6, s0
	s_add_i32 s1, s4, s1
	s_mul_i32 s2, s2, s0
	s_add_i32 s4, s1, s2
	v_mul_f32_e32 v1, v3, v1
	s_mul_i32 s2, s6, s0
	s_mov_b64 s[0:1], 0
	v_mov_b32_e32 v3, s4
	v_mov_b32_e32 v4, s13
	;; [unrolled: 1-line block ×3, first 2 shown]
.LBB251_22:                             ; =>This Inner Loop Header: Depth=1
	v_ashrrev_i32_e32 v7, 31, v0
	v_add_co_u32_e32 v6, vcc, s2, v0
	v_addc_co_u32_e32 v7, vcc, v3, v7, vcc
	v_add_u32_e32 v0, s3, v0
	v_cmp_le_i32_e32 vcc, s17, v0
	v_lshlrev_b64 v[6:7], 2, v[6:7]
	s_or_b64 s[0:1], vcc, s[0:1]
	v_add_co_u32_e32 v8, vcc, s12, v6
	v_addc_co_u32_e32 v9, vcc, v4, v7, vcc
	v_add_co_u32_e32 v6, vcc, s14, v6
	v_addc_co_u32_e32 v7, vcc, v5, v7, vcc
	global_store_dword v[8:9], v1, off
	global_store_dword v[6:7], v2, off
	s_andn2_b64 exec, exec, s[0:1]
	s_cbranch_execnz .LBB251_22
.LBB251_23:
	s_endpgm
	.section	.rodata,"a",@progbits
	.p2align	6, 0x0
	.amdhsa_kernel _ZN5aiter20topk_softplus_kernelI12hip_bfloat166__halfDv1_fLb1ELi1EEEvPKT_PKT0_PfPimiiif
		.amdhsa_group_segment_fixed_size 0
		.amdhsa_private_segment_fixed_size 0
		.amdhsa_kernarg_size 312
		.amdhsa_user_sgpr_count 6
		.amdhsa_user_sgpr_private_segment_buffer 1
		.amdhsa_user_sgpr_dispatch_ptr 0
		.amdhsa_user_sgpr_queue_ptr 0
		.amdhsa_user_sgpr_kernarg_segment_ptr 1
		.amdhsa_user_sgpr_dispatch_id 0
		.amdhsa_user_sgpr_flat_scratch_init 0
		.amdhsa_user_sgpr_kernarg_preload_length 0
		.amdhsa_user_sgpr_kernarg_preload_offset 0
		.amdhsa_user_sgpr_private_segment_size 0
		.amdhsa_uses_dynamic_stack 0
		.amdhsa_system_sgpr_private_segment_wavefront_offset 0
		.amdhsa_system_sgpr_workgroup_id_x 1
		.amdhsa_system_sgpr_workgroup_id_y 0
		.amdhsa_system_sgpr_workgroup_id_z 0
		.amdhsa_system_sgpr_workgroup_info 0
		.amdhsa_system_vgpr_workitem_id 0
		.amdhsa_next_free_vgpr 13
		.amdhsa_next_free_sgpr 24
		.amdhsa_accum_offset 16
		.amdhsa_reserve_vcc 1
		.amdhsa_reserve_flat_scratch 0
		.amdhsa_float_round_mode_32 0
		.amdhsa_float_round_mode_16_64 0
		.amdhsa_float_denorm_mode_32 3
		.amdhsa_float_denorm_mode_16_64 3
		.amdhsa_dx10_clamp 1
		.amdhsa_ieee_mode 1
		.amdhsa_fp16_overflow 0
		.amdhsa_tg_split 0
		.amdhsa_exception_fp_ieee_invalid_op 0
		.amdhsa_exception_fp_denorm_src 0
		.amdhsa_exception_fp_ieee_div_zero 0
		.amdhsa_exception_fp_ieee_overflow 0
		.amdhsa_exception_fp_ieee_underflow 0
		.amdhsa_exception_fp_ieee_inexact 0
		.amdhsa_exception_int_div_zero 0
	.end_amdhsa_kernel
	.section	.text._ZN5aiter20topk_softplus_kernelI12hip_bfloat166__halfDv1_fLb1ELi1EEEvPKT_PKT0_PfPimiiif,"axG",@progbits,_ZN5aiter20topk_softplus_kernelI12hip_bfloat166__halfDv1_fLb1ELi1EEEvPKT_PKT0_PfPimiiif,comdat
.Lfunc_end251:
	.size	_ZN5aiter20topk_softplus_kernelI12hip_bfloat166__halfDv1_fLb1ELi1EEEvPKT_PKT0_PfPimiiif, .Lfunc_end251-_ZN5aiter20topk_softplus_kernelI12hip_bfloat166__halfDv1_fLb1ELi1EEEvPKT_PKT0_PfPimiiif
                                        ; -- End function
	.section	.AMDGPU.csdata,"",@progbits
; Kernel info:
; codeLenInByte = 1284
; NumSgprs: 28
; NumVgprs: 13
; NumAgprs: 0
; TotalNumVgprs: 13
; ScratchSize: 0
; MemoryBound: 0
; FloatMode: 240
; IeeeMode: 1
; LDSByteSize: 0 bytes/workgroup (compile time only)
; SGPRBlocks: 3
; VGPRBlocks: 1
; NumSGPRsForWavesPerEU: 28
; NumVGPRsForWavesPerEU: 13
; AccumOffset: 16
; Occupancy: 8
; WaveLimiterHint : 0
; COMPUTE_PGM_RSRC2:SCRATCH_EN: 0
; COMPUTE_PGM_RSRC2:USER_SGPR: 6
; COMPUTE_PGM_RSRC2:TRAP_HANDLER: 0
; COMPUTE_PGM_RSRC2:TGID_X_EN: 1
; COMPUTE_PGM_RSRC2:TGID_Y_EN: 0
; COMPUTE_PGM_RSRC2:TGID_Z_EN: 0
; COMPUTE_PGM_RSRC2:TIDIG_COMP_CNT: 0
; COMPUTE_PGM_RSRC3_GFX90A:ACCUM_OFFSET: 3
; COMPUTE_PGM_RSRC3_GFX90A:TG_SPLIT: 0
	.section	.text._ZN5aiter20topk_softplus_kernelI12hip_bfloat166__halfDv1_fLb0ELi1EEEvPKT_PKT0_PfPimiiif,"axG",@progbits,_ZN5aiter20topk_softplus_kernelI12hip_bfloat166__halfDv1_fLb0ELi1EEEvPKT_PKT0_PfPimiiif,comdat
	.protected	_ZN5aiter20topk_softplus_kernelI12hip_bfloat166__halfDv1_fLb0ELi1EEEvPKT_PKT0_PfPimiiif ; -- Begin function _ZN5aiter20topk_softplus_kernelI12hip_bfloat166__halfDv1_fLb0ELi1EEEvPKT_PKT0_PfPimiiif
	.globl	_ZN5aiter20topk_softplus_kernelI12hip_bfloat166__halfDv1_fLb0ELi1EEEvPKT_PKT0_PfPimiiif
	.p2align	8
	.type	_ZN5aiter20topk_softplus_kernelI12hip_bfloat166__halfDv1_fLb0ELi1EEEvPKT_PKT0_PfPimiiif,@function
_ZN5aiter20topk_softplus_kernelI12hip_bfloat166__halfDv1_fLb0ELi1EEEvPKT_PKT0_PfPimiiif: ; @_ZN5aiter20topk_softplus_kernelI12hip_bfloat166__halfDv1_fLb0ELi1EEEvPKT_PKT0_PfPimiiif
; %bb.0:
	s_load_dwordx2 s[16:17], s[4:5], 0x28
	s_load_dwordx8 s[8:15], s[4:5], 0x0
	v_lshl_add_u32 v1, v0, 2, 0
	s_waitcnt lgkmcnt(0)
	s_mul_i32 s2, s6, s16
	s_ashr_i32 s3, s2, 31
	s_lshl_b64 s[2:3], s[2:3], 1
	s_add_u32 s7, s8, s2
	v_cmp_gt_i32_e64 s[0:1], s16, v0
	s_addc_u32 s20, s9, s3
	s_and_saveexec_b64 s[8:9], s[0:1]
	s_cbranch_execz .LBB252_5
; %bb.1:
	s_load_dword s21, s[4:5], 0x44
	s_cmp_lg_u64 s[10:11], 0
	s_cselect_b64 s[2:3], -1, 0
	v_cndmask_b32_e64 v2, 0, 1, s[2:3]
	s_mov_b64 s[18:19], 0
	s_waitcnt lgkmcnt(0)
	s_and_b32 s21, s21, 0xffff
	v_lshl_add_u32 v6, v0, 2, 0
	s_lshl_b32 s22, s21, 2
	v_mov_b32_e32 v7, s20
	s_mov_b32 s23, 0xc2fc0000
	v_mov_b32_e32 v8, 0x42800000
	v_mov_b32_e32 v9, 0x1f800000
	v_cmp_ne_u32_e64 s[2:3], 1, v2
	v_mov_b32_e32 v2, v0
	s_branch .LBB252_3
.LBB252_2:                              ;   in Loop: Header=BB252_3 Depth=1
	v_add_u32_e32 v2, s21, v2
	v_cmp_le_i32_e32 vcc, s16, v2
	ds_write_b32 v6, v3
	s_or_b64 s[18:19], vcc, s[18:19]
	v_add_u32_e32 v6, s22, v6
	s_andn2_b64 exec, exec, s[18:19]
	s_cbranch_execz .LBB252_5
.LBB252_3:                              ; =>This Inner Loop Header: Depth=1
	v_ashrrev_i32_e32 v3, 31, v2
	v_lshlrev_b64 v[4:5], 1, v[2:3]
	v_add_co_u32_e32 v10, vcc, s7, v4
	v_addc_co_u32_e32 v11, vcc, v7, v5, vcc
	global_load_ushort v3, v[10:11], off
	s_waitcnt vmcnt(0)
	v_cvt_f32_u32_e32 v3, v3
	v_mul_f32_e32 v10, 0xbfb8aa3b, v3
	v_cmp_gt_f32_e32 vcc, s23, v10
	v_cndmask_b32_e32 v10, 0, v8, vcc
	v_fmac_f32_e32 v10, 0xbfb8aa3b, v3
	v_exp_f32_e32 v3, v10
	v_cndmask_b32_e32 v10, 1.0, v9, vcc
	s_and_b64 vcc, exec, s[2:3]
	v_fma_f32 v3, v3, v10, 1.0
	v_rcp_f32_e32 v3, v3
	s_cbranch_vccnz .LBB252_2
; %bb.4:                                ;   in Loop: Header=BB252_3 Depth=1
	v_mov_b32_e32 v10, s11
	v_add_co_u32_e32 v4, vcc, s10, v4
	v_addc_co_u32_e32 v5, vcc, v10, v5, vcc
	global_load_ushort v4, v[4:5], off
	s_waitcnt vmcnt(0)
	v_cvt_f32_f16_e32 v4, v4
	v_add_f32_e32 v3, v3, v4
	s_branch .LBB252_2
.LBB252_5:
	s_or_b64 exec, exec, s[8:9]
	v_add_u32_e32 v2, s16, v0
	v_cmp_gt_i32_e32 vcc, s16, v2
	s_and_saveexec_b64 s[8:9], vcc
	s_cbranch_execz .LBB252_10
; %bb.6:
	s_load_dword s21, s[4:5], 0x44
	s_cmp_lg_u64 s[10:11], 0
	s_cselect_b64 s[2:3], -1, 0
	v_cndmask_b32_e64 v3, 0, 1, s[2:3]
	s_mov_b64 s[18:19], 0
	s_waitcnt lgkmcnt(0)
	s_and_b32 s21, s21, 0xffff
	v_lshl_add_u32 v6, v2, 2, 0
	s_lshl_b32 s22, s21, 2
	v_mov_b32_e32 v7, s20
	s_mov_b32 s20, 0xc2fc0000
	v_mov_b32_e32 v8, 0x42800000
	v_mov_b32_e32 v9, 0x1f800000
	v_cmp_ne_u32_e64 s[2:3], 1, v3
	s_branch .LBB252_8
.LBB252_7:                              ;   in Loop: Header=BB252_8 Depth=1
	v_add_u32_e32 v2, s21, v2
	v_cmp_le_i32_e32 vcc, s16, v2
	s_or_b64 s[18:19], vcc, s[18:19]
	v_add_u32_e32 v6, s22, v6
	s_andn2_b64 exec, exec, s[18:19]
	s_cbranch_execz .LBB252_10
.LBB252_8:                              ; =>This Inner Loop Header: Depth=1
	v_ashrrev_i32_e32 v3, 31, v2
	v_lshlrev_b64 v[4:5], 1, v[2:3]
	v_add_co_u32_e32 v10, vcc, s7, v4
	v_addc_co_u32_e32 v11, vcc, v7, v5, vcc
	global_load_ushort v3, v[10:11], off
	s_waitcnt vmcnt(0)
	v_lshlrev_b32_e32 v3, 16, v3
	v_mul_f32_e32 v10, 0xbfb8aa3b, v3
	v_cmp_gt_f32_e32 vcc, s20, v10
	v_cndmask_b32_e32 v10, 0, v8, vcc
	v_fmac_f32_e32 v10, 0xbfb8aa3b, v3
	v_exp_f32_e32 v3, v10
	v_cndmask_b32_e32 v10, 1.0, v9, vcc
	s_and_b64 vcc, exec, s[2:3]
	v_fma_f32 v3, v3, v10, 1.0
	v_rcp_f32_e32 v3, v3
	ds_write_b32 v6, v3
	s_cbranch_vccnz .LBB252_7
; %bb.9:                                ;   in Loop: Header=BB252_8 Depth=1
	v_mov_b32_e32 v10, s11
	v_add_co_u32_e32 v4, vcc, s10, v4
	v_addc_co_u32_e32 v5, vcc, v10, v5, vcc
	global_load_ushort v4, v[4:5], off
	s_waitcnt vmcnt(0)
	v_cvt_f32_f16_e32 v4, v4
	v_add_f32_e32 v3, v3, v4
	ds_write_b32 v6, v3
	s_branch .LBB252_7
.LBB252_10:
	s_or_b64 exec, exec, s[8:9]
	s_cmp_lt_i32 s17, 1
	s_waitcnt lgkmcnt(0)
	s_barrier
	s_cbranch_scc1 .LBB252_19
; %bb.11:
	s_add_u32 s2, s4, 56
	s_addc_u32 s3, s5, 0
	v_mbcnt_lo_u32_b32 v3, -1, 0
	s_cmp_lg_u64 s[10:11], 0
	v_mbcnt_hi_u32_b32 v3, -1, v3
	v_bfrev_b32_e32 v5, 0.5
	s_cselect_b64 s[8:9], -1, 0
	s_mov_b32 s7, 0
	v_mov_b32_e32 v2, 0
	v_mov_b32_e32 v4, 0
	v_lshl_or_b32 v5, v3, 2, v5
	v_mov_b32_e32 v6, 0xff800000
	v_mov_b32_e32 v3, 0
	s_branch .LBB252_13
.LBB252_12:                             ;   in Loop: Header=BB252_13 Depth=1
	s_lshl_b32 s19, s18, 2
	s_add_i32 s19, s19, 0
	v_mov_b32_e32 v7, s19
	ds_write_b32 v7, v6
	v_mov_b32_e32 v7, s18
	v_cmp_eq_u32_e32 vcc, s7, v0
	s_add_i32 s7, s7, 1
	v_cndmask_b32_e32 v2, v2, v7, vcc
	s_cmp_eq_u32 s7, s17
	v_cndmask_b32_e32 v3, v3, v9, vcc
	s_cbranch_scc1 .LBB252_20
.LBB252_13:                             ; =>This Loop Header: Depth=1
                                        ;     Child Loop BB252_15 Depth 2
	v_mov_b32_e32 v7, s7
	v_mov_b32_e32 v8, 0xff800000
	s_and_saveexec_b64 s[18:19], s[0:1]
	s_cbranch_execz .LBB252_17
; %bb.14:                               ;   in Loop: Header=BB252_13 Depth=1
	s_load_dword s22, s[2:3], 0xc
	s_mov_b64 s[20:21], 0
	v_mov_b32_e32 v7, s7
	v_mov_b32_e32 v8, 0xff800000
	;; [unrolled: 1-line block ×3, first 2 shown]
	s_waitcnt lgkmcnt(0)
	s_and_b32 s22, s22, 0xffff
	s_lshl_b32 s23, s22, 2
	v_mov_b32_e32 v10, v0
.LBB252_15:                             ;   Parent Loop BB252_13 Depth=1
                                        ; =>  This Inner Loop Header: Depth=2
	ds_read_b32 v11, v9
	v_add_u32_e32 v9, s23, v9
	s_waitcnt lgkmcnt(0)
	v_cmp_gt_f32_e32 vcc, v11, v8
	v_cndmask_b32_e32 v7, v7, v10, vcc
	v_add_u32_e32 v10, s22, v10
	v_cndmask_b32_e32 v8, v8, v11, vcc
	v_cmp_le_i32_e32 vcc, s16, v10
	s_or_b64 s[20:21], vcc, s[20:21]
	s_andn2_b64 exec, exec, s[20:21]
	s_cbranch_execnz .LBB252_15
; %bb.16:                               ;   in Loop: Header=BB252_13 Depth=1
	s_or_b64 exec, exec, s[20:21]
.LBB252_17:                             ;   in Loop: Header=BB252_13 Depth=1
	s_or_b64 exec, exec, s[18:19]
	;;#ASMSTART
	v_max_f32 v9, v8, v8 quad_perm:[1,0,3,2] row_mask:0xf bank_mask:0xf bound_ctrl:1
	;;#ASMEND
	;;#ASMSTART
	v_max_f32 v10, v9, v9 quad_perm:[2,3,0,1] row_mask:0xf bank_mask:0xf bound_ctrl:1
	;;#ASMEND
	;;#ASMSTART
	v_max_f32 v9, v10, v10 row_half_mirror row_mask:0xf bank_mask:0xf bound_ctrl:1
	;;#ASMEND
	;;#ASMSTART
	v_max_f32 v10, v9, v9 row_mirror row_mask:0xf bank_mask:0xf bound_ctrl:1
	;;#ASMEND
	;;#ASMSTART
	v_max_f32 v9, v10, v10 row_ror:4 row_mask:0xf bank_mask:0xf bound_ctrl:1
	;;#ASMEND
	;;#ASMSTART
	v_max_f32 v10, v9, v9 row_ror:8 row_mask:0xf bank_mask:0xf bound_ctrl:1
	;;#ASMEND
	;;#ASMSTART
	v_max_f32 v9, v10, v10 row_bcast:15 row_mask:0xf bank_mask:0xf bound_ctrl:1
	;;#ASMEND
	;;#ASMSTART
	v_max_f32 v10, v9, v9 row_bcast:31 row_mask:0xf bank_mask:0xf bound_ctrl:1
	;;#ASMEND
	ds_bpermute_b32 v9, v5, v10
	s_waitcnt lgkmcnt(0)
	v_cmp_eq_f32_e32 vcc, v8, v9
	s_ff1_i32_b64 s18, vcc
	s_cmp_lg_u64 vcc, 0
	s_cselect_b32 s18, s18, 0
	s_and_b64 vcc, exec, s[8:9]
	v_readlane_b32 s18, v7, s18
	s_cbranch_vccz .LBB252_12
; %bb.18:                               ;   in Loop: Header=BB252_13 Depth=1
	s_ashr_i32 s19, s18, 31
	s_lshl_b64 s[20:21], s[18:19], 1
	s_add_u32 s20, s10, s20
	s_addc_u32 s21, s11, s21
	global_load_ushort v7, v4, s[20:21]
	s_waitcnt vmcnt(0)
	v_cvt_f32_f16_e32 v7, v7
	v_sub_f32_e32 v9, v9, v7
	s_branch .LBB252_12
.LBB252_19:
	v_mov_b32_e32 v3, 0
	v_mov_b32_e32 v2, 0
.LBB252_20:
	v_cmp_gt_i32_e32 vcc, s17, v0
	s_and_saveexec_b64 s[0:1], vcc
	s_cbranch_execz .LBB252_23
; %bb.21:
	s_load_dword s2, s[4:5], 0x34
	s_load_dwordx2 s[0:1], s[4:5], 0x20
	s_ashr_i32 s3, s6, 31
	s_load_dword s4, s[4:5], 0x44
	v_mov_b32_e32 v4, s13
	s_waitcnt lgkmcnt(0)
	v_mul_f32_e32 v1, s2, v3
	s_mul_i32 s1, s6, s1
	s_mul_hi_u32 s2, s6, s0
	s_add_i32 s1, s2, s1
	s_mul_i32 s3, s3, s0
	s_add_i32 s5, s1, s3
	s_mul_i32 s2, s6, s0
	s_and_b32 s3, s4, 0xffff
	s_mov_b64 s[0:1], 0
	v_mov_b32_e32 v3, s5
	v_mov_b32_e32 v5, s15
.LBB252_22:                             ; =>This Inner Loop Header: Depth=1
	v_ashrrev_i32_e32 v7, 31, v0
	v_add_co_u32_e32 v6, vcc, s2, v0
	v_addc_co_u32_e32 v7, vcc, v3, v7, vcc
	v_add_u32_e32 v0, s3, v0
	v_cmp_le_i32_e32 vcc, s17, v0
	v_lshlrev_b64 v[6:7], 2, v[6:7]
	s_or_b64 s[0:1], vcc, s[0:1]
	v_add_co_u32_e32 v8, vcc, s12, v6
	v_addc_co_u32_e32 v9, vcc, v4, v7, vcc
	v_add_co_u32_e32 v6, vcc, s14, v6
	v_addc_co_u32_e32 v7, vcc, v5, v7, vcc
	global_store_dword v[8:9], v1, off
	global_store_dword v[6:7], v2, off
	s_andn2_b64 exec, exec, s[0:1]
	s_cbranch_execnz .LBB252_22
.LBB252_23:
	s_endpgm
	.section	.rodata,"a",@progbits
	.p2align	6, 0x0
	.amdhsa_kernel _ZN5aiter20topk_softplus_kernelI12hip_bfloat166__halfDv1_fLb0ELi1EEEvPKT_PKT0_PfPimiiif
		.amdhsa_group_segment_fixed_size 0
		.amdhsa_private_segment_fixed_size 0
		.amdhsa_kernarg_size 312
		.amdhsa_user_sgpr_count 6
		.amdhsa_user_sgpr_private_segment_buffer 1
		.amdhsa_user_sgpr_dispatch_ptr 0
		.amdhsa_user_sgpr_queue_ptr 0
		.amdhsa_user_sgpr_kernarg_segment_ptr 1
		.amdhsa_user_sgpr_dispatch_id 0
		.amdhsa_user_sgpr_flat_scratch_init 0
		.amdhsa_user_sgpr_kernarg_preload_length 0
		.amdhsa_user_sgpr_kernarg_preload_offset 0
		.amdhsa_user_sgpr_private_segment_size 0
		.amdhsa_uses_dynamic_stack 0
		.amdhsa_system_sgpr_private_segment_wavefront_offset 0
		.amdhsa_system_sgpr_workgroup_id_x 1
		.amdhsa_system_sgpr_workgroup_id_y 0
		.amdhsa_system_sgpr_workgroup_id_z 0
		.amdhsa_system_sgpr_workgroup_info 0
		.amdhsa_system_vgpr_workitem_id 0
		.amdhsa_next_free_vgpr 12
		.amdhsa_next_free_sgpr 24
		.amdhsa_accum_offset 12
		.amdhsa_reserve_vcc 1
		.amdhsa_reserve_flat_scratch 0
		.amdhsa_float_round_mode_32 0
		.amdhsa_float_round_mode_16_64 0
		.amdhsa_float_denorm_mode_32 3
		.amdhsa_float_denorm_mode_16_64 3
		.amdhsa_dx10_clamp 1
		.amdhsa_ieee_mode 1
		.amdhsa_fp16_overflow 0
		.amdhsa_tg_split 0
		.amdhsa_exception_fp_ieee_invalid_op 0
		.amdhsa_exception_fp_denorm_src 0
		.amdhsa_exception_fp_ieee_div_zero 0
		.amdhsa_exception_fp_ieee_overflow 0
		.amdhsa_exception_fp_ieee_underflow 0
		.amdhsa_exception_fp_ieee_inexact 0
		.amdhsa_exception_int_div_zero 0
	.end_amdhsa_kernel
	.section	.text._ZN5aiter20topk_softplus_kernelI12hip_bfloat166__halfDv1_fLb0ELi1EEEvPKT_PKT0_PfPimiiif,"axG",@progbits,_ZN5aiter20topk_softplus_kernelI12hip_bfloat166__halfDv1_fLb0ELi1EEEvPKT_PKT0_PfPimiiif,comdat
.Lfunc_end252:
	.size	_ZN5aiter20topk_softplus_kernelI12hip_bfloat166__halfDv1_fLb0ELi1EEEvPKT_PKT0_PfPimiiif, .Lfunc_end252-_ZN5aiter20topk_softplus_kernelI12hip_bfloat166__halfDv1_fLb0ELi1EEEvPKT_PKT0_PfPimiiif
                                        ; -- End function
	.section	.AMDGPU.csdata,"",@progbits
; Kernel info:
; codeLenInByte = 1184
; NumSgprs: 28
; NumVgprs: 12
; NumAgprs: 0
; TotalNumVgprs: 12
; ScratchSize: 0
; MemoryBound: 0
; FloatMode: 240
; IeeeMode: 1
; LDSByteSize: 0 bytes/workgroup (compile time only)
; SGPRBlocks: 3
; VGPRBlocks: 1
; NumSGPRsForWavesPerEU: 28
; NumVGPRsForWavesPerEU: 12
; AccumOffset: 12
; Occupancy: 8
; WaveLimiterHint : 0
; COMPUTE_PGM_RSRC2:SCRATCH_EN: 0
; COMPUTE_PGM_RSRC2:USER_SGPR: 6
; COMPUTE_PGM_RSRC2:TRAP_HANDLER: 0
; COMPUTE_PGM_RSRC2:TGID_X_EN: 1
; COMPUTE_PGM_RSRC2:TGID_Y_EN: 0
; COMPUTE_PGM_RSRC2:TGID_Z_EN: 0
; COMPUTE_PGM_RSRC2:TIDIG_COMP_CNT: 0
; COMPUTE_PGM_RSRC3_GFX90A:ACCUM_OFFSET: 2
; COMPUTE_PGM_RSRC3_GFX90A:TG_SPLIT: 0
	.section	.text._ZN5aiter20topk_softplus_kernelI12hip_bfloat166__halfDv4_fLb1ELi2EEEvPKT_PKT0_PfPimiiif,"axG",@progbits,_ZN5aiter20topk_softplus_kernelI12hip_bfloat166__halfDv4_fLb1ELi2EEEvPKT_PKT0_PfPimiiif,comdat
	.protected	_ZN5aiter20topk_softplus_kernelI12hip_bfloat166__halfDv4_fLb1ELi2EEEvPKT_PKT0_PfPimiiif ; -- Begin function _ZN5aiter20topk_softplus_kernelI12hip_bfloat166__halfDv4_fLb1ELi2EEEvPKT_PKT0_PfPimiiif
	.globl	_ZN5aiter20topk_softplus_kernelI12hip_bfloat166__halfDv4_fLb1ELi2EEEvPKT_PKT0_PfPimiiif
	.p2align	8
	.type	_ZN5aiter20topk_softplus_kernelI12hip_bfloat166__halfDv4_fLb1ELi2EEEvPKT_PKT0_PfPimiiif,@function
_ZN5aiter20topk_softplus_kernelI12hip_bfloat166__halfDv4_fLb1ELi2EEEvPKT_PKT0_PfPimiiif: ; @_ZN5aiter20topk_softplus_kernelI12hip_bfloat166__halfDv4_fLb1ELi2EEEvPKT_PKT0_PfPimiiif
; %bb.0:
	s_load_dwordx2 s[16:17], s[4:5], 0x28
	s_load_dwordx8 s[8:15], s[4:5], 0x0
	v_lshl_add_u32 v1, v0, 4, 0
	s_waitcnt lgkmcnt(0)
	s_ashr_i32 s0, s16, 31
	s_lshr_b32 s0, s0, 30
	s_add_i32 s0, s16, s0
	s_mul_i32 s2, s6, s16
	s_ashr_i32 s7, s0, 2
	s_ashr_i32 s3, s2, 31
	v_cmp_gt_i32_e64 s[0:1], s7, v0
	s_and_saveexec_b64 s[18:19], s[0:1]
	s_cbranch_execz .LBB253_3
; %bb.1:
	s_load_dword s22, s[4:5], 0x44
	s_lshl_b64 s[20:21], s[2:3], 1
	v_lshlrev_b32_e32 v2, 3, v0
	s_mov_b32 s25, 0
	v_lshl_add_u32 v4, v0, 4, 0
	s_waitcnt lgkmcnt(0)
	s_and_b32 s22, s22, 0xffff
	s_add_u32 s20, s8, s20
	s_addc_u32 s21, s9, s21
	v_mov_b32_e32 v3, s21
	v_add_co_u32_e32 v2, vcc, s20, v2
	v_addc_co_u32_e32 v3, vcc, 0, v3, vcc
	s_lshl_b32 s23, s22, 3
	s_lshl_b32 s24, s22, 4
	s_mov_b64 s[20:21], 0
	v_mov_b32_e32 v5, s25
	v_mov_b32_e32 v6, v0
.LBB253_2:                              ; =>This Inner Loop Header: Depth=1
	global_load_dwordx2 v[12:13], v[2:3], off
	v_add_co_u32_e32 v2, vcc, s23, v2
	v_add_u32_e32 v6, s22, v6
	v_addc_co_u32_e32 v3, vcc, v3, v5, vcc
	v_cmp_le_i32_e32 vcc, s7, v6
	s_or_b64 s[20:21], vcc, s[20:21]
	s_waitcnt vmcnt(0)
	v_cvt_f32_u32_sdwa v9, v12 dst_sel:DWORD dst_unused:UNUSED_PAD src0_sel:WORD_1
	v_cvt_f32_u32_sdwa v8, v12 dst_sel:DWORD dst_unused:UNUSED_PAD src0_sel:WORD_0
	v_cvt_f32_u32_sdwa v11, v13 dst_sel:DWORD dst_unused:UNUSED_PAD src0_sel:WORD_1
	v_cvt_f32_u32_sdwa v10, v13 dst_sel:DWORD dst_unused:UNUSED_PAD src0_sel:WORD_0
	ds_write_b128 v4, v[8:11]
	v_add_u32_e32 v4, s24, v4
	s_andn2_b64 exec, exec, s[20:21]
	s_cbranch_execnz .LBB253_2
.LBB253_3:
	s_or_b64 exec, exec, s[18:19]
	v_lshl_add_u32 v2, s7, 2, v0
	v_cmp_gt_i32_e32 vcc, s16, v2
	s_and_saveexec_b64 s[18:19], vcc
	s_cbranch_execz .LBB253_6
; %bb.4:
	s_load_dword s20, s[4:5], 0x44
	s_lshl_b64 s[2:3], s[2:3], 1
	s_add_u32 s8, s8, s2
	s_addc_u32 s21, s9, s3
	s_lshl_b32 s2, s7, 4
	s_waitcnt lgkmcnt(0)
	s_and_b32 s9, s20, 0xffff
	s_add_i32 s2, s2, 0
	v_lshl_add_u32 v4, v0, 2, s2
	s_lshl_b32 s20, s9, 2
	s_mov_b64 s[2:3], 0
	v_mov_b32_e32 v5, s21
.LBB253_5:                              ; =>This Inner Loop Header: Depth=1
	v_ashrrev_i32_e32 v3, 31, v2
	v_lshlrev_b64 v[6:7], 1, v[2:3]
	v_add_co_u32_e32 v6, vcc, s8, v6
	v_addc_co_u32_e32 v7, vcc, v5, v7, vcc
	global_load_ushort v3, v[6:7], off
	v_add_u32_e32 v2, s9, v2
	v_cmp_le_i32_e32 vcc, s16, v2
	s_or_b64 s[2:3], vcc, s[2:3]
	s_waitcnt vmcnt(0)
	v_lshlrev_b32_e32 v3, 16, v3
	ds_write_b32 v4, v3
	v_add_u32_e32 v4, s20, v4
	s_andn2_b64 exec, exec, s[2:3]
	s_cbranch_execnz .LBB253_5
.LBB253_6:
	s_or_b64 exec, exec, s[18:19]
	v_cmp_gt_i32_e32 vcc, s16, v0
	v_mov_b32_e32 v2, 0xff800000
	s_waitcnt lgkmcnt(0)
	s_barrier
	s_and_saveexec_b64 s[8:9], vcc
	s_cbranch_execz .LBB253_10
; %bb.7:
	s_load_dword s2, s[4:5], 0x44
	v_lshl_add_u32 v3, v0, 2, 0
	s_mov_b64 s[18:19], 0
	v_mov_b32_e32 v2, 0xff800000
	v_mov_b32_e32 v4, v0
	s_waitcnt lgkmcnt(0)
	s_and_b32 s20, s2, 0xffff
	s_lshl_b32 s21, s20, 2
.LBB253_8:                              ; =>This Inner Loop Header: Depth=1
	ds_read_b32 v5, v3
	v_add_u32_e32 v4, s20, v4
	v_max_f32_e32 v2, v2, v2
	v_cmp_le_i32_e64 s[2:3], s16, v4
	v_add_u32_e32 v3, s21, v3
	s_waitcnt lgkmcnt(0)
	v_max_f32_e32 v5, v5, v5
	s_or_b64 s[18:19], s[2:3], s[18:19]
	v_max_f32_e32 v2, v2, v5
	s_andn2_b64 exec, exec, s[18:19]
	s_cbranch_execnz .LBB253_8
; %bb.9:
	s_or_b64 exec, exec, s[18:19]
.LBB253_10:
	s_or_b64 exec, exec, s[8:9]
	;;#ASMSTART
	v_max_f32 v3, v2, v2 quad_perm:[1,0,3,2] row_mask:0xf bank_mask:0xf bound_ctrl:1
	;;#ASMEND
	;;#ASMSTART
	v_max_f32 v2, v3, v3 quad_perm:[2,3,0,1] row_mask:0xf bank_mask:0xf bound_ctrl:1
	;;#ASMEND
	;;#ASMSTART
	v_max_f32 v3, v2, v2 row_half_mirror row_mask:0xf bank_mask:0xf bound_ctrl:1
	;;#ASMEND
	;;#ASMSTART
	v_max_f32 v2, v3, v3 row_mirror row_mask:0xf bank_mask:0xf bound_ctrl:1
	;;#ASMEND
	;;#ASMSTART
	v_max_f32 v3, v2, v2 row_ror:4 row_mask:0xf bank_mask:0xf bound_ctrl:1
	;;#ASMEND
	;;#ASMSTART
	v_max_f32 v2, v3, v3 row_ror:8 row_mask:0xf bank_mask:0xf bound_ctrl:1
	;;#ASMEND
	;;#ASMSTART
	v_max_f32 v3, v2, v2 row_bcast:15 row_mask:0xf bank_mask:0xf bound_ctrl:1
	;;#ASMEND
	;;#ASMSTART
	v_max_f32 v2, v3, v3 row_bcast:31 row_mask:0xf bank_mask:0xf bound_ctrl:1
	;;#ASMEND
	v_mbcnt_lo_u32_b32 v3, -1, 0
	v_mbcnt_hi_u32_b32 v3, -1, v3
	v_bfrev_b32_e32 v4, 0.5
	v_lshl_or_b32 v4, v3, 2, v4
	ds_bpermute_b32 v3, v4, v2
	v_mov_b32_e32 v2, 0
	s_and_saveexec_b64 s[18:19], vcc
	s_cbranch_execz .LBB253_14
; %bb.11:
	s_load_dword s2, s[4:5], 0x44
	v_lshl_add_u32 v5, v0, 2, 0
	s_mov_b64 s[20:21], 0
	v_mov_b32_e32 v2, 0
	s_mov_b32 s22, 0xc2fc0000
	s_waitcnt lgkmcnt(0)
	s_and_b32 s23, s2, 0xffff
	s_lshl_b32 s24, s23, 2
	v_mov_b32_e32 v6, 0x42800000
	v_mov_b32_e32 v7, 0x1f800000
	;; [unrolled: 1-line block ×3, first 2 shown]
.LBB253_12:                             ; =>This Inner Loop Header: Depth=1
	ds_read_b32 v9, v5
	v_add_u32_e32 v8, s23, v8
	v_cmp_le_i32_e64 s[8:9], s16, v8
	s_or_b64 s[20:21], s[8:9], s[20:21]
	s_waitcnt lgkmcnt(0)
	v_sub_f32_e32 v9, v9, v3
	v_mul_f32_e32 v10, 0x3fb8aa3b, v9
	v_cmp_gt_f32_e64 s[2:3], s22, v10
	v_cndmask_b32_e64 v10, 0, v6, s[2:3]
	v_fmac_f32_e32 v10, 0x3fb8aa3b, v9
	v_exp_f32_e32 v9, v10
	v_cndmask_b32_e64 v10, 1.0, v7, s[2:3]
	v_mul_f32_e32 v11, v9, v10
	v_fmac_f32_e32 v2, v9, v10
	ds_write_b32 v5, v11
	v_add_u32_e32 v5, s24, v5
	s_andn2_b64 exec, exec, s[20:21]
	s_cbranch_execnz .LBB253_12
; %bb.13:
	s_or_b64 exec, exec, s[20:21]
.LBB253_14:
	s_or_b64 exec, exec, s[18:19]
	s_waitcnt lgkmcnt(0)
	v_mov_b32_dpp v3, v2 quad_perm:[1,0,3,2] row_mask:0xf bank_mask:0xf
	v_add_f32_e32 v2, v2, v3
	s_nop 1
	v_mov_b32_dpp v3, v2 quad_perm:[2,3,0,1] row_mask:0xf bank_mask:0xf
	v_add_f32_e32 v2, v2, v3
	s_nop 1
	v_mov_b32_dpp v3, v2 row_half_mirror row_mask:0xf bank_mask:0xf
	v_add_f32_e32 v2, v2, v3
	s_nop 1
	v_mov_b32_dpp v3, v2 row_mirror row_mask:0xf bank_mask:0xf
	v_add_f32_e32 v2, v2, v3
	s_nop 1
	v_mov_b32_dpp v3, v2 row_bcast:15 row_mask:0xf bank_mask:0xf
	v_add_f32_e32 v2, v2, v3
	s_nop 1
	v_mov_b32_dpp v3, v2 row_bcast:31 row_mask:0xf bank_mask:0xf
	v_add_f32_e32 v2, v2, v3
	ds_bpermute_b32 v2, v4, v2
	s_and_saveexec_b64 s[8:9], vcc
	s_cbranch_execz .LBB253_19
; %bb.15:
	s_load_dword s20, s[4:5], 0x44
	s_waitcnt lgkmcnt(0)
	v_rcp_f32_e32 v5, v2
	s_cmp_lg_u64 s[10:11], 0
	s_cselect_b64 s[2:3], -1, 0
	v_cndmask_b32_e64 v2, 0, 1, s[2:3]
	s_and_b32 s20, s20, 0xffff
	s_mov_b64 s[18:19], 0
	v_lshl_add_u32 v6, v0, 2, 0
	s_lshl_b32 s21, s20, 2
	v_cmp_ne_u32_e64 s[2:3], 1, v2
	v_mov_b32_e32 v2, v0
	s_branch .LBB253_17
.LBB253_16:                             ;   in Loop: Header=BB253_17 Depth=1
	v_add_u32_e32 v2, s20, v2
	v_cmp_le_i32_e32 vcc, s16, v2
	s_or_b64 s[18:19], vcc, s[18:19]
	v_add_u32_e32 v6, s21, v6
	s_andn2_b64 exec, exec, s[18:19]
	s_cbranch_execz .LBB253_19
.LBB253_17:                             ; =>This Inner Loop Header: Depth=1
	ds_read_b32 v3, v6
	s_and_b64 vcc, exec, s[2:3]
	s_waitcnt lgkmcnt(0)
	v_mul_f32_e32 v7, v5, v3
	ds_write_b32 v6, v7
	s_cbranch_vccnz .LBB253_16
; %bb.18:                               ;   in Loop: Header=BB253_17 Depth=1
	v_ashrrev_i32_e32 v3, 31, v2
	v_lshlrev_b64 v[8:9], 1, v[2:3]
	v_mov_b32_e32 v3, s11
	v_add_co_u32_e32 v8, vcc, s10, v8
	v_addc_co_u32_e32 v9, vcc, v3, v9, vcc
	global_load_ushort v3, v[8:9], off
	s_waitcnt vmcnt(0)
	v_cvt_f32_f16_e32 v3, v3
	v_add_f32_e32 v3, v7, v3
	ds_write_b32 v6, v3
	s_branch .LBB253_16
.LBB253_19:
	s_or_b64 exec, exec, s[8:9]
	s_cmp_lt_i32 s17, 1
	v_mov_b32_e32 v3, 0
	s_waitcnt lgkmcnt(0)
	s_barrier
	s_cbranch_scc1 .LBB253_28
; %bb.20:
	s_add_u32 s2, s4, 56
	s_addc_u32 s3, s5, 0
	s_cmp_lg_u64 s[10:11], 0
	s_cselect_b64 s[8:9], -1, 0
	v_lshlrev_b32_e32 v6, 2, v0
	s_mov_b32 s16, 0
	v_mov_b32_e32 v3, 0
	v_mov_b32_e32 v7, 0
	;; [unrolled: 1-line block ×5, first 2 shown]
	s_branch .LBB253_22
.LBB253_21:                             ;   in Loop: Header=BB253_22 Depth=1
	s_lshl_b32 s19, s18, 2
	s_add_i32 s19, s19, 0
	v_mov_b32_e32 v9, s19
	ds_write_b32 v9, v8
	v_mov_b32_e32 v9, s18
	v_cmp_eq_u32_e32 vcc, s16, v0
	s_add_i32 s16, s16, 1
	v_cndmask_b32_e32 v2, v2, v9, vcc
	v_cndmask_b32_e32 v3, v3, v11, vcc
	s_cmp_eq_u32 s16, s17
	v_add_f32_e32 v5, v5, v11
	s_cbranch_scc1 .LBB253_29
.LBB253_22:                             ; =>This Loop Header: Depth=1
                                        ;     Child Loop BB253_24 Depth 2
	v_mov_b32_e32 v9, s16
	v_mov_b32_e32 v10, 0xff800000
	s_and_saveexec_b64 s[18:19], s[0:1]
	s_cbranch_execz .LBB253_26
; %bb.23:                               ;   in Loop: Header=BB253_22 Depth=1
	s_load_dword s22, s[2:3], 0xc
	s_mov_b64 s[20:21], 0
	v_mov_b32_e32 v9, s16
	v_mov_b32_e32 v10, 0xff800000
	;; [unrolled: 1-line block ×3, first 2 shown]
	s_waitcnt lgkmcnt(0)
	s_and_b32 s22, s22, 0xffff
	s_lshl_b32 s23, s22, 2
	s_lshl_b32 s24, s22, 4
	v_mov_b32_e32 v12, v6
	v_mov_b32_e32 v13, v0
.LBB253_24:                             ;   Parent Loop BB253_22 Depth=1
                                        ; =>  This Inner Loop Header: Depth=2
	ds_read_b128 v[14:17], v11
	v_add_u32_e32 v13, s22, v13
	v_cmp_le_i32_e32 vcc, s7, v13
	s_or_b64 s[20:21], vcc, s[20:21]
	v_add_u32_e32 v18, 1, v12
	s_waitcnt lgkmcnt(0)
	v_cmp_gt_f32_e32 vcc, v14, v10
	v_cndmask_b32_e32 v10, v10, v14, vcc
	v_cndmask_b32_e32 v9, v9, v12, vcc
	v_cmp_gt_f32_e32 vcc, v15, v10
	v_cndmask_b32_e32 v10, v10, v15, vcc
	v_cndmask_b32_e32 v9, v9, v18, vcc
	v_cmp_gt_f32_e32 vcc, v16, v10
	v_add_u32_e32 v19, 2, v12
	v_cndmask_b32_e32 v10, v10, v16, vcc
	v_add_u32_e32 v20, 3, v12
	v_cndmask_b32_e32 v9, v9, v19, vcc
	v_cmp_gt_f32_e32 vcc, v17, v10
	v_add_u32_e32 v11, s24, v11
	v_add_u32_e32 v12, s23, v12
	v_cndmask_b32_e32 v10, v10, v17, vcc
	v_cndmask_b32_e32 v9, v9, v20, vcc
	s_andn2_b64 exec, exec, s[20:21]
	s_cbranch_execnz .LBB253_24
; %bb.25:                               ;   in Loop: Header=BB253_22 Depth=1
	s_or_b64 exec, exec, s[20:21]
.LBB253_26:                             ;   in Loop: Header=BB253_22 Depth=1
	s_or_b64 exec, exec, s[18:19]
	;;#ASMSTART
	v_max_f32 v11, v10, v10 quad_perm:[1,0,3,2] row_mask:0xf bank_mask:0xf bound_ctrl:1
	;;#ASMEND
	;;#ASMSTART
	v_max_f32 v12, v11, v11 quad_perm:[2,3,0,1] row_mask:0xf bank_mask:0xf bound_ctrl:1
	;;#ASMEND
	;;#ASMSTART
	v_max_f32 v11, v12, v12 row_half_mirror row_mask:0xf bank_mask:0xf bound_ctrl:1
	;;#ASMEND
	;;#ASMSTART
	v_max_f32 v12, v11, v11 row_mirror row_mask:0xf bank_mask:0xf bound_ctrl:1
	;;#ASMEND
	;;#ASMSTART
	v_max_f32 v11, v12, v12 row_ror:4 row_mask:0xf bank_mask:0xf bound_ctrl:1
	;;#ASMEND
	;;#ASMSTART
	v_max_f32 v12, v11, v11 row_ror:8 row_mask:0xf bank_mask:0xf bound_ctrl:1
	;;#ASMEND
	;;#ASMSTART
	v_max_f32 v11, v12, v12 row_bcast:15 row_mask:0xf bank_mask:0xf bound_ctrl:1
	;;#ASMEND
	;;#ASMSTART
	v_max_f32 v12, v11, v11 row_bcast:31 row_mask:0xf bank_mask:0xf bound_ctrl:1
	;;#ASMEND
	ds_bpermute_b32 v11, v4, v12
	s_waitcnt lgkmcnt(0)
	v_cmp_eq_f32_e32 vcc, v10, v11
	s_ff1_i32_b64 s18, vcc
	s_cmp_lg_u64 vcc, 0
	s_cselect_b32 s18, s18, 0
	s_and_b64 vcc, exec, s[8:9]
	v_readlane_b32 s18, v9, s18
	s_cbranch_vccz .LBB253_21
; %bb.27:                               ;   in Loop: Header=BB253_22 Depth=1
	s_ashr_i32 s19, s18, 31
	s_lshl_b64 s[20:21], s[18:19], 1
	s_add_u32 s20, s10, s20
	s_addc_u32 s21, s11, s21
	global_load_ushort v9, v7, s[20:21]
	s_waitcnt vmcnt(0)
	v_cvt_f32_f16_e32 v9, v9
	v_sub_f32_e32 v11, v11, v9
	s_branch .LBB253_21
.LBB253_28:
	v_mov_b32_e32 v2, 0
	v_mov_b32_e32 v5, 0
.LBB253_29:
	v_cmp_gt_i32_e32 vcc, s17, v0
	s_and_saveexec_b64 s[0:1], vcc
	s_cbranch_execz .LBB253_32
; %bb.30:
	s_load_dword s2, s[4:5], 0x34
	v_max_f32_e32 v1, v5, v5
	v_max_f32_e32 v1, 0x1e3ce508, v1
	s_load_dword s3, s[4:5], 0x44
	s_waitcnt lgkmcnt(0)
	v_div_scale_f32 v4, s[0:1], v1, v1, s2
	s_load_dwordx2 s[0:1], s[4:5], 0x20
	v_rcp_f32_e32 v5, v4
	v_div_scale_f32 v6, vcc, s2, v1, s2
	s_and_b32 s3, s3, 0xffff
	v_fma_f32 v7, -v4, v5, 1.0
	v_fmac_f32_e32 v5, v7, v5
	v_mul_f32_e32 v7, v6, v5
	v_fma_f32 v8, -v4, v7, v6
	v_fmac_f32_e32 v7, v8, v5
	v_fma_f32 v4, -v4, v7, v6
	v_div_fmas_f32 v4, v4, v5, v7
	v_div_fixup_f32 v1, v4, v1, s2
	s_ashr_i32 s2, s6, 31
	s_waitcnt lgkmcnt(0)
	s_mul_i32 s1, s6, s1
	s_mul_hi_u32 s4, s6, s0
	s_add_i32 s1, s4, s1
	s_mul_i32 s2, s2, s0
	s_add_i32 s4, s1, s2
	v_mul_f32_e32 v1, v3, v1
	s_mul_i32 s2, s6, s0
	s_mov_b64 s[0:1], 0
	v_mov_b32_e32 v3, s4
	v_mov_b32_e32 v4, s13
	;; [unrolled: 1-line block ×3, first 2 shown]
.LBB253_31:                             ; =>This Inner Loop Header: Depth=1
	v_ashrrev_i32_e32 v7, 31, v0
	v_add_co_u32_e32 v6, vcc, s2, v0
	v_addc_co_u32_e32 v7, vcc, v3, v7, vcc
	v_add_u32_e32 v0, s3, v0
	v_cmp_le_i32_e32 vcc, s17, v0
	v_lshlrev_b64 v[6:7], 2, v[6:7]
	s_or_b64 s[0:1], vcc, s[0:1]
	v_add_co_u32_e32 v8, vcc, s12, v6
	v_addc_co_u32_e32 v9, vcc, v4, v7, vcc
	v_add_co_u32_e32 v6, vcc, s14, v6
	v_addc_co_u32_e32 v7, vcc, v5, v7, vcc
	global_store_dword v[8:9], v1, off
	global_store_dword v[6:7], v2, off
	s_andn2_b64 exec, exec, s[0:1]
	s_cbranch_execnz .LBB253_31
.LBB253_32:
	s_endpgm
	.section	.rodata,"a",@progbits
	.p2align	6, 0x0
	.amdhsa_kernel _ZN5aiter20topk_softplus_kernelI12hip_bfloat166__halfDv4_fLb1ELi2EEEvPKT_PKT0_PfPimiiif
		.amdhsa_group_segment_fixed_size 0
		.amdhsa_private_segment_fixed_size 0
		.amdhsa_kernarg_size 312
		.amdhsa_user_sgpr_count 6
		.amdhsa_user_sgpr_private_segment_buffer 1
		.amdhsa_user_sgpr_dispatch_ptr 0
		.amdhsa_user_sgpr_queue_ptr 0
		.amdhsa_user_sgpr_kernarg_segment_ptr 1
		.amdhsa_user_sgpr_dispatch_id 0
		.amdhsa_user_sgpr_flat_scratch_init 0
		.amdhsa_user_sgpr_kernarg_preload_length 0
		.amdhsa_user_sgpr_kernarg_preload_offset 0
		.amdhsa_user_sgpr_private_segment_size 0
		.amdhsa_uses_dynamic_stack 0
		.amdhsa_system_sgpr_private_segment_wavefront_offset 0
		.amdhsa_system_sgpr_workgroup_id_x 1
		.amdhsa_system_sgpr_workgroup_id_y 0
		.amdhsa_system_sgpr_workgroup_id_z 0
		.amdhsa_system_sgpr_workgroup_info 0
		.amdhsa_system_vgpr_workitem_id 0
		.amdhsa_next_free_vgpr 21
		.amdhsa_next_free_sgpr 26
		.amdhsa_accum_offset 24
		.amdhsa_reserve_vcc 1
		.amdhsa_reserve_flat_scratch 0
		.amdhsa_float_round_mode_32 0
		.amdhsa_float_round_mode_16_64 0
		.amdhsa_float_denorm_mode_32 3
		.amdhsa_float_denorm_mode_16_64 3
		.amdhsa_dx10_clamp 1
		.amdhsa_ieee_mode 1
		.amdhsa_fp16_overflow 0
		.amdhsa_tg_split 0
		.amdhsa_exception_fp_ieee_invalid_op 0
		.amdhsa_exception_fp_denorm_src 0
		.amdhsa_exception_fp_ieee_div_zero 0
		.amdhsa_exception_fp_ieee_overflow 0
		.amdhsa_exception_fp_ieee_underflow 0
		.amdhsa_exception_fp_ieee_inexact 0
		.amdhsa_exception_int_div_zero 0
	.end_amdhsa_kernel
	.section	.text._ZN5aiter20topk_softplus_kernelI12hip_bfloat166__halfDv4_fLb1ELi2EEEvPKT_PKT0_PfPimiiif,"axG",@progbits,_ZN5aiter20topk_softplus_kernelI12hip_bfloat166__halfDv4_fLb1ELi2EEEvPKT_PKT0_PfPimiiif,comdat
.Lfunc_end253:
	.size	_ZN5aiter20topk_softplus_kernelI12hip_bfloat166__halfDv4_fLb1ELi2EEEvPKT_PKT0_PfPimiiif, .Lfunc_end253-_ZN5aiter20topk_softplus_kernelI12hip_bfloat166__halfDv4_fLb1ELi2EEEvPKT_PKT0_PfPimiiif
                                        ; -- End function
	.section	.AMDGPU.csdata,"",@progbits
; Kernel info:
; codeLenInByte = 1840
; NumSgprs: 30
; NumVgprs: 21
; NumAgprs: 0
; TotalNumVgprs: 21
; ScratchSize: 0
; MemoryBound: 0
; FloatMode: 240
; IeeeMode: 1
; LDSByteSize: 0 bytes/workgroup (compile time only)
; SGPRBlocks: 3
; VGPRBlocks: 2
; NumSGPRsForWavesPerEU: 30
; NumVGPRsForWavesPerEU: 21
; AccumOffset: 24
; Occupancy: 8
; WaveLimiterHint : 0
; COMPUTE_PGM_RSRC2:SCRATCH_EN: 0
; COMPUTE_PGM_RSRC2:USER_SGPR: 6
; COMPUTE_PGM_RSRC2:TRAP_HANDLER: 0
; COMPUTE_PGM_RSRC2:TGID_X_EN: 1
; COMPUTE_PGM_RSRC2:TGID_Y_EN: 0
; COMPUTE_PGM_RSRC2:TGID_Z_EN: 0
; COMPUTE_PGM_RSRC2:TIDIG_COMP_CNT: 0
; COMPUTE_PGM_RSRC3_GFX90A:ACCUM_OFFSET: 5
; COMPUTE_PGM_RSRC3_GFX90A:TG_SPLIT: 0
	.section	.text._ZN5aiter20topk_softplus_kernelI12hip_bfloat166__halfDv4_fLb0ELi2EEEvPKT_PKT0_PfPimiiif,"axG",@progbits,_ZN5aiter20topk_softplus_kernelI12hip_bfloat166__halfDv4_fLb0ELi2EEEvPKT_PKT0_PfPimiiif,comdat
	.protected	_ZN5aiter20topk_softplus_kernelI12hip_bfloat166__halfDv4_fLb0ELi2EEEvPKT_PKT0_PfPimiiif ; -- Begin function _ZN5aiter20topk_softplus_kernelI12hip_bfloat166__halfDv4_fLb0ELi2EEEvPKT_PKT0_PfPimiiif
	.globl	_ZN5aiter20topk_softplus_kernelI12hip_bfloat166__halfDv4_fLb0ELi2EEEvPKT_PKT0_PfPimiiif
	.p2align	8
	.type	_ZN5aiter20topk_softplus_kernelI12hip_bfloat166__halfDv4_fLb0ELi2EEEvPKT_PKT0_PfPimiiif,@function
_ZN5aiter20topk_softplus_kernelI12hip_bfloat166__halfDv4_fLb0ELi2EEEvPKT_PKT0_PfPimiiif: ; @_ZN5aiter20topk_softplus_kernelI12hip_bfloat166__halfDv4_fLb0ELi2EEEvPKT_PKT0_PfPimiiif
; %bb.0:
	s_load_dwordx2 s[16:17], s[4:5], 0x28
	s_load_dwordx8 s[8:15], s[4:5], 0x0
	v_lshl_add_u32 v1, v0, 4, 0
	s_waitcnt lgkmcnt(0)
	s_ashr_i32 s0, s16, 31
	s_lshr_b32 s0, s0, 30
	s_add_i32 s0, s16, s0
	s_mul_i32 s2, s6, s16
	s_ashr_i32 s7, s0, 2
	s_ashr_i32 s3, s2, 31
	v_cmp_gt_i32_e64 s[0:1], s7, v0
	s_and_saveexec_b64 s[18:19], s[0:1]
	s_cbranch_execz .LBB254_3
; %bb.1:
	s_load_dword s22, s[4:5], 0x44
	s_lshl_b64 s[20:21], s[2:3], 1
	v_lshlrev_b32_e32 v2, 3, v0
	s_mov_b32 s25, 0
	v_lshl_add_u32 v4, v0, 4, 0
	s_waitcnt lgkmcnt(0)
	s_and_b32 s22, s22, 0xffff
	s_add_u32 s20, s8, s20
	s_addc_u32 s21, s9, s21
	v_mov_b32_e32 v3, s21
	v_add_co_u32_e32 v2, vcc, s20, v2
	v_addc_co_u32_e32 v3, vcc, 0, v3, vcc
	s_lshl_b32 s23, s22, 3
	s_lshl_b32 s24, s22, 4
	s_mov_b64 s[20:21], 0
	v_mov_b32_e32 v5, s25
	v_mov_b32_e32 v6, v0
.LBB254_2:                              ; =>This Inner Loop Header: Depth=1
	global_load_dwordx2 v[12:13], v[2:3], off
	v_add_co_u32_e32 v2, vcc, s23, v2
	v_add_u32_e32 v6, s22, v6
	v_addc_co_u32_e32 v3, vcc, v3, v5, vcc
	v_cmp_le_i32_e32 vcc, s7, v6
	s_or_b64 s[20:21], vcc, s[20:21]
	s_waitcnt vmcnt(0)
	v_cvt_f32_u32_sdwa v9, v12 dst_sel:DWORD dst_unused:UNUSED_PAD src0_sel:WORD_1
	v_cvt_f32_u32_sdwa v8, v12 dst_sel:DWORD dst_unused:UNUSED_PAD src0_sel:WORD_0
	v_cvt_f32_u32_sdwa v11, v13 dst_sel:DWORD dst_unused:UNUSED_PAD src0_sel:WORD_1
	v_cvt_f32_u32_sdwa v10, v13 dst_sel:DWORD dst_unused:UNUSED_PAD src0_sel:WORD_0
	ds_write_b128 v4, v[8:11]
	v_add_u32_e32 v4, s24, v4
	s_andn2_b64 exec, exec, s[20:21]
	s_cbranch_execnz .LBB254_2
.LBB254_3:
	s_or_b64 exec, exec, s[18:19]
	v_lshl_add_u32 v2, s7, 2, v0
	v_cmp_gt_i32_e32 vcc, s16, v2
	s_and_saveexec_b64 s[18:19], vcc
	s_cbranch_execz .LBB254_6
; %bb.4:
	s_load_dword s20, s[4:5], 0x44
	s_lshl_b64 s[2:3], s[2:3], 1
	s_add_u32 s8, s8, s2
	s_addc_u32 s21, s9, s3
	s_lshl_b32 s2, s7, 4
	s_waitcnt lgkmcnt(0)
	s_and_b32 s9, s20, 0xffff
	s_add_i32 s2, s2, 0
	v_lshl_add_u32 v4, v0, 2, s2
	s_lshl_b32 s20, s9, 2
	s_mov_b64 s[2:3], 0
	v_mov_b32_e32 v5, s21
.LBB254_5:                              ; =>This Inner Loop Header: Depth=1
	v_ashrrev_i32_e32 v3, 31, v2
	v_lshlrev_b64 v[6:7], 1, v[2:3]
	v_add_co_u32_e32 v6, vcc, s8, v6
	v_addc_co_u32_e32 v7, vcc, v5, v7, vcc
	global_load_ushort v3, v[6:7], off
	v_add_u32_e32 v2, s9, v2
	v_cmp_le_i32_e32 vcc, s16, v2
	s_or_b64 s[2:3], vcc, s[2:3]
	s_waitcnt vmcnt(0)
	v_lshlrev_b32_e32 v3, 16, v3
	ds_write_b32 v4, v3
	v_add_u32_e32 v4, s20, v4
	s_andn2_b64 exec, exec, s[2:3]
	s_cbranch_execnz .LBB254_5
.LBB254_6:
	s_or_b64 exec, exec, s[18:19]
	v_cmp_gt_i32_e32 vcc, s16, v0
	v_mov_b32_e32 v2, 0xff800000
	s_waitcnt lgkmcnt(0)
	s_barrier
	s_and_saveexec_b64 s[8:9], vcc
	s_cbranch_execz .LBB254_10
; %bb.7:
	s_load_dword s2, s[4:5], 0x44
	v_lshl_add_u32 v3, v0, 2, 0
	s_mov_b64 s[18:19], 0
	v_mov_b32_e32 v2, 0xff800000
	v_mov_b32_e32 v4, v0
	s_waitcnt lgkmcnt(0)
	s_and_b32 s20, s2, 0xffff
	s_lshl_b32 s21, s20, 2
.LBB254_8:                              ; =>This Inner Loop Header: Depth=1
	ds_read_b32 v5, v3
	v_add_u32_e32 v4, s20, v4
	v_max_f32_e32 v2, v2, v2
	v_cmp_le_i32_e64 s[2:3], s16, v4
	v_add_u32_e32 v3, s21, v3
	s_waitcnt lgkmcnt(0)
	v_max_f32_e32 v5, v5, v5
	s_or_b64 s[18:19], s[2:3], s[18:19]
	v_max_f32_e32 v2, v2, v5
	s_andn2_b64 exec, exec, s[18:19]
	s_cbranch_execnz .LBB254_8
; %bb.9:
	s_or_b64 exec, exec, s[18:19]
.LBB254_10:
	s_or_b64 exec, exec, s[8:9]
	;;#ASMSTART
	v_max_f32 v3, v2, v2 quad_perm:[1,0,3,2] row_mask:0xf bank_mask:0xf bound_ctrl:1
	;;#ASMEND
	;;#ASMSTART
	v_max_f32 v2, v3, v3 quad_perm:[2,3,0,1] row_mask:0xf bank_mask:0xf bound_ctrl:1
	;;#ASMEND
	;;#ASMSTART
	v_max_f32 v3, v2, v2 row_half_mirror row_mask:0xf bank_mask:0xf bound_ctrl:1
	;;#ASMEND
	;;#ASMSTART
	v_max_f32 v2, v3, v3 row_mirror row_mask:0xf bank_mask:0xf bound_ctrl:1
	;;#ASMEND
	;;#ASMSTART
	v_max_f32 v3, v2, v2 row_ror:4 row_mask:0xf bank_mask:0xf bound_ctrl:1
	;;#ASMEND
	;;#ASMSTART
	v_max_f32 v2, v3, v3 row_ror:8 row_mask:0xf bank_mask:0xf bound_ctrl:1
	;;#ASMEND
	;;#ASMSTART
	v_max_f32 v3, v2, v2 row_bcast:15 row_mask:0xf bank_mask:0xf bound_ctrl:1
	;;#ASMEND
	;;#ASMSTART
	v_max_f32 v2, v3, v3 row_bcast:31 row_mask:0xf bank_mask:0xf bound_ctrl:1
	;;#ASMEND
	v_mbcnt_lo_u32_b32 v3, -1, 0
	v_mbcnt_hi_u32_b32 v3, -1, v3
	v_bfrev_b32_e32 v4, 0.5
	v_lshl_or_b32 v4, v3, 2, v4
	ds_bpermute_b32 v3, v4, v2
	v_mov_b32_e32 v2, 0
	s_and_saveexec_b64 s[18:19], vcc
	s_cbranch_execz .LBB254_14
; %bb.11:
	s_load_dword s2, s[4:5], 0x44
	v_lshl_add_u32 v5, v0, 2, 0
	s_mov_b64 s[20:21], 0
	v_mov_b32_e32 v2, 0
	s_mov_b32 s22, 0xc2fc0000
	s_waitcnt lgkmcnt(0)
	s_and_b32 s23, s2, 0xffff
	s_lshl_b32 s24, s23, 2
	v_mov_b32_e32 v6, 0x42800000
	v_mov_b32_e32 v7, 0x1f800000
	;; [unrolled: 1-line block ×3, first 2 shown]
.LBB254_12:                             ; =>This Inner Loop Header: Depth=1
	ds_read_b32 v9, v5
	v_add_u32_e32 v8, s23, v8
	v_cmp_le_i32_e64 s[8:9], s16, v8
	s_or_b64 s[20:21], s[8:9], s[20:21]
	s_waitcnt lgkmcnt(0)
	v_sub_f32_e32 v9, v9, v3
	v_mul_f32_e32 v10, 0x3fb8aa3b, v9
	v_cmp_gt_f32_e64 s[2:3], s22, v10
	v_cndmask_b32_e64 v10, 0, v6, s[2:3]
	v_fmac_f32_e32 v10, 0x3fb8aa3b, v9
	v_exp_f32_e32 v9, v10
	v_cndmask_b32_e64 v10, 1.0, v7, s[2:3]
	v_mul_f32_e32 v11, v9, v10
	v_fmac_f32_e32 v2, v9, v10
	ds_write_b32 v5, v11
	v_add_u32_e32 v5, s24, v5
	s_andn2_b64 exec, exec, s[20:21]
	s_cbranch_execnz .LBB254_12
; %bb.13:
	s_or_b64 exec, exec, s[20:21]
.LBB254_14:
	s_or_b64 exec, exec, s[18:19]
	s_waitcnt lgkmcnt(0)
	v_mov_b32_dpp v3, v2 quad_perm:[1,0,3,2] row_mask:0xf bank_mask:0xf
	v_add_f32_e32 v2, v2, v3
	s_nop 1
	v_mov_b32_dpp v3, v2 quad_perm:[2,3,0,1] row_mask:0xf bank_mask:0xf
	v_add_f32_e32 v2, v2, v3
	s_nop 1
	v_mov_b32_dpp v3, v2 row_half_mirror row_mask:0xf bank_mask:0xf
	v_add_f32_e32 v2, v2, v3
	s_nop 1
	v_mov_b32_dpp v3, v2 row_mirror row_mask:0xf bank_mask:0xf
	v_add_f32_e32 v2, v2, v3
	s_nop 1
	v_mov_b32_dpp v3, v2 row_bcast:15 row_mask:0xf bank_mask:0xf
	v_add_f32_e32 v2, v2, v3
	s_nop 1
	v_mov_b32_dpp v3, v2 row_bcast:31 row_mask:0xf bank_mask:0xf
	v_add_f32_e32 v2, v2, v3
	ds_bpermute_b32 v2, v4, v2
	s_and_saveexec_b64 s[8:9], vcc
	s_cbranch_execz .LBB254_19
; %bb.15:
	s_load_dword s20, s[4:5], 0x44
	s_waitcnt lgkmcnt(0)
	v_rcp_f32_e32 v5, v2
	s_cmp_lg_u64 s[10:11], 0
	s_cselect_b64 s[2:3], -1, 0
	v_cndmask_b32_e64 v2, 0, 1, s[2:3]
	s_and_b32 s20, s20, 0xffff
	s_mov_b64 s[18:19], 0
	v_lshl_add_u32 v6, v0, 2, 0
	s_lshl_b32 s21, s20, 2
	v_cmp_ne_u32_e64 s[2:3], 1, v2
	v_mov_b32_e32 v2, v0
	s_branch .LBB254_17
.LBB254_16:                             ;   in Loop: Header=BB254_17 Depth=1
	v_add_u32_e32 v2, s20, v2
	v_cmp_le_i32_e32 vcc, s16, v2
	s_or_b64 s[18:19], vcc, s[18:19]
	v_add_u32_e32 v6, s21, v6
	s_andn2_b64 exec, exec, s[18:19]
	s_cbranch_execz .LBB254_19
.LBB254_17:                             ; =>This Inner Loop Header: Depth=1
	ds_read_b32 v3, v6
	s_and_b64 vcc, exec, s[2:3]
	s_waitcnt lgkmcnt(0)
	v_mul_f32_e32 v7, v5, v3
	ds_write_b32 v6, v7
	s_cbranch_vccnz .LBB254_16
; %bb.18:                               ;   in Loop: Header=BB254_17 Depth=1
	v_ashrrev_i32_e32 v3, 31, v2
	v_lshlrev_b64 v[8:9], 1, v[2:3]
	v_mov_b32_e32 v3, s11
	v_add_co_u32_e32 v8, vcc, s10, v8
	v_addc_co_u32_e32 v9, vcc, v3, v9, vcc
	global_load_ushort v3, v[8:9], off
	s_waitcnt vmcnt(0)
	v_cvt_f32_f16_e32 v3, v3
	v_add_f32_e32 v3, v7, v3
	ds_write_b32 v6, v3
	s_branch .LBB254_16
.LBB254_19:
	s_or_b64 exec, exec, s[8:9]
	s_cmp_lt_i32 s17, 1
	s_waitcnt lgkmcnt(0)
	s_barrier
	s_cbranch_scc1 .LBB254_28
; %bb.20:
	s_add_u32 s2, s4, 56
	s_addc_u32 s3, s5, 0
	s_cmp_lg_u64 s[10:11], 0
	s_cselect_b64 s[8:9], -1, 0
	v_lshlrev_b32_e32 v5, 2, v0
	s_mov_b32 s16, 0
	v_mov_b32_e32 v2, 0
	v_mov_b32_e32 v6, 0
	;; [unrolled: 1-line block ×4, first 2 shown]
	s_branch .LBB254_22
.LBB254_21:                             ;   in Loop: Header=BB254_22 Depth=1
	s_lshl_b32 s19, s18, 2
	s_add_i32 s19, s19, 0
	v_mov_b32_e32 v8, s19
	ds_write_b32 v8, v7
	v_mov_b32_e32 v8, s18
	v_cmp_eq_u32_e32 vcc, s16, v0
	s_add_i32 s16, s16, 1
	v_cndmask_b32_e32 v2, v2, v8, vcc
	s_cmp_eq_u32 s16, s17
	v_cndmask_b32_e32 v3, v3, v10, vcc
	s_cbranch_scc1 .LBB254_29
.LBB254_22:                             ; =>This Loop Header: Depth=1
                                        ;     Child Loop BB254_24 Depth 2
	v_mov_b32_e32 v8, s16
	v_mov_b32_e32 v9, 0xff800000
	s_and_saveexec_b64 s[18:19], s[0:1]
	s_cbranch_execz .LBB254_26
; %bb.23:                               ;   in Loop: Header=BB254_22 Depth=1
	s_load_dword s22, s[2:3], 0xc
	s_mov_b64 s[20:21], 0
	v_mov_b32_e32 v8, s16
	v_mov_b32_e32 v9, 0xff800000
	v_mov_b32_e32 v10, v1
	s_waitcnt lgkmcnt(0)
	s_and_b32 s22, s22, 0xffff
	s_lshl_b32 s23, s22, 2
	s_lshl_b32 s24, s22, 4
	v_mov_b32_e32 v11, v5
	v_mov_b32_e32 v12, v0
.LBB254_24:                             ;   Parent Loop BB254_22 Depth=1
                                        ; =>  This Inner Loop Header: Depth=2
	ds_read_b128 v[14:17], v10
	v_add_u32_e32 v12, s22, v12
	v_cmp_le_i32_e32 vcc, s7, v12
	s_or_b64 s[20:21], vcc, s[20:21]
	v_add_u32_e32 v13, 1, v11
	s_waitcnt lgkmcnt(0)
	v_cmp_gt_f32_e32 vcc, v14, v9
	v_cndmask_b32_e32 v9, v9, v14, vcc
	v_cndmask_b32_e32 v8, v8, v11, vcc
	v_cmp_gt_f32_e32 vcc, v15, v9
	v_cndmask_b32_e32 v9, v9, v15, vcc
	v_cndmask_b32_e32 v8, v8, v13, vcc
	v_cmp_gt_f32_e32 vcc, v16, v9
	v_add_u32_e32 v18, 2, v11
	v_cndmask_b32_e32 v9, v9, v16, vcc
	v_add_u32_e32 v19, 3, v11
	v_cndmask_b32_e32 v8, v8, v18, vcc
	v_cmp_gt_f32_e32 vcc, v17, v9
	v_add_u32_e32 v10, s24, v10
	v_add_u32_e32 v11, s23, v11
	v_cndmask_b32_e32 v9, v9, v17, vcc
	v_cndmask_b32_e32 v8, v8, v19, vcc
	s_andn2_b64 exec, exec, s[20:21]
	s_cbranch_execnz .LBB254_24
; %bb.25:                               ;   in Loop: Header=BB254_22 Depth=1
	s_or_b64 exec, exec, s[20:21]
.LBB254_26:                             ;   in Loop: Header=BB254_22 Depth=1
	s_or_b64 exec, exec, s[18:19]
	;;#ASMSTART
	v_max_f32 v10, v9, v9 quad_perm:[1,0,3,2] row_mask:0xf bank_mask:0xf bound_ctrl:1
	;;#ASMEND
	;;#ASMSTART
	v_max_f32 v11, v10, v10 quad_perm:[2,3,0,1] row_mask:0xf bank_mask:0xf bound_ctrl:1
	;;#ASMEND
	;;#ASMSTART
	v_max_f32 v10, v11, v11 row_half_mirror row_mask:0xf bank_mask:0xf bound_ctrl:1
	;;#ASMEND
	;;#ASMSTART
	v_max_f32 v11, v10, v10 row_mirror row_mask:0xf bank_mask:0xf bound_ctrl:1
	;;#ASMEND
	;;#ASMSTART
	v_max_f32 v10, v11, v11 row_ror:4 row_mask:0xf bank_mask:0xf bound_ctrl:1
	;;#ASMEND
	;;#ASMSTART
	v_max_f32 v11, v10, v10 row_ror:8 row_mask:0xf bank_mask:0xf bound_ctrl:1
	;;#ASMEND
	;;#ASMSTART
	v_max_f32 v10, v11, v11 row_bcast:15 row_mask:0xf bank_mask:0xf bound_ctrl:1
	;;#ASMEND
	;;#ASMSTART
	v_max_f32 v11, v10, v10 row_bcast:31 row_mask:0xf bank_mask:0xf bound_ctrl:1
	;;#ASMEND
	ds_bpermute_b32 v10, v4, v11
	s_waitcnt lgkmcnt(0)
	v_cmp_eq_f32_e32 vcc, v9, v10
	s_ff1_i32_b64 s18, vcc
	s_cmp_lg_u64 vcc, 0
	s_cselect_b32 s18, s18, 0
	s_and_b64 vcc, exec, s[8:9]
	v_readlane_b32 s18, v8, s18
	s_cbranch_vccz .LBB254_21
; %bb.27:                               ;   in Loop: Header=BB254_22 Depth=1
	s_ashr_i32 s19, s18, 31
	s_lshl_b64 s[20:21], s[18:19], 1
	s_add_u32 s20, s10, s20
	s_addc_u32 s21, s11, s21
	global_load_ushort v8, v6, s[20:21]
	s_waitcnt vmcnt(0)
	v_cvt_f32_f16_e32 v8, v8
	v_sub_f32_e32 v10, v10, v8
	s_branch .LBB254_21
.LBB254_28:
	v_mov_b32_e32 v3, 0
	v_mov_b32_e32 v2, 0
.LBB254_29:
	v_cmp_gt_i32_e32 vcc, s17, v0
	s_and_saveexec_b64 s[0:1], vcc
	s_cbranch_execz .LBB254_32
; %bb.30:
	s_load_dword s2, s[4:5], 0x34
	s_load_dwordx2 s[0:1], s[4:5], 0x20
	s_ashr_i32 s3, s6, 31
	s_load_dword s4, s[4:5], 0x44
	v_mov_b32_e32 v4, s13
	s_waitcnt lgkmcnt(0)
	v_mul_f32_e32 v1, s2, v3
	s_mul_i32 s1, s6, s1
	s_mul_hi_u32 s2, s6, s0
	s_add_i32 s1, s2, s1
	s_mul_i32 s3, s3, s0
	s_add_i32 s5, s1, s3
	s_mul_i32 s2, s6, s0
	s_and_b32 s3, s4, 0xffff
	s_mov_b64 s[0:1], 0
	v_mov_b32_e32 v3, s5
	v_mov_b32_e32 v5, s15
.LBB254_31:                             ; =>This Inner Loop Header: Depth=1
	v_ashrrev_i32_e32 v7, 31, v0
	v_add_co_u32_e32 v6, vcc, s2, v0
	v_addc_co_u32_e32 v7, vcc, v3, v7, vcc
	v_add_u32_e32 v0, s3, v0
	v_cmp_le_i32_e32 vcc, s17, v0
	v_lshlrev_b64 v[6:7], 2, v[6:7]
	s_or_b64 s[0:1], vcc, s[0:1]
	v_add_co_u32_e32 v8, vcc, s12, v6
	v_addc_co_u32_e32 v9, vcc, v4, v7, vcc
	v_add_co_u32_e32 v6, vcc, s14, v6
	v_addc_co_u32_e32 v7, vcc, v5, v7, vcc
	global_store_dword v[8:9], v1, off
	global_store_dword v[6:7], v2, off
	s_andn2_b64 exec, exec, s[0:1]
	s_cbranch_execnz .LBB254_31
.LBB254_32:
	s_endpgm
	.section	.rodata,"a",@progbits
	.p2align	6, 0x0
	.amdhsa_kernel _ZN5aiter20topk_softplus_kernelI12hip_bfloat166__halfDv4_fLb0ELi2EEEvPKT_PKT0_PfPimiiif
		.amdhsa_group_segment_fixed_size 0
		.amdhsa_private_segment_fixed_size 0
		.amdhsa_kernarg_size 312
		.amdhsa_user_sgpr_count 6
		.amdhsa_user_sgpr_private_segment_buffer 1
		.amdhsa_user_sgpr_dispatch_ptr 0
		.amdhsa_user_sgpr_queue_ptr 0
		.amdhsa_user_sgpr_kernarg_segment_ptr 1
		.amdhsa_user_sgpr_dispatch_id 0
		.amdhsa_user_sgpr_flat_scratch_init 0
		.amdhsa_user_sgpr_kernarg_preload_length 0
		.amdhsa_user_sgpr_kernarg_preload_offset 0
		.amdhsa_user_sgpr_private_segment_size 0
		.amdhsa_uses_dynamic_stack 0
		.amdhsa_system_sgpr_private_segment_wavefront_offset 0
		.amdhsa_system_sgpr_workgroup_id_x 1
		.amdhsa_system_sgpr_workgroup_id_y 0
		.amdhsa_system_sgpr_workgroup_id_z 0
		.amdhsa_system_sgpr_workgroup_info 0
		.amdhsa_system_vgpr_workitem_id 0
		.amdhsa_next_free_vgpr 20
		.amdhsa_next_free_sgpr 26
		.amdhsa_accum_offset 20
		.amdhsa_reserve_vcc 1
		.amdhsa_reserve_flat_scratch 0
		.amdhsa_float_round_mode_32 0
		.amdhsa_float_round_mode_16_64 0
		.amdhsa_float_denorm_mode_32 3
		.amdhsa_float_denorm_mode_16_64 3
		.amdhsa_dx10_clamp 1
		.amdhsa_ieee_mode 1
		.amdhsa_fp16_overflow 0
		.amdhsa_tg_split 0
		.amdhsa_exception_fp_ieee_invalid_op 0
		.amdhsa_exception_fp_denorm_src 0
		.amdhsa_exception_fp_ieee_div_zero 0
		.amdhsa_exception_fp_ieee_overflow 0
		.amdhsa_exception_fp_ieee_underflow 0
		.amdhsa_exception_fp_ieee_inexact 0
		.amdhsa_exception_int_div_zero 0
	.end_amdhsa_kernel
	.section	.text._ZN5aiter20topk_softplus_kernelI12hip_bfloat166__halfDv4_fLb0ELi2EEEvPKT_PKT0_PfPimiiif,"axG",@progbits,_ZN5aiter20topk_softplus_kernelI12hip_bfloat166__halfDv4_fLb0ELi2EEEvPKT_PKT0_PfPimiiif,comdat
.Lfunc_end254:
	.size	_ZN5aiter20topk_softplus_kernelI12hip_bfloat166__halfDv4_fLb0ELi2EEEvPKT_PKT0_PfPimiiif, .Lfunc_end254-_ZN5aiter20topk_softplus_kernelI12hip_bfloat166__halfDv4_fLb0ELi2EEEvPKT_PKT0_PfPimiiif
                                        ; -- End function
	.section	.AMDGPU.csdata,"",@progbits
; Kernel info:
; codeLenInByte = 1740
; NumSgprs: 30
; NumVgprs: 20
; NumAgprs: 0
; TotalNumVgprs: 20
; ScratchSize: 0
; MemoryBound: 0
; FloatMode: 240
; IeeeMode: 1
; LDSByteSize: 0 bytes/workgroup (compile time only)
; SGPRBlocks: 3
; VGPRBlocks: 2
; NumSGPRsForWavesPerEU: 30
; NumVGPRsForWavesPerEU: 20
; AccumOffset: 20
; Occupancy: 8
; WaveLimiterHint : 0
; COMPUTE_PGM_RSRC2:SCRATCH_EN: 0
; COMPUTE_PGM_RSRC2:USER_SGPR: 6
; COMPUTE_PGM_RSRC2:TRAP_HANDLER: 0
; COMPUTE_PGM_RSRC2:TGID_X_EN: 1
; COMPUTE_PGM_RSRC2:TGID_Y_EN: 0
; COMPUTE_PGM_RSRC2:TGID_Z_EN: 0
; COMPUTE_PGM_RSRC2:TIDIG_COMP_CNT: 0
; COMPUTE_PGM_RSRC3_GFX90A:ACCUM_OFFSET: 4
; COMPUTE_PGM_RSRC3_GFX90A:TG_SPLIT: 0
	.section	.text._ZN5aiter20topk_softplus_kernelI12hip_bfloat166__halfDv2_fLb1ELi2EEEvPKT_PKT0_PfPimiiif,"axG",@progbits,_ZN5aiter20topk_softplus_kernelI12hip_bfloat166__halfDv2_fLb1ELi2EEEvPKT_PKT0_PfPimiiif,comdat
	.protected	_ZN5aiter20topk_softplus_kernelI12hip_bfloat166__halfDv2_fLb1ELi2EEEvPKT_PKT0_PfPimiiif ; -- Begin function _ZN5aiter20topk_softplus_kernelI12hip_bfloat166__halfDv2_fLb1ELi2EEEvPKT_PKT0_PfPimiiif
	.globl	_ZN5aiter20topk_softplus_kernelI12hip_bfloat166__halfDv2_fLb1ELi2EEEvPKT_PKT0_PfPimiiif
	.p2align	8
	.type	_ZN5aiter20topk_softplus_kernelI12hip_bfloat166__halfDv2_fLb1ELi2EEEvPKT_PKT0_PfPimiiif,@function
_ZN5aiter20topk_softplus_kernelI12hip_bfloat166__halfDv2_fLb1ELi2EEEvPKT_PKT0_PfPimiiif: ; @_ZN5aiter20topk_softplus_kernelI12hip_bfloat166__halfDv2_fLb1ELi2EEEvPKT_PKT0_PfPimiiif
; %bb.0:
	s_load_dwordx2 s[16:17], s[4:5], 0x28
	s_load_dwordx8 s[8:15], s[4:5], 0x0
	v_lshl_add_u32 v1, v0, 3, 0
	s_waitcnt lgkmcnt(0)
	s_lshr_b32 s0, s16, 31
	s_add_i32 s0, s16, s0
	s_mul_i32 s2, s6, s16
	s_ashr_i32 s7, s0, 1
	s_ashr_i32 s3, s2, 31
	v_cmp_gt_i32_e64 s[0:1], s7, v0
	s_and_saveexec_b64 s[18:19], s[0:1]
	s_cbranch_execz .LBB255_3
; %bb.1:
	s_load_dword s22, s[4:5], 0x44
	s_lshl_b64 s[20:21], s[2:3], 1
	v_lshlrev_b32_e32 v2, 2, v0
	s_mov_b32 s25, 0
	v_lshl_add_u32 v4, v0, 3, 0
	s_waitcnt lgkmcnt(0)
	s_and_b32 s22, s22, 0xffff
	s_add_u32 s20, s8, s20
	s_addc_u32 s21, s9, s21
	v_mov_b32_e32 v3, s21
	v_add_co_u32_e32 v2, vcc, s20, v2
	v_addc_co_u32_e32 v3, vcc, 0, v3, vcc
	s_lshl_b32 s23, s22, 2
	s_lshl_b32 s24, s22, 3
	s_mov_b64 s[20:21], 0
	v_mov_b32_e32 v5, s25
	v_mov_b32_e32 v6, v0
.LBB255_2:                              ; =>This Inner Loop Header: Depth=1
	global_load_dword v7, v[2:3], off
	v_add_co_u32_e32 v2, vcc, s23, v2
	v_add_u32_e32 v6, s22, v6
	v_addc_co_u32_e32 v3, vcc, v3, v5, vcc
	v_cmp_le_i32_e32 vcc, s7, v6
	s_or_b64 s[20:21], vcc, s[20:21]
	s_waitcnt vmcnt(0)
	v_cvt_f32_u32_sdwa v9, v7 dst_sel:DWORD dst_unused:UNUSED_PAD src0_sel:WORD_1
	v_cvt_f32_u32_sdwa v8, v7 dst_sel:DWORD dst_unused:UNUSED_PAD src0_sel:WORD_0
	ds_write_b64 v4, v[8:9]
	v_add_u32_e32 v4, s24, v4
	s_andn2_b64 exec, exec, s[20:21]
	s_cbranch_execnz .LBB255_2
.LBB255_3:
	s_or_b64 exec, exec, s[18:19]
	v_lshl_add_u32 v2, s7, 1, v0
	v_cmp_gt_i32_e32 vcc, s16, v2
	s_and_saveexec_b64 s[18:19], vcc
	s_cbranch_execz .LBB255_6
; %bb.4:
	s_load_dword s20, s[4:5], 0x44
	s_lshl_b64 s[2:3], s[2:3], 1
	s_add_u32 s8, s8, s2
	s_addc_u32 s21, s9, s3
	s_lshl_b32 s2, s7, 3
	s_waitcnt lgkmcnt(0)
	s_and_b32 s9, s20, 0xffff
	s_add_i32 s2, s2, 0
	v_lshl_add_u32 v4, v0, 2, s2
	s_lshl_b32 s20, s9, 2
	s_mov_b64 s[2:3], 0
	v_mov_b32_e32 v5, s21
.LBB255_5:                              ; =>This Inner Loop Header: Depth=1
	v_ashrrev_i32_e32 v3, 31, v2
	v_lshlrev_b64 v[6:7], 1, v[2:3]
	v_add_co_u32_e32 v6, vcc, s8, v6
	v_addc_co_u32_e32 v7, vcc, v5, v7, vcc
	global_load_ushort v3, v[6:7], off
	v_add_u32_e32 v2, s9, v2
	v_cmp_le_i32_e32 vcc, s16, v2
	s_or_b64 s[2:3], vcc, s[2:3]
	s_waitcnt vmcnt(0)
	v_lshlrev_b32_e32 v3, 16, v3
	ds_write_b32 v4, v3
	v_add_u32_e32 v4, s20, v4
	s_andn2_b64 exec, exec, s[2:3]
	s_cbranch_execnz .LBB255_5
.LBB255_6:
	s_or_b64 exec, exec, s[18:19]
	v_cmp_gt_i32_e32 vcc, s16, v0
	v_mov_b32_e32 v2, 0xff800000
	s_waitcnt lgkmcnt(0)
	s_barrier
	s_and_saveexec_b64 s[8:9], vcc
	s_cbranch_execz .LBB255_10
; %bb.7:
	s_load_dword s2, s[4:5], 0x44
	v_lshl_add_u32 v3, v0, 2, 0
	s_mov_b64 s[18:19], 0
	v_mov_b32_e32 v2, 0xff800000
	v_mov_b32_e32 v4, v0
	s_waitcnt lgkmcnt(0)
	s_and_b32 s20, s2, 0xffff
	s_lshl_b32 s21, s20, 2
.LBB255_8:                              ; =>This Inner Loop Header: Depth=1
	ds_read_b32 v5, v3
	v_add_u32_e32 v4, s20, v4
	v_max_f32_e32 v2, v2, v2
	v_cmp_le_i32_e64 s[2:3], s16, v4
	v_add_u32_e32 v3, s21, v3
	s_waitcnt lgkmcnt(0)
	v_max_f32_e32 v5, v5, v5
	s_or_b64 s[18:19], s[2:3], s[18:19]
	v_max_f32_e32 v2, v2, v5
	s_andn2_b64 exec, exec, s[18:19]
	s_cbranch_execnz .LBB255_8
; %bb.9:
	s_or_b64 exec, exec, s[18:19]
.LBB255_10:
	s_or_b64 exec, exec, s[8:9]
	;;#ASMSTART
	v_max_f32 v3, v2, v2 quad_perm:[1,0,3,2] row_mask:0xf bank_mask:0xf bound_ctrl:1
	;;#ASMEND
	;;#ASMSTART
	v_max_f32 v2, v3, v3 quad_perm:[2,3,0,1] row_mask:0xf bank_mask:0xf bound_ctrl:1
	;;#ASMEND
	;;#ASMSTART
	v_max_f32 v3, v2, v2 row_half_mirror row_mask:0xf bank_mask:0xf bound_ctrl:1
	;;#ASMEND
	;;#ASMSTART
	v_max_f32 v2, v3, v3 row_mirror row_mask:0xf bank_mask:0xf bound_ctrl:1
	;;#ASMEND
	;;#ASMSTART
	v_max_f32 v3, v2, v2 row_ror:4 row_mask:0xf bank_mask:0xf bound_ctrl:1
	;;#ASMEND
	;;#ASMSTART
	v_max_f32 v2, v3, v3 row_ror:8 row_mask:0xf bank_mask:0xf bound_ctrl:1
	;;#ASMEND
	;;#ASMSTART
	v_max_f32 v3, v2, v2 row_bcast:15 row_mask:0xf bank_mask:0xf bound_ctrl:1
	;;#ASMEND
	;;#ASMSTART
	v_max_f32 v2, v3, v3 row_bcast:31 row_mask:0xf bank_mask:0xf bound_ctrl:1
	;;#ASMEND
	v_mbcnt_lo_u32_b32 v3, -1, 0
	v_mbcnt_hi_u32_b32 v3, -1, v3
	v_bfrev_b32_e32 v4, 0.5
	v_lshl_or_b32 v4, v3, 2, v4
	ds_bpermute_b32 v3, v4, v2
	v_mov_b32_e32 v2, 0
	s_and_saveexec_b64 s[18:19], vcc
	s_cbranch_execz .LBB255_14
; %bb.11:
	s_load_dword s2, s[4:5], 0x44
	v_lshl_add_u32 v5, v0, 2, 0
	s_mov_b64 s[20:21], 0
	v_mov_b32_e32 v2, 0
	s_mov_b32 s22, 0xc2fc0000
	s_waitcnt lgkmcnt(0)
	s_and_b32 s23, s2, 0xffff
	s_lshl_b32 s24, s23, 2
	v_mov_b32_e32 v6, 0x42800000
	v_mov_b32_e32 v7, 0x1f800000
	;; [unrolled: 1-line block ×3, first 2 shown]
.LBB255_12:                             ; =>This Inner Loop Header: Depth=1
	ds_read_b32 v9, v5
	v_add_u32_e32 v8, s23, v8
	v_cmp_le_i32_e64 s[8:9], s16, v8
	s_or_b64 s[20:21], s[8:9], s[20:21]
	s_waitcnt lgkmcnt(0)
	v_sub_f32_e32 v9, v9, v3
	v_mul_f32_e32 v10, 0x3fb8aa3b, v9
	v_cmp_gt_f32_e64 s[2:3], s22, v10
	v_cndmask_b32_e64 v10, 0, v6, s[2:3]
	v_fmac_f32_e32 v10, 0x3fb8aa3b, v9
	v_exp_f32_e32 v9, v10
	v_cndmask_b32_e64 v10, 1.0, v7, s[2:3]
	v_mul_f32_e32 v11, v9, v10
	v_fmac_f32_e32 v2, v9, v10
	ds_write_b32 v5, v11
	v_add_u32_e32 v5, s24, v5
	s_andn2_b64 exec, exec, s[20:21]
	s_cbranch_execnz .LBB255_12
; %bb.13:
	s_or_b64 exec, exec, s[20:21]
.LBB255_14:
	s_or_b64 exec, exec, s[18:19]
	s_waitcnt lgkmcnt(0)
	v_mov_b32_dpp v3, v2 quad_perm:[1,0,3,2] row_mask:0xf bank_mask:0xf
	v_add_f32_e32 v2, v2, v3
	s_nop 1
	v_mov_b32_dpp v3, v2 quad_perm:[2,3,0,1] row_mask:0xf bank_mask:0xf
	v_add_f32_e32 v2, v2, v3
	s_nop 1
	v_mov_b32_dpp v3, v2 row_half_mirror row_mask:0xf bank_mask:0xf
	v_add_f32_e32 v2, v2, v3
	s_nop 1
	v_mov_b32_dpp v3, v2 row_mirror row_mask:0xf bank_mask:0xf
	v_add_f32_e32 v2, v2, v3
	s_nop 1
	v_mov_b32_dpp v3, v2 row_bcast:15 row_mask:0xf bank_mask:0xf
	v_add_f32_e32 v2, v2, v3
	s_nop 1
	v_mov_b32_dpp v3, v2 row_bcast:31 row_mask:0xf bank_mask:0xf
	v_add_f32_e32 v2, v2, v3
	ds_bpermute_b32 v2, v4, v2
	s_and_saveexec_b64 s[8:9], vcc
	s_cbranch_execz .LBB255_19
; %bb.15:
	s_load_dword s20, s[4:5], 0x44
	s_waitcnt lgkmcnt(0)
	v_rcp_f32_e32 v5, v2
	s_cmp_lg_u64 s[10:11], 0
	s_cselect_b64 s[2:3], -1, 0
	v_cndmask_b32_e64 v2, 0, 1, s[2:3]
	s_and_b32 s20, s20, 0xffff
	s_mov_b64 s[18:19], 0
	v_lshl_add_u32 v6, v0, 2, 0
	s_lshl_b32 s21, s20, 2
	v_cmp_ne_u32_e64 s[2:3], 1, v2
	v_mov_b32_e32 v2, v0
	s_branch .LBB255_17
.LBB255_16:                             ;   in Loop: Header=BB255_17 Depth=1
	v_add_u32_e32 v2, s20, v2
	v_cmp_le_i32_e32 vcc, s16, v2
	s_or_b64 s[18:19], vcc, s[18:19]
	v_add_u32_e32 v6, s21, v6
	s_andn2_b64 exec, exec, s[18:19]
	s_cbranch_execz .LBB255_19
.LBB255_17:                             ; =>This Inner Loop Header: Depth=1
	ds_read_b32 v3, v6
	s_and_b64 vcc, exec, s[2:3]
	s_waitcnt lgkmcnt(0)
	v_mul_f32_e32 v7, v5, v3
	ds_write_b32 v6, v7
	s_cbranch_vccnz .LBB255_16
; %bb.18:                               ;   in Loop: Header=BB255_17 Depth=1
	v_ashrrev_i32_e32 v3, 31, v2
	v_lshlrev_b64 v[8:9], 1, v[2:3]
	v_mov_b32_e32 v3, s11
	v_add_co_u32_e32 v8, vcc, s10, v8
	v_addc_co_u32_e32 v9, vcc, v3, v9, vcc
	global_load_ushort v3, v[8:9], off
	s_waitcnt vmcnt(0)
	v_cvt_f32_f16_e32 v3, v3
	v_add_f32_e32 v3, v7, v3
	ds_write_b32 v6, v3
	s_branch .LBB255_16
.LBB255_19:
	s_or_b64 exec, exec, s[8:9]
	s_cmp_lt_i32 s17, 1
	v_mov_b32_e32 v3, 0
	s_waitcnt lgkmcnt(0)
	s_barrier
	s_cbranch_scc1 .LBB255_28
; %bb.20:
	s_add_u32 s2, s4, 56
	s_addc_u32 s3, s5, 0
	s_cmp_lg_u64 s[10:11], 0
	s_cselect_b64 s[8:9], -1, 0
	v_lshlrev_b32_e32 v6, 1, v0
	s_mov_b32 s16, 0
	v_mov_b32_e32 v3, 0
	v_mov_b32_e32 v7, 0
	;; [unrolled: 1-line block ×5, first 2 shown]
	s_branch .LBB255_22
.LBB255_21:                             ;   in Loop: Header=BB255_22 Depth=1
	s_lshl_b32 s19, s18, 2
	s_add_i32 s19, s19, 0
	v_mov_b32_e32 v9, s19
	ds_write_b32 v9, v8
	v_mov_b32_e32 v9, s18
	v_cmp_eq_u32_e32 vcc, s16, v0
	s_add_i32 s16, s16, 1
	v_cndmask_b32_e32 v2, v2, v9, vcc
	v_cndmask_b32_e32 v3, v3, v11, vcc
	s_cmp_eq_u32 s16, s17
	v_add_f32_e32 v5, v5, v11
	s_cbranch_scc1 .LBB255_29
.LBB255_22:                             ; =>This Loop Header: Depth=1
                                        ;     Child Loop BB255_24 Depth 2
	v_mov_b32_e32 v9, s16
	v_mov_b32_e32 v10, 0xff800000
	s_and_saveexec_b64 s[18:19], s[0:1]
	s_cbranch_execz .LBB255_26
; %bb.23:                               ;   in Loop: Header=BB255_22 Depth=1
	s_load_dword s22, s[2:3], 0xc
	s_mov_b64 s[20:21], 0
	v_mov_b32_e32 v9, s16
	v_mov_b32_e32 v10, 0xff800000
	;; [unrolled: 1-line block ×3, first 2 shown]
	s_waitcnt lgkmcnt(0)
	s_and_b32 s22, s22, 0xffff
	s_lshl_b32 s23, s22, 1
	s_lshl_b32 s24, s22, 3
	v_mov_b32_e32 v12, v6
	v_mov_b32_e32 v13, v0
.LBB255_24:                             ;   Parent Loop BB255_22 Depth=1
                                        ; =>  This Inner Loop Header: Depth=2
	ds_read_b64 v[14:15], v11
	v_add_u32_e32 v13, s22, v13
	v_cmp_le_i32_e32 vcc, s7, v13
	s_or_b64 s[20:21], vcc, s[20:21]
	v_add_u32_e32 v16, 1, v12
	s_waitcnt lgkmcnt(0)
	v_cmp_gt_f32_e32 vcc, v14, v10
	v_cndmask_b32_e32 v10, v10, v14, vcc
	v_cndmask_b32_e32 v9, v9, v12, vcc
	v_cmp_gt_f32_e32 vcc, v15, v10
	v_add_u32_e32 v11, s24, v11
	v_cndmask_b32_e32 v10, v10, v15, vcc
	v_add_u32_e32 v12, s23, v12
	v_cndmask_b32_e32 v9, v9, v16, vcc
	s_andn2_b64 exec, exec, s[20:21]
	s_cbranch_execnz .LBB255_24
; %bb.25:                               ;   in Loop: Header=BB255_22 Depth=1
	s_or_b64 exec, exec, s[20:21]
.LBB255_26:                             ;   in Loop: Header=BB255_22 Depth=1
	s_or_b64 exec, exec, s[18:19]
	;;#ASMSTART
	v_max_f32 v11, v10, v10 quad_perm:[1,0,3,2] row_mask:0xf bank_mask:0xf bound_ctrl:1
	;;#ASMEND
	;;#ASMSTART
	v_max_f32 v12, v11, v11 quad_perm:[2,3,0,1] row_mask:0xf bank_mask:0xf bound_ctrl:1
	;;#ASMEND
	;;#ASMSTART
	v_max_f32 v11, v12, v12 row_half_mirror row_mask:0xf bank_mask:0xf bound_ctrl:1
	;;#ASMEND
	;;#ASMSTART
	v_max_f32 v12, v11, v11 row_mirror row_mask:0xf bank_mask:0xf bound_ctrl:1
	;;#ASMEND
	;;#ASMSTART
	v_max_f32 v11, v12, v12 row_ror:4 row_mask:0xf bank_mask:0xf bound_ctrl:1
	;;#ASMEND
	;;#ASMSTART
	v_max_f32 v12, v11, v11 row_ror:8 row_mask:0xf bank_mask:0xf bound_ctrl:1
	;;#ASMEND
	;;#ASMSTART
	v_max_f32 v11, v12, v12 row_bcast:15 row_mask:0xf bank_mask:0xf bound_ctrl:1
	;;#ASMEND
	;;#ASMSTART
	v_max_f32 v12, v11, v11 row_bcast:31 row_mask:0xf bank_mask:0xf bound_ctrl:1
	;;#ASMEND
	ds_bpermute_b32 v11, v4, v12
	s_waitcnt lgkmcnt(0)
	v_cmp_eq_f32_e32 vcc, v10, v11
	s_ff1_i32_b64 s18, vcc
	s_cmp_lg_u64 vcc, 0
	s_cselect_b32 s18, s18, 0
	s_and_b64 vcc, exec, s[8:9]
	v_readlane_b32 s18, v9, s18
	s_cbranch_vccz .LBB255_21
; %bb.27:                               ;   in Loop: Header=BB255_22 Depth=1
	s_ashr_i32 s19, s18, 31
	s_lshl_b64 s[20:21], s[18:19], 1
	s_add_u32 s20, s10, s20
	s_addc_u32 s21, s11, s21
	global_load_ushort v9, v7, s[20:21]
	s_waitcnt vmcnt(0)
	v_cvt_f32_f16_e32 v9, v9
	v_sub_f32_e32 v11, v11, v9
	s_branch .LBB255_21
.LBB255_28:
	v_mov_b32_e32 v2, 0
	v_mov_b32_e32 v5, 0
.LBB255_29:
	v_cmp_gt_i32_e32 vcc, s17, v0
	s_and_saveexec_b64 s[0:1], vcc
	s_cbranch_execz .LBB255_32
; %bb.30:
	s_load_dword s2, s[4:5], 0x34
	v_max_f32_e32 v1, v5, v5
	v_max_f32_e32 v1, 0x1e3ce508, v1
	s_load_dword s3, s[4:5], 0x44
	s_waitcnt lgkmcnt(0)
	v_div_scale_f32 v4, s[0:1], v1, v1, s2
	s_load_dwordx2 s[0:1], s[4:5], 0x20
	v_rcp_f32_e32 v5, v4
	v_div_scale_f32 v6, vcc, s2, v1, s2
	s_and_b32 s3, s3, 0xffff
	v_fma_f32 v7, -v4, v5, 1.0
	v_fmac_f32_e32 v5, v7, v5
	v_mul_f32_e32 v7, v6, v5
	v_fma_f32 v8, -v4, v7, v6
	v_fmac_f32_e32 v7, v8, v5
	v_fma_f32 v4, -v4, v7, v6
	v_div_fmas_f32 v4, v4, v5, v7
	v_div_fixup_f32 v1, v4, v1, s2
	s_ashr_i32 s2, s6, 31
	s_waitcnt lgkmcnt(0)
	s_mul_i32 s1, s6, s1
	s_mul_hi_u32 s4, s6, s0
	s_add_i32 s1, s4, s1
	s_mul_i32 s2, s2, s0
	s_add_i32 s4, s1, s2
	v_mul_f32_e32 v1, v3, v1
	s_mul_i32 s2, s6, s0
	s_mov_b64 s[0:1], 0
	v_mov_b32_e32 v3, s4
	v_mov_b32_e32 v4, s13
	;; [unrolled: 1-line block ×3, first 2 shown]
.LBB255_31:                             ; =>This Inner Loop Header: Depth=1
	v_ashrrev_i32_e32 v7, 31, v0
	v_add_co_u32_e32 v6, vcc, s2, v0
	v_addc_co_u32_e32 v7, vcc, v3, v7, vcc
	v_add_u32_e32 v0, s3, v0
	v_cmp_le_i32_e32 vcc, s17, v0
	v_lshlrev_b64 v[6:7], 2, v[6:7]
	s_or_b64 s[0:1], vcc, s[0:1]
	v_add_co_u32_e32 v8, vcc, s12, v6
	v_addc_co_u32_e32 v9, vcc, v4, v7, vcc
	v_add_co_u32_e32 v6, vcc, s14, v6
	v_addc_co_u32_e32 v7, vcc, v5, v7, vcc
	global_store_dword v[8:9], v1, off
	global_store_dword v[6:7], v2, off
	s_andn2_b64 exec, exec, s[0:1]
	s_cbranch_execnz .LBB255_31
.LBB255_32:
	s_endpgm
	.section	.rodata,"a",@progbits
	.p2align	6, 0x0
	.amdhsa_kernel _ZN5aiter20topk_softplus_kernelI12hip_bfloat166__halfDv2_fLb1ELi2EEEvPKT_PKT0_PfPimiiif
		.amdhsa_group_segment_fixed_size 0
		.amdhsa_private_segment_fixed_size 0
		.amdhsa_kernarg_size 312
		.amdhsa_user_sgpr_count 6
		.amdhsa_user_sgpr_private_segment_buffer 1
		.amdhsa_user_sgpr_dispatch_ptr 0
		.amdhsa_user_sgpr_queue_ptr 0
		.amdhsa_user_sgpr_kernarg_segment_ptr 1
		.amdhsa_user_sgpr_dispatch_id 0
		.amdhsa_user_sgpr_flat_scratch_init 0
		.amdhsa_user_sgpr_kernarg_preload_length 0
		.amdhsa_user_sgpr_kernarg_preload_offset 0
		.amdhsa_user_sgpr_private_segment_size 0
		.amdhsa_uses_dynamic_stack 0
		.amdhsa_system_sgpr_private_segment_wavefront_offset 0
		.amdhsa_system_sgpr_workgroup_id_x 1
		.amdhsa_system_sgpr_workgroup_id_y 0
		.amdhsa_system_sgpr_workgroup_id_z 0
		.amdhsa_system_sgpr_workgroup_info 0
		.amdhsa_system_vgpr_workitem_id 0
		.amdhsa_next_free_vgpr 17
		.amdhsa_next_free_sgpr 26
		.amdhsa_accum_offset 20
		.amdhsa_reserve_vcc 1
		.amdhsa_reserve_flat_scratch 0
		.amdhsa_float_round_mode_32 0
		.amdhsa_float_round_mode_16_64 0
		.amdhsa_float_denorm_mode_32 3
		.amdhsa_float_denorm_mode_16_64 3
		.amdhsa_dx10_clamp 1
		.amdhsa_ieee_mode 1
		.amdhsa_fp16_overflow 0
		.amdhsa_tg_split 0
		.amdhsa_exception_fp_ieee_invalid_op 0
		.amdhsa_exception_fp_denorm_src 0
		.amdhsa_exception_fp_ieee_div_zero 0
		.amdhsa_exception_fp_ieee_overflow 0
		.amdhsa_exception_fp_ieee_underflow 0
		.amdhsa_exception_fp_ieee_inexact 0
		.amdhsa_exception_int_div_zero 0
	.end_amdhsa_kernel
	.section	.text._ZN5aiter20topk_softplus_kernelI12hip_bfloat166__halfDv2_fLb1ELi2EEEvPKT_PKT0_PfPimiiif,"axG",@progbits,_ZN5aiter20topk_softplus_kernelI12hip_bfloat166__halfDv2_fLb1ELi2EEEvPKT_PKT0_PfPimiiif,comdat
.Lfunc_end255:
	.size	_ZN5aiter20topk_softplus_kernelI12hip_bfloat166__halfDv2_fLb1ELi2EEEvPKT_PKT0_PfPimiiif, .Lfunc_end255-_ZN5aiter20topk_softplus_kernelI12hip_bfloat166__halfDv2_fLb1ELi2EEEvPKT_PKT0_PfPimiiif
                                        ; -- End function
	.section	.AMDGPU.csdata,"",@progbits
; Kernel info:
; codeLenInByte = 1788
; NumSgprs: 30
; NumVgprs: 17
; NumAgprs: 0
; TotalNumVgprs: 17
; ScratchSize: 0
; MemoryBound: 0
; FloatMode: 240
; IeeeMode: 1
; LDSByteSize: 0 bytes/workgroup (compile time only)
; SGPRBlocks: 3
; VGPRBlocks: 2
; NumSGPRsForWavesPerEU: 30
; NumVGPRsForWavesPerEU: 17
; AccumOffset: 20
; Occupancy: 8
; WaveLimiterHint : 0
; COMPUTE_PGM_RSRC2:SCRATCH_EN: 0
; COMPUTE_PGM_RSRC2:USER_SGPR: 6
; COMPUTE_PGM_RSRC2:TRAP_HANDLER: 0
; COMPUTE_PGM_RSRC2:TGID_X_EN: 1
; COMPUTE_PGM_RSRC2:TGID_Y_EN: 0
; COMPUTE_PGM_RSRC2:TGID_Z_EN: 0
; COMPUTE_PGM_RSRC2:TIDIG_COMP_CNT: 0
; COMPUTE_PGM_RSRC3_GFX90A:ACCUM_OFFSET: 4
; COMPUTE_PGM_RSRC3_GFX90A:TG_SPLIT: 0
	.section	.text._ZN5aiter20topk_softplus_kernelI12hip_bfloat166__halfDv2_fLb0ELi2EEEvPKT_PKT0_PfPimiiif,"axG",@progbits,_ZN5aiter20topk_softplus_kernelI12hip_bfloat166__halfDv2_fLb0ELi2EEEvPKT_PKT0_PfPimiiif,comdat
	.protected	_ZN5aiter20topk_softplus_kernelI12hip_bfloat166__halfDv2_fLb0ELi2EEEvPKT_PKT0_PfPimiiif ; -- Begin function _ZN5aiter20topk_softplus_kernelI12hip_bfloat166__halfDv2_fLb0ELi2EEEvPKT_PKT0_PfPimiiif
	.globl	_ZN5aiter20topk_softplus_kernelI12hip_bfloat166__halfDv2_fLb0ELi2EEEvPKT_PKT0_PfPimiiif
	.p2align	8
	.type	_ZN5aiter20topk_softplus_kernelI12hip_bfloat166__halfDv2_fLb0ELi2EEEvPKT_PKT0_PfPimiiif,@function
_ZN5aiter20topk_softplus_kernelI12hip_bfloat166__halfDv2_fLb0ELi2EEEvPKT_PKT0_PfPimiiif: ; @_ZN5aiter20topk_softplus_kernelI12hip_bfloat166__halfDv2_fLb0ELi2EEEvPKT_PKT0_PfPimiiif
; %bb.0:
	s_load_dwordx2 s[16:17], s[4:5], 0x28
	s_load_dwordx8 s[8:15], s[4:5], 0x0
	v_lshl_add_u32 v1, v0, 3, 0
	s_waitcnt lgkmcnt(0)
	s_lshr_b32 s0, s16, 31
	s_add_i32 s0, s16, s0
	s_mul_i32 s2, s6, s16
	s_ashr_i32 s7, s0, 1
	s_ashr_i32 s3, s2, 31
	v_cmp_gt_i32_e64 s[0:1], s7, v0
	s_and_saveexec_b64 s[18:19], s[0:1]
	s_cbranch_execz .LBB256_3
; %bb.1:
	s_load_dword s22, s[4:5], 0x44
	s_lshl_b64 s[20:21], s[2:3], 1
	v_lshlrev_b32_e32 v2, 2, v0
	s_mov_b32 s25, 0
	v_lshl_add_u32 v4, v0, 3, 0
	s_waitcnt lgkmcnt(0)
	s_and_b32 s22, s22, 0xffff
	s_add_u32 s20, s8, s20
	s_addc_u32 s21, s9, s21
	v_mov_b32_e32 v3, s21
	v_add_co_u32_e32 v2, vcc, s20, v2
	v_addc_co_u32_e32 v3, vcc, 0, v3, vcc
	s_lshl_b32 s23, s22, 2
	s_lshl_b32 s24, s22, 3
	s_mov_b64 s[20:21], 0
	v_mov_b32_e32 v5, s25
	v_mov_b32_e32 v6, v0
.LBB256_2:                              ; =>This Inner Loop Header: Depth=1
	global_load_dword v7, v[2:3], off
	v_add_co_u32_e32 v2, vcc, s23, v2
	v_add_u32_e32 v6, s22, v6
	v_addc_co_u32_e32 v3, vcc, v3, v5, vcc
	v_cmp_le_i32_e32 vcc, s7, v6
	s_or_b64 s[20:21], vcc, s[20:21]
	s_waitcnt vmcnt(0)
	v_cvt_f32_u32_sdwa v9, v7 dst_sel:DWORD dst_unused:UNUSED_PAD src0_sel:WORD_1
	v_cvt_f32_u32_sdwa v8, v7 dst_sel:DWORD dst_unused:UNUSED_PAD src0_sel:WORD_0
	ds_write_b64 v4, v[8:9]
	v_add_u32_e32 v4, s24, v4
	s_andn2_b64 exec, exec, s[20:21]
	s_cbranch_execnz .LBB256_2
.LBB256_3:
	s_or_b64 exec, exec, s[18:19]
	v_lshl_add_u32 v2, s7, 1, v0
	v_cmp_gt_i32_e32 vcc, s16, v2
	s_and_saveexec_b64 s[18:19], vcc
	s_cbranch_execz .LBB256_6
; %bb.4:
	s_load_dword s20, s[4:5], 0x44
	s_lshl_b64 s[2:3], s[2:3], 1
	s_add_u32 s8, s8, s2
	s_addc_u32 s21, s9, s3
	s_lshl_b32 s2, s7, 3
	s_waitcnt lgkmcnt(0)
	s_and_b32 s9, s20, 0xffff
	s_add_i32 s2, s2, 0
	v_lshl_add_u32 v4, v0, 2, s2
	s_lshl_b32 s20, s9, 2
	s_mov_b64 s[2:3], 0
	v_mov_b32_e32 v5, s21
.LBB256_5:                              ; =>This Inner Loop Header: Depth=1
	v_ashrrev_i32_e32 v3, 31, v2
	v_lshlrev_b64 v[6:7], 1, v[2:3]
	v_add_co_u32_e32 v6, vcc, s8, v6
	v_addc_co_u32_e32 v7, vcc, v5, v7, vcc
	global_load_ushort v3, v[6:7], off
	v_add_u32_e32 v2, s9, v2
	v_cmp_le_i32_e32 vcc, s16, v2
	s_or_b64 s[2:3], vcc, s[2:3]
	s_waitcnt vmcnt(0)
	v_lshlrev_b32_e32 v3, 16, v3
	ds_write_b32 v4, v3
	v_add_u32_e32 v4, s20, v4
	s_andn2_b64 exec, exec, s[2:3]
	s_cbranch_execnz .LBB256_5
.LBB256_6:
	s_or_b64 exec, exec, s[18:19]
	v_cmp_gt_i32_e32 vcc, s16, v0
	v_mov_b32_e32 v2, 0xff800000
	s_waitcnt lgkmcnt(0)
	s_barrier
	s_and_saveexec_b64 s[8:9], vcc
	s_cbranch_execz .LBB256_10
; %bb.7:
	s_load_dword s2, s[4:5], 0x44
	v_lshl_add_u32 v3, v0, 2, 0
	s_mov_b64 s[18:19], 0
	v_mov_b32_e32 v2, 0xff800000
	v_mov_b32_e32 v4, v0
	s_waitcnt lgkmcnt(0)
	s_and_b32 s20, s2, 0xffff
	s_lshl_b32 s21, s20, 2
.LBB256_8:                              ; =>This Inner Loop Header: Depth=1
	ds_read_b32 v5, v3
	v_add_u32_e32 v4, s20, v4
	v_max_f32_e32 v2, v2, v2
	v_cmp_le_i32_e64 s[2:3], s16, v4
	v_add_u32_e32 v3, s21, v3
	s_waitcnt lgkmcnt(0)
	v_max_f32_e32 v5, v5, v5
	s_or_b64 s[18:19], s[2:3], s[18:19]
	v_max_f32_e32 v2, v2, v5
	s_andn2_b64 exec, exec, s[18:19]
	s_cbranch_execnz .LBB256_8
; %bb.9:
	s_or_b64 exec, exec, s[18:19]
.LBB256_10:
	s_or_b64 exec, exec, s[8:9]
	;;#ASMSTART
	v_max_f32 v3, v2, v2 quad_perm:[1,0,3,2] row_mask:0xf bank_mask:0xf bound_ctrl:1
	;;#ASMEND
	;;#ASMSTART
	v_max_f32 v2, v3, v3 quad_perm:[2,3,0,1] row_mask:0xf bank_mask:0xf bound_ctrl:1
	;;#ASMEND
	;;#ASMSTART
	v_max_f32 v3, v2, v2 row_half_mirror row_mask:0xf bank_mask:0xf bound_ctrl:1
	;;#ASMEND
	;;#ASMSTART
	v_max_f32 v2, v3, v3 row_mirror row_mask:0xf bank_mask:0xf bound_ctrl:1
	;;#ASMEND
	;;#ASMSTART
	v_max_f32 v3, v2, v2 row_ror:4 row_mask:0xf bank_mask:0xf bound_ctrl:1
	;;#ASMEND
	;;#ASMSTART
	v_max_f32 v2, v3, v3 row_ror:8 row_mask:0xf bank_mask:0xf bound_ctrl:1
	;;#ASMEND
	;;#ASMSTART
	v_max_f32 v3, v2, v2 row_bcast:15 row_mask:0xf bank_mask:0xf bound_ctrl:1
	;;#ASMEND
	;;#ASMSTART
	v_max_f32 v2, v3, v3 row_bcast:31 row_mask:0xf bank_mask:0xf bound_ctrl:1
	;;#ASMEND
	v_mbcnt_lo_u32_b32 v3, -1, 0
	v_mbcnt_hi_u32_b32 v3, -1, v3
	v_bfrev_b32_e32 v4, 0.5
	v_lshl_or_b32 v4, v3, 2, v4
	ds_bpermute_b32 v3, v4, v2
	v_mov_b32_e32 v2, 0
	s_and_saveexec_b64 s[18:19], vcc
	s_cbranch_execz .LBB256_14
; %bb.11:
	s_load_dword s2, s[4:5], 0x44
	v_lshl_add_u32 v5, v0, 2, 0
	s_mov_b64 s[20:21], 0
	v_mov_b32_e32 v2, 0
	s_mov_b32 s22, 0xc2fc0000
	s_waitcnt lgkmcnt(0)
	s_and_b32 s23, s2, 0xffff
	s_lshl_b32 s24, s23, 2
	v_mov_b32_e32 v6, 0x42800000
	v_mov_b32_e32 v7, 0x1f800000
	;; [unrolled: 1-line block ×3, first 2 shown]
.LBB256_12:                             ; =>This Inner Loop Header: Depth=1
	ds_read_b32 v9, v5
	v_add_u32_e32 v8, s23, v8
	v_cmp_le_i32_e64 s[8:9], s16, v8
	s_or_b64 s[20:21], s[8:9], s[20:21]
	s_waitcnt lgkmcnt(0)
	v_sub_f32_e32 v9, v9, v3
	v_mul_f32_e32 v10, 0x3fb8aa3b, v9
	v_cmp_gt_f32_e64 s[2:3], s22, v10
	v_cndmask_b32_e64 v10, 0, v6, s[2:3]
	v_fmac_f32_e32 v10, 0x3fb8aa3b, v9
	v_exp_f32_e32 v9, v10
	v_cndmask_b32_e64 v10, 1.0, v7, s[2:3]
	v_mul_f32_e32 v11, v9, v10
	v_fmac_f32_e32 v2, v9, v10
	ds_write_b32 v5, v11
	v_add_u32_e32 v5, s24, v5
	s_andn2_b64 exec, exec, s[20:21]
	s_cbranch_execnz .LBB256_12
; %bb.13:
	s_or_b64 exec, exec, s[20:21]
.LBB256_14:
	s_or_b64 exec, exec, s[18:19]
	s_waitcnt lgkmcnt(0)
	v_mov_b32_dpp v3, v2 quad_perm:[1,0,3,2] row_mask:0xf bank_mask:0xf
	v_add_f32_e32 v2, v2, v3
	s_nop 1
	v_mov_b32_dpp v3, v2 quad_perm:[2,3,0,1] row_mask:0xf bank_mask:0xf
	v_add_f32_e32 v2, v2, v3
	s_nop 1
	v_mov_b32_dpp v3, v2 row_half_mirror row_mask:0xf bank_mask:0xf
	v_add_f32_e32 v2, v2, v3
	s_nop 1
	v_mov_b32_dpp v3, v2 row_mirror row_mask:0xf bank_mask:0xf
	v_add_f32_e32 v2, v2, v3
	s_nop 1
	v_mov_b32_dpp v3, v2 row_bcast:15 row_mask:0xf bank_mask:0xf
	v_add_f32_e32 v2, v2, v3
	s_nop 1
	v_mov_b32_dpp v3, v2 row_bcast:31 row_mask:0xf bank_mask:0xf
	v_add_f32_e32 v2, v2, v3
	ds_bpermute_b32 v2, v4, v2
	s_and_saveexec_b64 s[8:9], vcc
	s_cbranch_execz .LBB256_19
; %bb.15:
	s_load_dword s20, s[4:5], 0x44
	s_waitcnt lgkmcnt(0)
	v_rcp_f32_e32 v5, v2
	s_cmp_lg_u64 s[10:11], 0
	s_cselect_b64 s[2:3], -1, 0
	v_cndmask_b32_e64 v2, 0, 1, s[2:3]
	s_and_b32 s20, s20, 0xffff
	s_mov_b64 s[18:19], 0
	v_lshl_add_u32 v6, v0, 2, 0
	s_lshl_b32 s21, s20, 2
	v_cmp_ne_u32_e64 s[2:3], 1, v2
	v_mov_b32_e32 v2, v0
	s_branch .LBB256_17
.LBB256_16:                             ;   in Loop: Header=BB256_17 Depth=1
	v_add_u32_e32 v2, s20, v2
	v_cmp_le_i32_e32 vcc, s16, v2
	s_or_b64 s[18:19], vcc, s[18:19]
	v_add_u32_e32 v6, s21, v6
	s_andn2_b64 exec, exec, s[18:19]
	s_cbranch_execz .LBB256_19
.LBB256_17:                             ; =>This Inner Loop Header: Depth=1
	ds_read_b32 v3, v6
	s_and_b64 vcc, exec, s[2:3]
	s_waitcnt lgkmcnt(0)
	v_mul_f32_e32 v7, v5, v3
	ds_write_b32 v6, v7
	s_cbranch_vccnz .LBB256_16
; %bb.18:                               ;   in Loop: Header=BB256_17 Depth=1
	v_ashrrev_i32_e32 v3, 31, v2
	v_lshlrev_b64 v[8:9], 1, v[2:3]
	v_mov_b32_e32 v3, s11
	v_add_co_u32_e32 v8, vcc, s10, v8
	v_addc_co_u32_e32 v9, vcc, v3, v9, vcc
	global_load_ushort v3, v[8:9], off
	s_waitcnt vmcnt(0)
	v_cvt_f32_f16_e32 v3, v3
	v_add_f32_e32 v3, v7, v3
	ds_write_b32 v6, v3
	s_branch .LBB256_16
.LBB256_19:
	s_or_b64 exec, exec, s[8:9]
	s_cmp_lt_i32 s17, 1
	s_waitcnt lgkmcnt(0)
	s_barrier
	s_cbranch_scc1 .LBB256_28
; %bb.20:
	s_add_u32 s2, s4, 56
	s_addc_u32 s3, s5, 0
	s_cmp_lg_u64 s[10:11], 0
	s_cselect_b64 s[8:9], -1, 0
	v_lshlrev_b32_e32 v5, 1, v0
	s_mov_b32 s16, 0
	v_mov_b32_e32 v2, 0
	v_mov_b32_e32 v6, 0
	;; [unrolled: 1-line block ×4, first 2 shown]
	s_branch .LBB256_22
.LBB256_21:                             ;   in Loop: Header=BB256_22 Depth=1
	s_lshl_b32 s19, s18, 2
	s_add_i32 s19, s19, 0
	v_mov_b32_e32 v8, s19
	ds_write_b32 v8, v7
	v_mov_b32_e32 v8, s18
	v_cmp_eq_u32_e32 vcc, s16, v0
	s_add_i32 s16, s16, 1
	v_cndmask_b32_e32 v2, v2, v8, vcc
	s_cmp_eq_u32 s16, s17
	v_cndmask_b32_e32 v3, v3, v10, vcc
	s_cbranch_scc1 .LBB256_29
.LBB256_22:                             ; =>This Loop Header: Depth=1
                                        ;     Child Loop BB256_24 Depth 2
	v_mov_b32_e32 v8, s16
	v_mov_b32_e32 v9, 0xff800000
	s_and_saveexec_b64 s[18:19], s[0:1]
	s_cbranch_execz .LBB256_26
; %bb.23:                               ;   in Loop: Header=BB256_22 Depth=1
	s_load_dword s22, s[2:3], 0xc
	s_mov_b64 s[20:21], 0
	v_mov_b32_e32 v8, s16
	v_mov_b32_e32 v9, 0xff800000
	v_mov_b32_e32 v10, v1
	s_waitcnt lgkmcnt(0)
	s_and_b32 s22, s22, 0xffff
	s_lshl_b32 s23, s22, 1
	s_lshl_b32 s24, s22, 3
	v_mov_b32_e32 v11, v5
	v_mov_b32_e32 v12, v0
.LBB256_24:                             ;   Parent Loop BB256_22 Depth=1
                                        ; =>  This Inner Loop Header: Depth=2
	ds_read_b64 v[14:15], v10
	v_add_u32_e32 v12, s22, v12
	v_cmp_le_i32_e32 vcc, s7, v12
	s_or_b64 s[20:21], vcc, s[20:21]
	v_add_u32_e32 v13, 1, v11
	s_waitcnt lgkmcnt(0)
	v_cmp_gt_f32_e32 vcc, v14, v9
	v_cndmask_b32_e32 v9, v9, v14, vcc
	v_cndmask_b32_e32 v8, v8, v11, vcc
	v_cmp_gt_f32_e32 vcc, v15, v9
	v_add_u32_e32 v10, s24, v10
	v_cndmask_b32_e32 v9, v9, v15, vcc
	v_add_u32_e32 v11, s23, v11
	v_cndmask_b32_e32 v8, v8, v13, vcc
	s_andn2_b64 exec, exec, s[20:21]
	s_cbranch_execnz .LBB256_24
; %bb.25:                               ;   in Loop: Header=BB256_22 Depth=1
	s_or_b64 exec, exec, s[20:21]
.LBB256_26:                             ;   in Loop: Header=BB256_22 Depth=1
	s_or_b64 exec, exec, s[18:19]
	;;#ASMSTART
	v_max_f32 v10, v9, v9 quad_perm:[1,0,3,2] row_mask:0xf bank_mask:0xf bound_ctrl:1
	;;#ASMEND
	;;#ASMSTART
	v_max_f32 v11, v10, v10 quad_perm:[2,3,0,1] row_mask:0xf bank_mask:0xf bound_ctrl:1
	;;#ASMEND
	;;#ASMSTART
	v_max_f32 v10, v11, v11 row_half_mirror row_mask:0xf bank_mask:0xf bound_ctrl:1
	;;#ASMEND
	;;#ASMSTART
	v_max_f32 v11, v10, v10 row_mirror row_mask:0xf bank_mask:0xf bound_ctrl:1
	;;#ASMEND
	;;#ASMSTART
	v_max_f32 v10, v11, v11 row_ror:4 row_mask:0xf bank_mask:0xf bound_ctrl:1
	;;#ASMEND
	;;#ASMSTART
	v_max_f32 v11, v10, v10 row_ror:8 row_mask:0xf bank_mask:0xf bound_ctrl:1
	;;#ASMEND
	;;#ASMSTART
	v_max_f32 v10, v11, v11 row_bcast:15 row_mask:0xf bank_mask:0xf bound_ctrl:1
	;;#ASMEND
	;;#ASMSTART
	v_max_f32 v11, v10, v10 row_bcast:31 row_mask:0xf bank_mask:0xf bound_ctrl:1
	;;#ASMEND
	ds_bpermute_b32 v10, v4, v11
	s_waitcnt lgkmcnt(0)
	v_cmp_eq_f32_e32 vcc, v9, v10
	s_ff1_i32_b64 s18, vcc
	s_cmp_lg_u64 vcc, 0
	s_cselect_b32 s18, s18, 0
	s_and_b64 vcc, exec, s[8:9]
	v_readlane_b32 s18, v8, s18
	s_cbranch_vccz .LBB256_21
; %bb.27:                               ;   in Loop: Header=BB256_22 Depth=1
	s_ashr_i32 s19, s18, 31
	s_lshl_b64 s[20:21], s[18:19], 1
	s_add_u32 s20, s10, s20
	s_addc_u32 s21, s11, s21
	global_load_ushort v8, v6, s[20:21]
	s_waitcnt vmcnt(0)
	v_cvt_f32_f16_e32 v8, v8
	v_sub_f32_e32 v10, v10, v8
	s_branch .LBB256_21
.LBB256_28:
	v_mov_b32_e32 v3, 0
	v_mov_b32_e32 v2, 0
.LBB256_29:
	v_cmp_gt_i32_e32 vcc, s17, v0
	s_and_saveexec_b64 s[0:1], vcc
	s_cbranch_execz .LBB256_32
; %bb.30:
	s_load_dword s2, s[4:5], 0x34
	s_load_dwordx2 s[0:1], s[4:5], 0x20
	s_ashr_i32 s3, s6, 31
	s_load_dword s4, s[4:5], 0x44
	v_mov_b32_e32 v4, s13
	s_waitcnt lgkmcnt(0)
	v_mul_f32_e32 v1, s2, v3
	s_mul_i32 s1, s6, s1
	s_mul_hi_u32 s2, s6, s0
	s_add_i32 s1, s2, s1
	s_mul_i32 s3, s3, s0
	s_add_i32 s5, s1, s3
	s_mul_i32 s2, s6, s0
	s_and_b32 s3, s4, 0xffff
	s_mov_b64 s[0:1], 0
	v_mov_b32_e32 v3, s5
	v_mov_b32_e32 v5, s15
.LBB256_31:                             ; =>This Inner Loop Header: Depth=1
	v_ashrrev_i32_e32 v7, 31, v0
	v_add_co_u32_e32 v6, vcc, s2, v0
	v_addc_co_u32_e32 v7, vcc, v3, v7, vcc
	v_add_u32_e32 v0, s3, v0
	v_cmp_le_i32_e32 vcc, s17, v0
	v_lshlrev_b64 v[6:7], 2, v[6:7]
	s_or_b64 s[0:1], vcc, s[0:1]
	v_add_co_u32_e32 v8, vcc, s12, v6
	v_addc_co_u32_e32 v9, vcc, v4, v7, vcc
	v_add_co_u32_e32 v6, vcc, s14, v6
	v_addc_co_u32_e32 v7, vcc, v5, v7, vcc
	global_store_dword v[8:9], v1, off
	global_store_dword v[6:7], v2, off
	s_andn2_b64 exec, exec, s[0:1]
	s_cbranch_execnz .LBB256_31
.LBB256_32:
	s_endpgm
	.section	.rodata,"a",@progbits
	.p2align	6, 0x0
	.amdhsa_kernel _ZN5aiter20topk_softplus_kernelI12hip_bfloat166__halfDv2_fLb0ELi2EEEvPKT_PKT0_PfPimiiif
		.amdhsa_group_segment_fixed_size 0
		.amdhsa_private_segment_fixed_size 0
		.amdhsa_kernarg_size 312
		.amdhsa_user_sgpr_count 6
		.amdhsa_user_sgpr_private_segment_buffer 1
		.amdhsa_user_sgpr_dispatch_ptr 0
		.amdhsa_user_sgpr_queue_ptr 0
		.amdhsa_user_sgpr_kernarg_segment_ptr 1
		.amdhsa_user_sgpr_dispatch_id 0
		.amdhsa_user_sgpr_flat_scratch_init 0
		.amdhsa_user_sgpr_kernarg_preload_length 0
		.amdhsa_user_sgpr_kernarg_preload_offset 0
		.amdhsa_user_sgpr_private_segment_size 0
		.amdhsa_uses_dynamic_stack 0
		.amdhsa_system_sgpr_private_segment_wavefront_offset 0
		.amdhsa_system_sgpr_workgroup_id_x 1
		.amdhsa_system_sgpr_workgroup_id_y 0
		.amdhsa_system_sgpr_workgroup_id_z 0
		.amdhsa_system_sgpr_workgroup_info 0
		.amdhsa_system_vgpr_workitem_id 0
		.amdhsa_next_free_vgpr 16
		.amdhsa_next_free_sgpr 26
		.amdhsa_accum_offset 16
		.amdhsa_reserve_vcc 1
		.amdhsa_reserve_flat_scratch 0
		.amdhsa_float_round_mode_32 0
		.amdhsa_float_round_mode_16_64 0
		.amdhsa_float_denorm_mode_32 3
		.amdhsa_float_denorm_mode_16_64 3
		.amdhsa_dx10_clamp 1
		.amdhsa_ieee_mode 1
		.amdhsa_fp16_overflow 0
		.amdhsa_tg_split 0
		.amdhsa_exception_fp_ieee_invalid_op 0
		.amdhsa_exception_fp_denorm_src 0
		.amdhsa_exception_fp_ieee_div_zero 0
		.amdhsa_exception_fp_ieee_overflow 0
		.amdhsa_exception_fp_ieee_underflow 0
		.amdhsa_exception_fp_ieee_inexact 0
		.amdhsa_exception_int_div_zero 0
	.end_amdhsa_kernel
	.section	.text._ZN5aiter20topk_softplus_kernelI12hip_bfloat166__halfDv2_fLb0ELi2EEEvPKT_PKT0_PfPimiiif,"axG",@progbits,_ZN5aiter20topk_softplus_kernelI12hip_bfloat166__halfDv2_fLb0ELi2EEEvPKT_PKT0_PfPimiiif,comdat
.Lfunc_end256:
	.size	_ZN5aiter20topk_softplus_kernelI12hip_bfloat166__halfDv2_fLb0ELi2EEEvPKT_PKT0_PfPimiiif, .Lfunc_end256-_ZN5aiter20topk_softplus_kernelI12hip_bfloat166__halfDv2_fLb0ELi2EEEvPKT_PKT0_PfPimiiif
                                        ; -- End function
	.section	.AMDGPU.csdata,"",@progbits
; Kernel info:
; codeLenInByte = 1688
; NumSgprs: 30
; NumVgprs: 16
; NumAgprs: 0
; TotalNumVgprs: 16
; ScratchSize: 0
; MemoryBound: 0
; FloatMode: 240
; IeeeMode: 1
; LDSByteSize: 0 bytes/workgroup (compile time only)
; SGPRBlocks: 3
; VGPRBlocks: 1
; NumSGPRsForWavesPerEU: 30
; NumVGPRsForWavesPerEU: 16
; AccumOffset: 16
; Occupancy: 8
; WaveLimiterHint : 0
; COMPUTE_PGM_RSRC2:SCRATCH_EN: 0
; COMPUTE_PGM_RSRC2:USER_SGPR: 6
; COMPUTE_PGM_RSRC2:TRAP_HANDLER: 0
; COMPUTE_PGM_RSRC2:TGID_X_EN: 1
; COMPUTE_PGM_RSRC2:TGID_Y_EN: 0
; COMPUTE_PGM_RSRC2:TGID_Z_EN: 0
; COMPUTE_PGM_RSRC2:TIDIG_COMP_CNT: 0
; COMPUTE_PGM_RSRC3_GFX90A:ACCUM_OFFSET: 3
; COMPUTE_PGM_RSRC3_GFX90A:TG_SPLIT: 0
	.section	.text._ZN5aiter20topk_softplus_kernelI12hip_bfloat166__halfDv1_fLb1ELi2EEEvPKT_PKT0_PfPimiiif,"axG",@progbits,_ZN5aiter20topk_softplus_kernelI12hip_bfloat166__halfDv1_fLb1ELi2EEEvPKT_PKT0_PfPimiiif,comdat
	.protected	_ZN5aiter20topk_softplus_kernelI12hip_bfloat166__halfDv1_fLb1ELi2EEEvPKT_PKT0_PfPimiiif ; -- Begin function _ZN5aiter20topk_softplus_kernelI12hip_bfloat166__halfDv1_fLb1ELi2EEEvPKT_PKT0_PfPimiiif
	.globl	_ZN5aiter20topk_softplus_kernelI12hip_bfloat166__halfDv1_fLb1ELi2EEEvPKT_PKT0_PfPimiiif
	.p2align	8
	.type	_ZN5aiter20topk_softplus_kernelI12hip_bfloat166__halfDv1_fLb1ELi2EEEvPKT_PKT0_PfPimiiif,@function
_ZN5aiter20topk_softplus_kernelI12hip_bfloat166__halfDv1_fLb1ELi2EEEvPKT_PKT0_PfPimiiif: ; @_ZN5aiter20topk_softplus_kernelI12hip_bfloat166__halfDv1_fLb1ELi2EEEvPKT_PKT0_PfPimiiif
; %bb.0:
	s_load_dwordx2 s[16:17], s[4:5], 0x28
	s_load_dwordx8 s[8:15], s[4:5], 0x0
	v_lshl_add_u32 v1, v0, 2, 0
	s_waitcnt lgkmcnt(0)
	s_mul_i32 s2, s6, s16
	s_ashr_i32 s3, s2, 31
	s_lshl_b64 s[2:3], s[2:3], 1
	s_add_u32 s7, s8, s2
	v_cmp_gt_i32_e64 s[0:1], s16, v0
	s_addc_u32 s18, s9, s3
	s_and_saveexec_b64 s[2:3], s[0:1]
	s_cbranch_execz .LBB257_3
; %bb.1:
	s_load_dword s19, s[4:5], 0x44
	v_lshl_add_u32 v4, v0, 2, 0
	s_mov_b64 s[8:9], 0
	v_mov_b32_e32 v5, s18
	v_mov_b32_e32 v2, v0
	s_waitcnt lgkmcnt(0)
	s_and_b32 s19, s19, 0xffff
	s_lshl_b32 s20, s19, 2
.LBB257_2:                              ; =>This Inner Loop Header: Depth=1
	v_ashrrev_i32_e32 v3, 31, v2
	v_lshlrev_b64 v[6:7], 1, v[2:3]
	v_add_co_u32_e32 v6, vcc, s7, v6
	v_addc_co_u32_e32 v7, vcc, v5, v7, vcc
	global_load_ushort v3, v[6:7], off
	v_add_u32_e32 v2, s19, v2
	v_cmp_le_i32_e32 vcc, s16, v2
	s_or_b64 s[8:9], vcc, s[8:9]
	s_waitcnt vmcnt(0)
	v_cvt_f32_u32_e32 v3, v3
	ds_write_b32 v4, v3
	v_add_u32_e32 v4, s20, v4
	s_andn2_b64 exec, exec, s[8:9]
	s_cbranch_execnz .LBB257_2
.LBB257_3:
	s_or_b64 exec, exec, s[2:3]
	v_add_u32_e32 v2, s16, v0
	v_cmp_gt_i32_e32 vcc, s16, v2
	s_and_saveexec_b64 s[2:3], vcc
	s_cbranch_execz .LBB257_6
; %bb.4:
	s_load_dword s19, s[4:5], 0x44
	v_lshl_add_u32 v4, v2, 2, 0
	s_mov_b64 s[8:9], 0
	v_mov_b32_e32 v5, s18
	s_waitcnt lgkmcnt(0)
	s_and_b32 s19, s19, 0xffff
	s_lshl_b32 s20, s19, 2
.LBB257_5:                              ; =>This Inner Loop Header: Depth=1
	v_ashrrev_i32_e32 v3, 31, v2
	v_lshlrev_b64 v[6:7], 1, v[2:3]
	v_add_co_u32_e32 v6, vcc, s7, v6
	v_addc_co_u32_e32 v7, vcc, v5, v7, vcc
	global_load_ushort v3, v[6:7], off
	v_add_u32_e32 v2, s19, v2
	v_cmp_le_i32_e32 vcc, s16, v2
	s_or_b64 s[8:9], vcc, s[8:9]
	s_waitcnt vmcnt(0)
	v_lshlrev_b32_e32 v3, 16, v3
	ds_write_b32 v4, v3
	v_add_u32_e32 v4, s20, v4
	s_andn2_b64 exec, exec, s[8:9]
	s_cbranch_execnz .LBB257_5
.LBB257_6:
	s_or_b64 exec, exec, s[2:3]
	v_mov_b32_e32 v2, 0xff800000
	s_waitcnt lgkmcnt(0)
	s_barrier
	s_and_saveexec_b64 s[2:3], s[0:1]
	s_cbranch_execz .LBB257_10
; %bb.7:
	s_load_dword s7, s[4:5], 0x44
	v_lshl_add_u32 v3, v0, 2, 0
	s_mov_b64 s[8:9], 0
	v_mov_b32_e32 v2, 0xff800000
	v_mov_b32_e32 v4, v0
	s_waitcnt lgkmcnt(0)
	s_and_b32 s7, s7, 0xffff
	s_lshl_b32 s18, s7, 2
.LBB257_8:                              ; =>This Inner Loop Header: Depth=1
	ds_read_b32 v5, v3
	v_add_u32_e32 v4, s7, v4
	v_max_f32_e32 v2, v2, v2
	v_cmp_le_i32_e32 vcc, s16, v4
	v_add_u32_e32 v3, s18, v3
	s_waitcnt lgkmcnt(0)
	v_max_f32_e32 v5, v5, v5
	s_or_b64 s[8:9], vcc, s[8:9]
	v_max_f32_e32 v2, v2, v5
	s_andn2_b64 exec, exec, s[8:9]
	s_cbranch_execnz .LBB257_8
; %bb.9:
	s_or_b64 exec, exec, s[8:9]
.LBB257_10:
	s_or_b64 exec, exec, s[2:3]
	;;#ASMSTART
	v_max_f32 v3, v2, v2 quad_perm:[1,0,3,2] row_mask:0xf bank_mask:0xf bound_ctrl:1
	;;#ASMEND
	;;#ASMSTART
	v_max_f32 v2, v3, v3 quad_perm:[2,3,0,1] row_mask:0xf bank_mask:0xf bound_ctrl:1
	;;#ASMEND
	;;#ASMSTART
	v_max_f32 v3, v2, v2 row_half_mirror row_mask:0xf bank_mask:0xf bound_ctrl:1
	;;#ASMEND
	;;#ASMSTART
	v_max_f32 v2, v3, v3 row_mirror row_mask:0xf bank_mask:0xf bound_ctrl:1
	;;#ASMEND
	;;#ASMSTART
	v_max_f32 v3, v2, v2 row_ror:4 row_mask:0xf bank_mask:0xf bound_ctrl:1
	;;#ASMEND
	;;#ASMSTART
	v_max_f32 v2, v3, v3 row_ror:8 row_mask:0xf bank_mask:0xf bound_ctrl:1
	;;#ASMEND
	;;#ASMSTART
	v_max_f32 v3, v2, v2 row_bcast:15 row_mask:0xf bank_mask:0xf bound_ctrl:1
	;;#ASMEND
	;;#ASMSTART
	v_max_f32 v2, v3, v3 row_bcast:31 row_mask:0xf bank_mask:0xf bound_ctrl:1
	;;#ASMEND
	v_mbcnt_lo_u32_b32 v3, -1, 0
	v_mbcnt_hi_u32_b32 v3, -1, v3
	v_bfrev_b32_e32 v4, 0.5
	v_lshl_or_b32 v4, v3, 2, v4
	ds_bpermute_b32 v3, v4, v2
	v_mov_b32_e32 v2, 0
	s_and_saveexec_b64 s[8:9], s[0:1]
	s_cbranch_execz .LBB257_14
; %bb.11:
	s_load_dword s2, s[4:5], 0x44
	v_lshl_add_u32 v5, v0, 2, 0
	s_mov_b64 s[18:19], 0
	v_mov_b32_e32 v2, 0
	s_mov_b32 s7, 0xc2fc0000
	s_waitcnt lgkmcnt(0)
	s_and_b32 s20, s2, 0xffff
	s_lshl_b32 s21, s20, 2
	v_mov_b32_e32 v6, 0x42800000
	v_mov_b32_e32 v7, 0x1f800000
	;; [unrolled: 1-line block ×3, first 2 shown]
.LBB257_12:                             ; =>This Inner Loop Header: Depth=1
	ds_read_b32 v9, v5
	v_add_u32_e32 v8, s20, v8
	v_cmp_le_i32_e64 s[2:3], s16, v8
	s_or_b64 s[18:19], s[2:3], s[18:19]
	s_waitcnt lgkmcnt(0)
	v_sub_f32_e32 v9, v9, v3
	v_mul_f32_e32 v10, 0x3fb8aa3b, v9
	v_cmp_gt_f32_e32 vcc, s7, v10
	v_cndmask_b32_e32 v10, 0, v6, vcc
	v_fmac_f32_e32 v10, 0x3fb8aa3b, v9
	v_exp_f32_e32 v9, v10
	v_cndmask_b32_e32 v10, 1.0, v7, vcc
	v_mul_f32_e32 v11, v9, v10
	v_fmac_f32_e32 v2, v9, v10
	ds_write_b32 v5, v11
	v_add_u32_e32 v5, s21, v5
	s_andn2_b64 exec, exec, s[18:19]
	s_cbranch_execnz .LBB257_12
; %bb.13:
	s_or_b64 exec, exec, s[18:19]
.LBB257_14:
	s_or_b64 exec, exec, s[8:9]
	s_waitcnt lgkmcnt(0)
	v_mov_b32_dpp v3, v2 quad_perm:[1,0,3,2] row_mask:0xf bank_mask:0xf
	v_add_f32_e32 v2, v2, v3
	s_nop 1
	v_mov_b32_dpp v3, v2 quad_perm:[2,3,0,1] row_mask:0xf bank_mask:0xf
	v_add_f32_e32 v2, v2, v3
	s_nop 1
	v_mov_b32_dpp v3, v2 row_half_mirror row_mask:0xf bank_mask:0xf
	v_add_f32_e32 v2, v2, v3
	s_nop 1
	v_mov_b32_dpp v3, v2 row_mirror row_mask:0xf bank_mask:0xf
	v_add_f32_e32 v2, v2, v3
	s_nop 1
	v_mov_b32_dpp v3, v2 row_bcast:15 row_mask:0xf bank_mask:0xf
	v_add_f32_e32 v2, v2, v3
	s_nop 1
	v_mov_b32_dpp v3, v2 row_bcast:31 row_mask:0xf bank_mask:0xf
	v_add_f32_e32 v2, v2, v3
	ds_bpermute_b32 v2, v4, v2
	s_and_saveexec_b64 s[8:9], s[0:1]
	s_cbranch_execz .LBB257_19
; %bb.15:
	s_load_dword s7, s[4:5], 0x44
	s_waitcnt lgkmcnt(0)
	v_rcp_f32_e32 v5, v2
	s_cmp_lg_u64 s[10:11], 0
	s_cselect_b64 s[2:3], -1, 0
	v_cndmask_b32_e64 v2, 0, 1, s[2:3]
	s_and_b32 s7, s7, 0xffff
	s_mov_b64 s[18:19], 0
	v_lshl_add_u32 v6, v0, 2, 0
	s_lshl_b32 s20, s7, 2
	v_cmp_ne_u32_e64 s[2:3], 1, v2
	v_mov_b32_e32 v2, v0
	s_branch .LBB257_17
.LBB257_16:                             ;   in Loop: Header=BB257_17 Depth=1
	v_add_u32_e32 v2, s7, v2
	v_cmp_le_i32_e32 vcc, s16, v2
	s_or_b64 s[18:19], vcc, s[18:19]
	v_add_u32_e32 v6, s20, v6
	s_andn2_b64 exec, exec, s[18:19]
	s_cbranch_execz .LBB257_19
.LBB257_17:                             ; =>This Inner Loop Header: Depth=1
	ds_read_b32 v3, v6
	s_and_b64 vcc, exec, s[2:3]
	s_waitcnt lgkmcnt(0)
	v_mul_f32_e32 v7, v5, v3
	ds_write_b32 v6, v7
	s_cbranch_vccnz .LBB257_16
; %bb.18:                               ;   in Loop: Header=BB257_17 Depth=1
	v_ashrrev_i32_e32 v3, 31, v2
	v_lshlrev_b64 v[8:9], 1, v[2:3]
	v_mov_b32_e32 v3, s11
	v_add_co_u32_e32 v8, vcc, s10, v8
	v_addc_co_u32_e32 v9, vcc, v3, v9, vcc
	global_load_ushort v3, v[8:9], off
	s_waitcnt vmcnt(0)
	v_cvt_f32_f16_e32 v3, v3
	v_add_f32_e32 v3, v7, v3
	ds_write_b32 v6, v3
	s_branch .LBB257_16
.LBB257_19:
	s_or_b64 exec, exec, s[8:9]
	s_cmp_lt_i32 s17, 1
	v_mov_b32_e32 v3, 0
	s_waitcnt lgkmcnt(0)
	s_barrier
	s_cbranch_scc1 .LBB257_28
; %bb.20:
	s_add_u32 s2, s4, 56
	s_addc_u32 s3, s5, 0
	s_cmp_lg_u64 s[10:11], 0
	s_cselect_b64 s[8:9], -1, 0
	s_mov_b32 s7, 0
	v_mov_b32_e32 v3, 0
	v_mov_b32_e32 v6, 0
	;; [unrolled: 1-line block ×5, first 2 shown]
	s_branch .LBB257_22
.LBB257_21:                             ;   in Loop: Header=BB257_22 Depth=1
	s_lshl_b32 s19, s18, 2
	s_add_i32 s19, s19, 0
	v_mov_b32_e32 v8, s19
	ds_write_b32 v8, v7
	v_mov_b32_e32 v8, s18
	v_cmp_eq_u32_e32 vcc, s7, v0
	s_add_i32 s7, s7, 1
	v_cndmask_b32_e32 v2, v2, v8, vcc
	v_cndmask_b32_e32 v3, v3, v10, vcc
	s_cmp_eq_u32 s7, s17
	v_add_f32_e32 v5, v5, v10
	s_cbranch_scc1 .LBB257_29
.LBB257_22:                             ; =>This Loop Header: Depth=1
                                        ;     Child Loop BB257_24 Depth 2
	v_mov_b32_e32 v8, s7
	v_mov_b32_e32 v9, 0xff800000
	s_and_saveexec_b64 s[18:19], s[0:1]
	s_cbranch_execz .LBB257_26
; %bb.23:                               ;   in Loop: Header=BB257_22 Depth=1
	s_load_dword s22, s[2:3], 0xc
	s_mov_b64 s[20:21], 0
	v_mov_b32_e32 v8, s7
	v_mov_b32_e32 v9, 0xff800000
	;; [unrolled: 1-line block ×3, first 2 shown]
	s_waitcnt lgkmcnt(0)
	s_and_b32 s22, s22, 0xffff
	s_lshl_b32 s23, s22, 2
	v_mov_b32_e32 v11, v0
.LBB257_24:                             ;   Parent Loop BB257_22 Depth=1
                                        ; =>  This Inner Loop Header: Depth=2
	ds_read_b32 v12, v10
	v_add_u32_e32 v10, s23, v10
	s_waitcnt lgkmcnt(0)
	v_cmp_gt_f32_e32 vcc, v12, v9
	v_cndmask_b32_e32 v8, v8, v11, vcc
	v_add_u32_e32 v11, s22, v11
	v_cndmask_b32_e32 v9, v9, v12, vcc
	v_cmp_le_i32_e32 vcc, s16, v11
	s_or_b64 s[20:21], vcc, s[20:21]
	s_andn2_b64 exec, exec, s[20:21]
	s_cbranch_execnz .LBB257_24
; %bb.25:                               ;   in Loop: Header=BB257_22 Depth=1
	s_or_b64 exec, exec, s[20:21]
.LBB257_26:                             ;   in Loop: Header=BB257_22 Depth=1
	s_or_b64 exec, exec, s[18:19]
	;;#ASMSTART
	v_max_f32 v10, v9, v9 quad_perm:[1,0,3,2] row_mask:0xf bank_mask:0xf bound_ctrl:1
	;;#ASMEND
	;;#ASMSTART
	v_max_f32 v11, v10, v10 quad_perm:[2,3,0,1] row_mask:0xf bank_mask:0xf bound_ctrl:1
	;;#ASMEND
	;;#ASMSTART
	v_max_f32 v10, v11, v11 row_half_mirror row_mask:0xf bank_mask:0xf bound_ctrl:1
	;;#ASMEND
	;;#ASMSTART
	v_max_f32 v11, v10, v10 row_mirror row_mask:0xf bank_mask:0xf bound_ctrl:1
	;;#ASMEND
	;;#ASMSTART
	v_max_f32 v10, v11, v11 row_ror:4 row_mask:0xf bank_mask:0xf bound_ctrl:1
	;;#ASMEND
	;;#ASMSTART
	v_max_f32 v11, v10, v10 row_ror:8 row_mask:0xf bank_mask:0xf bound_ctrl:1
	;;#ASMEND
	;;#ASMSTART
	v_max_f32 v10, v11, v11 row_bcast:15 row_mask:0xf bank_mask:0xf bound_ctrl:1
	;;#ASMEND
	;;#ASMSTART
	v_max_f32 v11, v10, v10 row_bcast:31 row_mask:0xf bank_mask:0xf bound_ctrl:1
	;;#ASMEND
	ds_bpermute_b32 v10, v4, v11
	s_waitcnt lgkmcnt(0)
	v_cmp_eq_f32_e32 vcc, v9, v10
	s_ff1_i32_b64 s18, vcc
	s_cmp_lg_u64 vcc, 0
	s_cselect_b32 s18, s18, 0
	s_and_b64 vcc, exec, s[8:9]
	v_readlane_b32 s18, v8, s18
	s_cbranch_vccz .LBB257_21
; %bb.27:                               ;   in Loop: Header=BB257_22 Depth=1
	s_ashr_i32 s19, s18, 31
	s_lshl_b64 s[20:21], s[18:19], 1
	s_add_u32 s20, s10, s20
	s_addc_u32 s21, s11, s21
	global_load_ushort v8, v6, s[20:21]
	s_waitcnt vmcnt(0)
	v_cvt_f32_f16_e32 v8, v8
	v_sub_f32_e32 v10, v10, v8
	s_branch .LBB257_21
.LBB257_28:
	v_mov_b32_e32 v2, 0
	v_mov_b32_e32 v5, 0
.LBB257_29:
	v_cmp_gt_i32_e32 vcc, s17, v0
	s_and_saveexec_b64 s[0:1], vcc
	s_cbranch_execz .LBB257_32
; %bb.30:
	s_load_dword s2, s[4:5], 0x34
	v_max_f32_e32 v1, v5, v5
	v_max_f32_e32 v1, 0x1e3ce508, v1
	s_load_dword s3, s[4:5], 0x44
	s_waitcnt lgkmcnt(0)
	v_div_scale_f32 v4, s[0:1], v1, v1, s2
	s_load_dwordx2 s[0:1], s[4:5], 0x20
	v_rcp_f32_e32 v5, v4
	v_div_scale_f32 v6, vcc, s2, v1, s2
	s_and_b32 s3, s3, 0xffff
	v_fma_f32 v7, -v4, v5, 1.0
	v_fmac_f32_e32 v5, v7, v5
	v_mul_f32_e32 v7, v6, v5
	v_fma_f32 v8, -v4, v7, v6
	v_fmac_f32_e32 v7, v8, v5
	v_fma_f32 v4, -v4, v7, v6
	v_div_fmas_f32 v4, v4, v5, v7
	v_div_fixup_f32 v1, v4, v1, s2
	s_ashr_i32 s2, s6, 31
	s_waitcnt lgkmcnt(0)
	s_mul_i32 s1, s6, s1
	s_mul_hi_u32 s4, s6, s0
	s_add_i32 s1, s4, s1
	s_mul_i32 s2, s2, s0
	s_add_i32 s4, s1, s2
	v_mul_f32_e32 v1, v3, v1
	s_mul_i32 s2, s6, s0
	s_mov_b64 s[0:1], 0
	v_mov_b32_e32 v3, s4
	v_mov_b32_e32 v4, s13
	;; [unrolled: 1-line block ×3, first 2 shown]
.LBB257_31:                             ; =>This Inner Loop Header: Depth=1
	v_ashrrev_i32_e32 v7, 31, v0
	v_add_co_u32_e32 v6, vcc, s2, v0
	v_addc_co_u32_e32 v7, vcc, v3, v7, vcc
	v_add_u32_e32 v0, s3, v0
	v_cmp_le_i32_e32 vcc, s17, v0
	v_lshlrev_b64 v[6:7], 2, v[6:7]
	s_or_b64 s[0:1], vcc, s[0:1]
	v_add_co_u32_e32 v8, vcc, s12, v6
	v_addc_co_u32_e32 v9, vcc, v4, v7, vcc
	v_add_co_u32_e32 v6, vcc, s14, v6
	v_addc_co_u32_e32 v7, vcc, v5, v7, vcc
	global_store_dword v[8:9], v1, off
	global_store_dword v[6:7], v2, off
	s_andn2_b64 exec, exec, s[0:1]
	s_cbranch_execnz .LBB257_31
.LBB257_32:
	s_endpgm
	.section	.rodata,"a",@progbits
	.p2align	6, 0x0
	.amdhsa_kernel _ZN5aiter20topk_softplus_kernelI12hip_bfloat166__halfDv1_fLb1ELi2EEEvPKT_PKT0_PfPimiiif
		.amdhsa_group_segment_fixed_size 0
		.amdhsa_private_segment_fixed_size 0
		.amdhsa_kernarg_size 312
		.amdhsa_user_sgpr_count 6
		.amdhsa_user_sgpr_private_segment_buffer 1
		.amdhsa_user_sgpr_dispatch_ptr 0
		.amdhsa_user_sgpr_queue_ptr 0
		.amdhsa_user_sgpr_kernarg_segment_ptr 1
		.amdhsa_user_sgpr_dispatch_id 0
		.amdhsa_user_sgpr_flat_scratch_init 0
		.amdhsa_user_sgpr_kernarg_preload_length 0
		.amdhsa_user_sgpr_kernarg_preload_offset 0
		.amdhsa_user_sgpr_private_segment_size 0
		.amdhsa_uses_dynamic_stack 0
		.amdhsa_system_sgpr_private_segment_wavefront_offset 0
		.amdhsa_system_sgpr_workgroup_id_x 1
		.amdhsa_system_sgpr_workgroup_id_y 0
		.amdhsa_system_sgpr_workgroup_id_z 0
		.amdhsa_system_sgpr_workgroup_info 0
		.amdhsa_system_vgpr_workitem_id 0
		.amdhsa_next_free_vgpr 13
		.amdhsa_next_free_sgpr 24
		.amdhsa_accum_offset 16
		.amdhsa_reserve_vcc 1
		.amdhsa_reserve_flat_scratch 0
		.amdhsa_float_round_mode_32 0
		.amdhsa_float_round_mode_16_64 0
		.amdhsa_float_denorm_mode_32 3
		.amdhsa_float_denorm_mode_16_64 3
		.amdhsa_dx10_clamp 1
		.amdhsa_ieee_mode 1
		.amdhsa_fp16_overflow 0
		.amdhsa_tg_split 0
		.amdhsa_exception_fp_ieee_invalid_op 0
		.amdhsa_exception_fp_denorm_src 0
		.amdhsa_exception_fp_ieee_div_zero 0
		.amdhsa_exception_fp_ieee_overflow 0
		.amdhsa_exception_fp_ieee_underflow 0
		.amdhsa_exception_fp_ieee_inexact 0
		.amdhsa_exception_int_div_zero 0
	.end_amdhsa_kernel
	.section	.text._ZN5aiter20topk_softplus_kernelI12hip_bfloat166__halfDv1_fLb1ELi2EEEvPKT_PKT0_PfPimiiif,"axG",@progbits,_ZN5aiter20topk_softplus_kernelI12hip_bfloat166__halfDv1_fLb1ELi2EEEvPKT_PKT0_PfPimiiif,comdat
.Lfunc_end257:
	.size	_ZN5aiter20topk_softplus_kernelI12hip_bfloat166__halfDv1_fLb1ELi2EEEvPKT_PKT0_PfPimiiif, .Lfunc_end257-_ZN5aiter20topk_softplus_kernelI12hip_bfloat166__halfDv1_fLb1ELi2EEEvPKT_PKT0_PfPimiiif
                                        ; -- End function
	.section	.AMDGPU.csdata,"",@progbits
; Kernel info:
; codeLenInByte = 1676
; NumSgprs: 28
; NumVgprs: 13
; NumAgprs: 0
; TotalNumVgprs: 13
; ScratchSize: 0
; MemoryBound: 0
; FloatMode: 240
; IeeeMode: 1
; LDSByteSize: 0 bytes/workgroup (compile time only)
; SGPRBlocks: 3
; VGPRBlocks: 1
; NumSGPRsForWavesPerEU: 28
; NumVGPRsForWavesPerEU: 13
; AccumOffset: 16
; Occupancy: 8
; WaveLimiterHint : 0
; COMPUTE_PGM_RSRC2:SCRATCH_EN: 0
; COMPUTE_PGM_RSRC2:USER_SGPR: 6
; COMPUTE_PGM_RSRC2:TRAP_HANDLER: 0
; COMPUTE_PGM_RSRC2:TGID_X_EN: 1
; COMPUTE_PGM_RSRC2:TGID_Y_EN: 0
; COMPUTE_PGM_RSRC2:TGID_Z_EN: 0
; COMPUTE_PGM_RSRC2:TIDIG_COMP_CNT: 0
; COMPUTE_PGM_RSRC3_GFX90A:ACCUM_OFFSET: 3
; COMPUTE_PGM_RSRC3_GFX90A:TG_SPLIT: 0
	.section	.text._ZN5aiter20topk_softplus_kernelI12hip_bfloat166__halfDv1_fLb0ELi2EEEvPKT_PKT0_PfPimiiif,"axG",@progbits,_ZN5aiter20topk_softplus_kernelI12hip_bfloat166__halfDv1_fLb0ELi2EEEvPKT_PKT0_PfPimiiif,comdat
	.protected	_ZN5aiter20topk_softplus_kernelI12hip_bfloat166__halfDv1_fLb0ELi2EEEvPKT_PKT0_PfPimiiif ; -- Begin function _ZN5aiter20topk_softplus_kernelI12hip_bfloat166__halfDv1_fLb0ELi2EEEvPKT_PKT0_PfPimiiif
	.globl	_ZN5aiter20topk_softplus_kernelI12hip_bfloat166__halfDv1_fLb0ELi2EEEvPKT_PKT0_PfPimiiif
	.p2align	8
	.type	_ZN5aiter20topk_softplus_kernelI12hip_bfloat166__halfDv1_fLb0ELi2EEEvPKT_PKT0_PfPimiiif,@function
_ZN5aiter20topk_softplus_kernelI12hip_bfloat166__halfDv1_fLb0ELi2EEEvPKT_PKT0_PfPimiiif: ; @_ZN5aiter20topk_softplus_kernelI12hip_bfloat166__halfDv1_fLb0ELi2EEEvPKT_PKT0_PfPimiiif
; %bb.0:
	s_load_dwordx2 s[16:17], s[4:5], 0x28
	s_load_dwordx8 s[8:15], s[4:5], 0x0
	v_lshl_add_u32 v1, v0, 2, 0
	s_waitcnt lgkmcnt(0)
	s_mul_i32 s2, s6, s16
	s_ashr_i32 s3, s2, 31
	s_lshl_b64 s[2:3], s[2:3], 1
	s_add_u32 s7, s8, s2
	v_cmp_gt_i32_e64 s[0:1], s16, v0
	s_addc_u32 s18, s9, s3
	s_and_saveexec_b64 s[2:3], s[0:1]
	s_cbranch_execz .LBB258_3
; %bb.1:
	s_load_dword s19, s[4:5], 0x44
	v_lshl_add_u32 v4, v0, 2, 0
	s_mov_b64 s[8:9], 0
	v_mov_b32_e32 v5, s18
	v_mov_b32_e32 v2, v0
	s_waitcnt lgkmcnt(0)
	s_and_b32 s19, s19, 0xffff
	s_lshl_b32 s20, s19, 2
.LBB258_2:                              ; =>This Inner Loop Header: Depth=1
	v_ashrrev_i32_e32 v3, 31, v2
	v_lshlrev_b64 v[6:7], 1, v[2:3]
	v_add_co_u32_e32 v6, vcc, s7, v6
	v_addc_co_u32_e32 v7, vcc, v5, v7, vcc
	global_load_ushort v3, v[6:7], off
	v_add_u32_e32 v2, s19, v2
	v_cmp_le_i32_e32 vcc, s16, v2
	s_or_b64 s[8:9], vcc, s[8:9]
	s_waitcnt vmcnt(0)
	v_cvt_f32_u32_e32 v3, v3
	ds_write_b32 v4, v3
	v_add_u32_e32 v4, s20, v4
	s_andn2_b64 exec, exec, s[8:9]
	s_cbranch_execnz .LBB258_2
.LBB258_3:
	s_or_b64 exec, exec, s[2:3]
	v_add_u32_e32 v2, s16, v0
	v_cmp_gt_i32_e32 vcc, s16, v2
	s_and_saveexec_b64 s[2:3], vcc
	s_cbranch_execz .LBB258_6
; %bb.4:
	s_load_dword s19, s[4:5], 0x44
	v_lshl_add_u32 v4, v2, 2, 0
	s_mov_b64 s[8:9], 0
	v_mov_b32_e32 v5, s18
	s_waitcnt lgkmcnt(0)
	s_and_b32 s19, s19, 0xffff
	s_lshl_b32 s20, s19, 2
.LBB258_5:                              ; =>This Inner Loop Header: Depth=1
	v_ashrrev_i32_e32 v3, 31, v2
	v_lshlrev_b64 v[6:7], 1, v[2:3]
	v_add_co_u32_e32 v6, vcc, s7, v6
	v_addc_co_u32_e32 v7, vcc, v5, v7, vcc
	global_load_ushort v3, v[6:7], off
	v_add_u32_e32 v2, s19, v2
	v_cmp_le_i32_e32 vcc, s16, v2
	s_or_b64 s[8:9], vcc, s[8:9]
	s_waitcnt vmcnt(0)
	v_lshlrev_b32_e32 v3, 16, v3
	ds_write_b32 v4, v3
	v_add_u32_e32 v4, s20, v4
	s_andn2_b64 exec, exec, s[8:9]
	s_cbranch_execnz .LBB258_5
.LBB258_6:
	s_or_b64 exec, exec, s[2:3]
	v_mov_b32_e32 v2, 0xff800000
	s_waitcnt lgkmcnt(0)
	s_barrier
	s_and_saveexec_b64 s[2:3], s[0:1]
	s_cbranch_execz .LBB258_10
; %bb.7:
	s_load_dword s7, s[4:5], 0x44
	v_lshl_add_u32 v3, v0, 2, 0
	s_mov_b64 s[8:9], 0
	v_mov_b32_e32 v2, 0xff800000
	v_mov_b32_e32 v4, v0
	s_waitcnt lgkmcnt(0)
	s_and_b32 s7, s7, 0xffff
	s_lshl_b32 s18, s7, 2
.LBB258_8:                              ; =>This Inner Loop Header: Depth=1
	ds_read_b32 v5, v3
	v_add_u32_e32 v4, s7, v4
	v_max_f32_e32 v2, v2, v2
	v_cmp_le_i32_e32 vcc, s16, v4
	v_add_u32_e32 v3, s18, v3
	s_waitcnt lgkmcnt(0)
	v_max_f32_e32 v5, v5, v5
	s_or_b64 s[8:9], vcc, s[8:9]
	v_max_f32_e32 v2, v2, v5
	s_andn2_b64 exec, exec, s[8:9]
	s_cbranch_execnz .LBB258_8
; %bb.9:
	s_or_b64 exec, exec, s[8:9]
.LBB258_10:
	s_or_b64 exec, exec, s[2:3]
	;;#ASMSTART
	v_max_f32 v3, v2, v2 quad_perm:[1,0,3,2] row_mask:0xf bank_mask:0xf bound_ctrl:1
	;;#ASMEND
	;;#ASMSTART
	v_max_f32 v2, v3, v3 quad_perm:[2,3,0,1] row_mask:0xf bank_mask:0xf bound_ctrl:1
	;;#ASMEND
	;;#ASMSTART
	v_max_f32 v3, v2, v2 row_half_mirror row_mask:0xf bank_mask:0xf bound_ctrl:1
	;;#ASMEND
	;;#ASMSTART
	v_max_f32 v2, v3, v3 row_mirror row_mask:0xf bank_mask:0xf bound_ctrl:1
	;;#ASMEND
	;;#ASMSTART
	v_max_f32 v3, v2, v2 row_ror:4 row_mask:0xf bank_mask:0xf bound_ctrl:1
	;;#ASMEND
	;;#ASMSTART
	v_max_f32 v2, v3, v3 row_ror:8 row_mask:0xf bank_mask:0xf bound_ctrl:1
	;;#ASMEND
	;;#ASMSTART
	v_max_f32 v3, v2, v2 row_bcast:15 row_mask:0xf bank_mask:0xf bound_ctrl:1
	;;#ASMEND
	;;#ASMSTART
	v_max_f32 v2, v3, v3 row_bcast:31 row_mask:0xf bank_mask:0xf bound_ctrl:1
	;;#ASMEND
	v_mbcnt_lo_u32_b32 v3, -1, 0
	v_mbcnt_hi_u32_b32 v3, -1, v3
	v_bfrev_b32_e32 v4, 0.5
	v_lshl_or_b32 v4, v3, 2, v4
	ds_bpermute_b32 v3, v4, v2
	v_mov_b32_e32 v2, 0
	s_and_saveexec_b64 s[8:9], s[0:1]
	s_cbranch_execz .LBB258_14
; %bb.11:
	s_load_dword s2, s[4:5], 0x44
	v_lshl_add_u32 v5, v0, 2, 0
	s_mov_b64 s[18:19], 0
	v_mov_b32_e32 v2, 0
	s_mov_b32 s7, 0xc2fc0000
	s_waitcnt lgkmcnt(0)
	s_and_b32 s20, s2, 0xffff
	s_lshl_b32 s21, s20, 2
	v_mov_b32_e32 v6, 0x42800000
	v_mov_b32_e32 v7, 0x1f800000
	;; [unrolled: 1-line block ×3, first 2 shown]
.LBB258_12:                             ; =>This Inner Loop Header: Depth=1
	ds_read_b32 v9, v5
	v_add_u32_e32 v8, s20, v8
	v_cmp_le_i32_e64 s[2:3], s16, v8
	s_or_b64 s[18:19], s[2:3], s[18:19]
	s_waitcnt lgkmcnt(0)
	v_sub_f32_e32 v9, v9, v3
	v_mul_f32_e32 v10, 0x3fb8aa3b, v9
	v_cmp_gt_f32_e32 vcc, s7, v10
	v_cndmask_b32_e32 v10, 0, v6, vcc
	v_fmac_f32_e32 v10, 0x3fb8aa3b, v9
	v_exp_f32_e32 v9, v10
	v_cndmask_b32_e32 v10, 1.0, v7, vcc
	v_mul_f32_e32 v11, v9, v10
	v_fmac_f32_e32 v2, v9, v10
	ds_write_b32 v5, v11
	v_add_u32_e32 v5, s21, v5
	s_andn2_b64 exec, exec, s[18:19]
	s_cbranch_execnz .LBB258_12
; %bb.13:
	s_or_b64 exec, exec, s[18:19]
.LBB258_14:
	s_or_b64 exec, exec, s[8:9]
	s_waitcnt lgkmcnt(0)
	v_mov_b32_dpp v3, v2 quad_perm:[1,0,3,2] row_mask:0xf bank_mask:0xf
	v_add_f32_e32 v2, v2, v3
	s_nop 1
	v_mov_b32_dpp v3, v2 quad_perm:[2,3,0,1] row_mask:0xf bank_mask:0xf
	v_add_f32_e32 v2, v2, v3
	s_nop 1
	v_mov_b32_dpp v3, v2 row_half_mirror row_mask:0xf bank_mask:0xf
	v_add_f32_e32 v2, v2, v3
	s_nop 1
	v_mov_b32_dpp v3, v2 row_mirror row_mask:0xf bank_mask:0xf
	v_add_f32_e32 v2, v2, v3
	s_nop 1
	v_mov_b32_dpp v3, v2 row_bcast:15 row_mask:0xf bank_mask:0xf
	v_add_f32_e32 v2, v2, v3
	s_nop 1
	v_mov_b32_dpp v3, v2 row_bcast:31 row_mask:0xf bank_mask:0xf
	v_add_f32_e32 v2, v2, v3
	ds_bpermute_b32 v2, v4, v2
	s_and_saveexec_b64 s[8:9], s[0:1]
	s_cbranch_execz .LBB258_19
; %bb.15:
	s_load_dword s7, s[4:5], 0x44
	s_waitcnt lgkmcnt(0)
	v_rcp_f32_e32 v5, v2
	s_cmp_lg_u64 s[10:11], 0
	s_cselect_b64 s[2:3], -1, 0
	v_cndmask_b32_e64 v2, 0, 1, s[2:3]
	s_and_b32 s7, s7, 0xffff
	s_mov_b64 s[18:19], 0
	v_lshl_add_u32 v6, v0, 2, 0
	s_lshl_b32 s20, s7, 2
	v_cmp_ne_u32_e64 s[2:3], 1, v2
	v_mov_b32_e32 v2, v0
	s_branch .LBB258_17
.LBB258_16:                             ;   in Loop: Header=BB258_17 Depth=1
	v_add_u32_e32 v2, s7, v2
	v_cmp_le_i32_e32 vcc, s16, v2
	s_or_b64 s[18:19], vcc, s[18:19]
	v_add_u32_e32 v6, s20, v6
	s_andn2_b64 exec, exec, s[18:19]
	s_cbranch_execz .LBB258_19
.LBB258_17:                             ; =>This Inner Loop Header: Depth=1
	ds_read_b32 v3, v6
	s_and_b64 vcc, exec, s[2:3]
	s_waitcnt lgkmcnt(0)
	v_mul_f32_e32 v7, v5, v3
	ds_write_b32 v6, v7
	s_cbranch_vccnz .LBB258_16
; %bb.18:                               ;   in Loop: Header=BB258_17 Depth=1
	v_ashrrev_i32_e32 v3, 31, v2
	v_lshlrev_b64 v[8:9], 1, v[2:3]
	v_mov_b32_e32 v3, s11
	v_add_co_u32_e32 v8, vcc, s10, v8
	v_addc_co_u32_e32 v9, vcc, v3, v9, vcc
	global_load_ushort v3, v[8:9], off
	s_waitcnt vmcnt(0)
	v_cvt_f32_f16_e32 v3, v3
	v_add_f32_e32 v3, v7, v3
	ds_write_b32 v6, v3
	s_branch .LBB258_16
.LBB258_19:
	s_or_b64 exec, exec, s[8:9]
	s_cmp_lt_i32 s17, 1
	s_waitcnt lgkmcnt(0)
	s_barrier
	s_cbranch_scc1 .LBB258_28
; %bb.20:
	s_add_u32 s2, s4, 56
	s_addc_u32 s3, s5, 0
	s_cmp_lg_u64 s[10:11], 0
	s_cselect_b64 s[8:9], -1, 0
	s_mov_b32 s7, 0
	v_mov_b32_e32 v2, 0
	v_mov_b32_e32 v5, 0
	;; [unrolled: 1-line block ×4, first 2 shown]
	s_branch .LBB258_22
.LBB258_21:                             ;   in Loop: Header=BB258_22 Depth=1
	s_lshl_b32 s19, s18, 2
	s_add_i32 s19, s19, 0
	v_mov_b32_e32 v7, s19
	ds_write_b32 v7, v6
	v_mov_b32_e32 v7, s18
	v_cmp_eq_u32_e32 vcc, s7, v0
	s_add_i32 s7, s7, 1
	v_cndmask_b32_e32 v2, v2, v7, vcc
	s_cmp_eq_u32 s7, s17
	v_cndmask_b32_e32 v3, v3, v9, vcc
	s_cbranch_scc1 .LBB258_29
.LBB258_22:                             ; =>This Loop Header: Depth=1
                                        ;     Child Loop BB258_24 Depth 2
	v_mov_b32_e32 v7, s7
	v_mov_b32_e32 v8, 0xff800000
	s_and_saveexec_b64 s[18:19], s[0:1]
	s_cbranch_execz .LBB258_26
; %bb.23:                               ;   in Loop: Header=BB258_22 Depth=1
	s_load_dword s22, s[2:3], 0xc
	s_mov_b64 s[20:21], 0
	v_mov_b32_e32 v7, s7
	v_mov_b32_e32 v8, 0xff800000
	;; [unrolled: 1-line block ×3, first 2 shown]
	s_waitcnt lgkmcnt(0)
	s_and_b32 s22, s22, 0xffff
	s_lshl_b32 s23, s22, 2
	v_mov_b32_e32 v10, v0
.LBB258_24:                             ;   Parent Loop BB258_22 Depth=1
                                        ; =>  This Inner Loop Header: Depth=2
	ds_read_b32 v11, v9
	v_add_u32_e32 v9, s23, v9
	s_waitcnt lgkmcnt(0)
	v_cmp_gt_f32_e32 vcc, v11, v8
	v_cndmask_b32_e32 v7, v7, v10, vcc
	v_add_u32_e32 v10, s22, v10
	v_cndmask_b32_e32 v8, v8, v11, vcc
	v_cmp_le_i32_e32 vcc, s16, v10
	s_or_b64 s[20:21], vcc, s[20:21]
	s_andn2_b64 exec, exec, s[20:21]
	s_cbranch_execnz .LBB258_24
; %bb.25:                               ;   in Loop: Header=BB258_22 Depth=1
	s_or_b64 exec, exec, s[20:21]
.LBB258_26:                             ;   in Loop: Header=BB258_22 Depth=1
	s_or_b64 exec, exec, s[18:19]
	;;#ASMSTART
	v_max_f32 v9, v8, v8 quad_perm:[1,0,3,2] row_mask:0xf bank_mask:0xf bound_ctrl:1
	;;#ASMEND
	;;#ASMSTART
	v_max_f32 v10, v9, v9 quad_perm:[2,3,0,1] row_mask:0xf bank_mask:0xf bound_ctrl:1
	;;#ASMEND
	;;#ASMSTART
	v_max_f32 v9, v10, v10 row_half_mirror row_mask:0xf bank_mask:0xf bound_ctrl:1
	;;#ASMEND
	;;#ASMSTART
	v_max_f32 v10, v9, v9 row_mirror row_mask:0xf bank_mask:0xf bound_ctrl:1
	;;#ASMEND
	;;#ASMSTART
	v_max_f32 v9, v10, v10 row_ror:4 row_mask:0xf bank_mask:0xf bound_ctrl:1
	;;#ASMEND
	;;#ASMSTART
	v_max_f32 v10, v9, v9 row_ror:8 row_mask:0xf bank_mask:0xf bound_ctrl:1
	;;#ASMEND
	;;#ASMSTART
	v_max_f32 v9, v10, v10 row_bcast:15 row_mask:0xf bank_mask:0xf bound_ctrl:1
	;;#ASMEND
	;;#ASMSTART
	v_max_f32 v10, v9, v9 row_bcast:31 row_mask:0xf bank_mask:0xf bound_ctrl:1
	;;#ASMEND
	ds_bpermute_b32 v9, v4, v10
	s_waitcnt lgkmcnt(0)
	v_cmp_eq_f32_e32 vcc, v8, v9
	s_ff1_i32_b64 s18, vcc
	s_cmp_lg_u64 vcc, 0
	s_cselect_b32 s18, s18, 0
	s_and_b64 vcc, exec, s[8:9]
	v_readlane_b32 s18, v7, s18
	s_cbranch_vccz .LBB258_21
; %bb.27:                               ;   in Loop: Header=BB258_22 Depth=1
	s_ashr_i32 s19, s18, 31
	s_lshl_b64 s[20:21], s[18:19], 1
	s_add_u32 s20, s10, s20
	s_addc_u32 s21, s11, s21
	global_load_ushort v7, v5, s[20:21]
	s_waitcnt vmcnt(0)
	v_cvt_f32_f16_e32 v7, v7
	v_sub_f32_e32 v9, v9, v7
	s_branch .LBB258_21
.LBB258_28:
	v_mov_b32_e32 v3, 0
	v_mov_b32_e32 v2, 0
.LBB258_29:
	v_cmp_gt_i32_e32 vcc, s17, v0
	s_and_saveexec_b64 s[0:1], vcc
	s_cbranch_execz .LBB258_32
; %bb.30:
	s_load_dword s2, s[4:5], 0x34
	s_load_dwordx2 s[0:1], s[4:5], 0x20
	s_ashr_i32 s3, s6, 31
	s_load_dword s4, s[4:5], 0x44
	v_mov_b32_e32 v4, s13
	s_waitcnt lgkmcnt(0)
	v_mul_f32_e32 v1, s2, v3
	s_mul_i32 s1, s6, s1
	s_mul_hi_u32 s2, s6, s0
	s_add_i32 s1, s2, s1
	s_mul_i32 s3, s3, s0
	s_add_i32 s5, s1, s3
	s_mul_i32 s2, s6, s0
	s_and_b32 s3, s4, 0xffff
	s_mov_b64 s[0:1], 0
	v_mov_b32_e32 v3, s5
	v_mov_b32_e32 v5, s15
.LBB258_31:                             ; =>This Inner Loop Header: Depth=1
	v_ashrrev_i32_e32 v7, 31, v0
	v_add_co_u32_e32 v6, vcc, s2, v0
	v_addc_co_u32_e32 v7, vcc, v3, v7, vcc
	v_add_u32_e32 v0, s3, v0
	v_cmp_le_i32_e32 vcc, s17, v0
	v_lshlrev_b64 v[6:7], 2, v[6:7]
	s_or_b64 s[0:1], vcc, s[0:1]
	v_add_co_u32_e32 v8, vcc, s12, v6
	v_addc_co_u32_e32 v9, vcc, v4, v7, vcc
	v_add_co_u32_e32 v6, vcc, s14, v6
	v_addc_co_u32_e32 v7, vcc, v5, v7, vcc
	global_store_dword v[8:9], v1, off
	global_store_dword v[6:7], v2, off
	s_andn2_b64 exec, exec, s[0:1]
	s_cbranch_execnz .LBB258_31
.LBB258_32:
	s_endpgm
	.section	.rodata,"a",@progbits
	.p2align	6, 0x0
	.amdhsa_kernel _ZN5aiter20topk_softplus_kernelI12hip_bfloat166__halfDv1_fLb0ELi2EEEvPKT_PKT0_PfPimiiif
		.amdhsa_group_segment_fixed_size 0
		.amdhsa_private_segment_fixed_size 0
		.amdhsa_kernarg_size 312
		.amdhsa_user_sgpr_count 6
		.amdhsa_user_sgpr_private_segment_buffer 1
		.amdhsa_user_sgpr_dispatch_ptr 0
		.amdhsa_user_sgpr_queue_ptr 0
		.amdhsa_user_sgpr_kernarg_segment_ptr 1
		.amdhsa_user_sgpr_dispatch_id 0
		.amdhsa_user_sgpr_flat_scratch_init 0
		.amdhsa_user_sgpr_kernarg_preload_length 0
		.amdhsa_user_sgpr_kernarg_preload_offset 0
		.amdhsa_user_sgpr_private_segment_size 0
		.amdhsa_uses_dynamic_stack 0
		.amdhsa_system_sgpr_private_segment_wavefront_offset 0
		.amdhsa_system_sgpr_workgroup_id_x 1
		.amdhsa_system_sgpr_workgroup_id_y 0
		.amdhsa_system_sgpr_workgroup_id_z 0
		.amdhsa_system_sgpr_workgroup_info 0
		.amdhsa_system_vgpr_workitem_id 0
		.amdhsa_next_free_vgpr 12
		.amdhsa_next_free_sgpr 24
		.amdhsa_accum_offset 12
		.amdhsa_reserve_vcc 1
		.amdhsa_reserve_flat_scratch 0
		.amdhsa_float_round_mode_32 0
		.amdhsa_float_round_mode_16_64 0
		.amdhsa_float_denorm_mode_32 3
		.amdhsa_float_denorm_mode_16_64 3
		.amdhsa_dx10_clamp 1
		.amdhsa_ieee_mode 1
		.amdhsa_fp16_overflow 0
		.amdhsa_tg_split 0
		.amdhsa_exception_fp_ieee_invalid_op 0
		.amdhsa_exception_fp_denorm_src 0
		.amdhsa_exception_fp_ieee_div_zero 0
		.amdhsa_exception_fp_ieee_overflow 0
		.amdhsa_exception_fp_ieee_underflow 0
		.amdhsa_exception_fp_ieee_inexact 0
		.amdhsa_exception_int_div_zero 0
	.end_amdhsa_kernel
	.section	.text._ZN5aiter20topk_softplus_kernelI12hip_bfloat166__halfDv1_fLb0ELi2EEEvPKT_PKT0_PfPimiiif,"axG",@progbits,_ZN5aiter20topk_softplus_kernelI12hip_bfloat166__halfDv1_fLb0ELi2EEEvPKT_PKT0_PfPimiiif,comdat
.Lfunc_end258:
	.size	_ZN5aiter20topk_softplus_kernelI12hip_bfloat166__halfDv1_fLb0ELi2EEEvPKT_PKT0_PfPimiiif, .Lfunc_end258-_ZN5aiter20topk_softplus_kernelI12hip_bfloat166__halfDv1_fLb0ELi2EEEvPKT_PKT0_PfPimiiif
                                        ; -- End function
	.section	.AMDGPU.csdata,"",@progbits
; Kernel info:
; codeLenInByte = 1576
; NumSgprs: 28
; NumVgprs: 12
; NumAgprs: 0
; TotalNumVgprs: 12
; ScratchSize: 0
; MemoryBound: 0
; FloatMode: 240
; IeeeMode: 1
; LDSByteSize: 0 bytes/workgroup (compile time only)
; SGPRBlocks: 3
; VGPRBlocks: 1
; NumSGPRsForWavesPerEU: 28
; NumVGPRsForWavesPerEU: 12
; AccumOffset: 12
; Occupancy: 8
; WaveLimiterHint : 0
; COMPUTE_PGM_RSRC2:SCRATCH_EN: 0
; COMPUTE_PGM_RSRC2:USER_SGPR: 6
; COMPUTE_PGM_RSRC2:TRAP_HANDLER: 0
; COMPUTE_PGM_RSRC2:TGID_X_EN: 1
; COMPUTE_PGM_RSRC2:TGID_Y_EN: 0
; COMPUTE_PGM_RSRC2:TGID_Z_EN: 0
; COMPUTE_PGM_RSRC2:TIDIG_COMP_CNT: 0
; COMPUTE_PGM_RSRC3_GFX90A:ACCUM_OFFSET: 2
; COMPUTE_PGM_RSRC3_GFX90A:TG_SPLIT: 0
	.section	.text._ZN5aiter24topk_softplus_kernel_optI12hip_bfloat166__halfLi64ELb1ELi0EEEvPKT_PKT0_PfPimiif,"axG",@progbits,_ZN5aiter24topk_softplus_kernel_optI12hip_bfloat166__halfLi64ELb1ELi0EEEvPKT_PKT0_PfPimiif,comdat
	.protected	_ZN5aiter24topk_softplus_kernel_optI12hip_bfloat166__halfLi64ELb1ELi0EEEvPKT_PKT0_PfPimiif ; -- Begin function _ZN5aiter24topk_softplus_kernel_optI12hip_bfloat166__halfLi64ELb1ELi0EEEvPKT_PKT0_PfPimiif
	.globl	_ZN5aiter24topk_softplus_kernel_optI12hip_bfloat166__halfLi64ELb1ELi0EEEvPKT_PKT0_PfPimiif
	.p2align	8
	.type	_ZN5aiter24topk_softplus_kernel_optI12hip_bfloat166__halfLi64ELb1ELi0EEEvPKT_PKT0_PfPimiif,@function
_ZN5aiter24topk_softplus_kernel_optI12hip_bfloat166__halfLi64ELb1ELi0EEEvPKT_PKT0_PfPimiif: ; @_ZN5aiter24topk_softplus_kernel_optI12hip_bfloat166__halfLi64ELb1ELi0EEEvPKT_PKT0_PfPimiif
; %bb.0:
	s_load_dwordx4 s[0:3], s[4:5], 0x0
	s_lshl_b32 s8, s6, 6
	s_ashr_i32 s9, s8, 31
	s_lshl_b64 s[8:9], s[8:9], 1
	v_lshlrev_b32_e32 v2, 1, v0
	s_waitcnt lgkmcnt(0)
	s_add_u32 s0, s0, s8
	s_addc_u32 s1, s1, s9
	global_load_ushort v1, v2, s[0:1]
	s_mov_b32 s1, 0xc2fc0000
	v_mov_b32_e32 v3, 0x42800000
	v_mov_b32_e32 v4, 0x1f800000
	s_mov_b32 s0, 0x41a00000
	s_cmp_eq_u64 s[2:3], 0
	s_waitcnt vmcnt(0)
	v_lshlrev_b32_e32 v1, 16, v1
	v_mul_f32_e32 v5, 0x3fb8aa3b, v1
	v_cmp_gt_f32_e32 vcc, s1, v5
	v_cndmask_b32_e32 v3, 0, v3, vcc
	v_fmac_f32_e32 v3, 0x3fb8aa3b, v1
	v_exp_f32_e32 v3, v3
	v_cndmask_b32_e32 v4, 1.0, v4, vcc
	s_mov_b32 s1, 0x800000
	v_mov_b32_e32 v5, 0x4f800000
	v_fma_f32 v3, v3, v4, 1.0
	v_cmp_gt_f32_e32 vcc, s1, v3
	v_cndmask_b32_e32 v4, 1.0, v5, vcc
	v_mul_f32_e32 v3, v3, v4
	v_log_f32_e32 v3, v3
	v_mov_b32_e32 v4, 0x42000000
	v_cndmask_b32_e32 v4, 0, v4, vcc
	v_cmp_lt_f32_e32 vcc, s0, v1
	v_sub_f32_e32 v3, v3, v4
	v_mul_f32_e32 v3, 0x3f317218, v3
	s_mov_b32 s1, 0xf800000
	v_cndmask_b32_e32 v1, v3, v1, vcc
	v_mul_f32_e32 v3, 0x4f800000, v1
	v_cmp_gt_f32_e32 vcc, s1, v1
	v_cndmask_b32_e32 v3, v1, v3, vcc
	v_sqrt_f32_e32 v4, v3
	v_mov_b32_e32 v5, 0x260
	v_mov_b32_e32 v1, 0
	v_add_u32_e32 v6, -1, v4
	v_add_u32_e32 v7, 1, v4
	v_fma_f32 v8, -v6, v4, v3
	v_fma_f32 v9, -v7, v4, v3
	v_cmp_ge_f32_e64 s[0:1], 0, v8
	v_cndmask_b32_e64 v4, v4, v6, s[0:1]
	v_cmp_lt_f32_e64 s[0:1], 0, v9
	v_cndmask_b32_e64 v4, v4, v7, s[0:1]
	v_mul_f32_e32 v6, 0x37800000, v4
	v_cndmask_b32_e32 v4, v4, v6, vcc
	v_cmp_class_f32_e32 vcc, v3, v5
	v_cndmask_b32_e32 v3, v4, v3, vcc
	v_mov_b32_e32 v4, v3
	s_cbranch_scc1 .LBB259_2
; %bb.1:
	global_load_ushort v2, v2, s[2:3]
	s_waitcnt vmcnt(0)
	v_cvt_f32_f16_e32 v2, v2
	v_add_f32_e32 v4, v3, v2
.LBB259_2:
	s_load_dword s2, s[4:5], 0x28
	s_load_dwordx4 s[8:11], s[4:5], 0x10
	s_mov_b32 s3, 0
	v_mov_b32_e32 v5, 0
	v_mov_b32_e32 v2, 0
	s_waitcnt lgkmcnt(0)
	s_cmp_lt_i32 s2, 1
	s_cbranch_scc1 .LBB259_5
; %bb.3:
	v_mbcnt_lo_u32_b32 v1, -1, 0
	v_mbcnt_hi_u32_b32 v1, -1, v1
	v_bfrev_b32_e32 v2, 0.5
	v_mov_b32_e32 v6, 0
	v_mov_b32_e32 v7, 0xff800000
	v_lshl_or_b32 v8, v1, 2, v2
	v_mov_b32_e32 v5, 0
	v_mov_b32_e32 v1, 0
	;; [unrolled: 1-line block ×3, first 2 shown]
.LBB259_4:                              ; =>This Inner Loop Header: Depth=1
	v_cmp_eq_u32_e32 vcc, 0, v6
	v_cndmask_b32_e32 v9, v7, v4, vcc
	;;#ASMSTART
	v_max_f32 v11, v9, v9 quad_perm:[1,0,3,2] row_mask:0xf bank_mask:0xf bound_ctrl:1
	;;#ASMEND
	;;#ASMSTART
	v_max_f32 v12, v11, v11 quad_perm:[2,3,0,1] row_mask:0xf bank_mask:0xf bound_ctrl:1
	;;#ASMEND
	;;#ASMSTART
	v_max_f32 v11, v12, v12 row_half_mirror row_mask:0xf bank_mask:0xf bound_ctrl:1
	;;#ASMEND
	;;#ASMSTART
	v_max_f32 v12, v11, v11 row_mirror row_mask:0xf bank_mask:0xf bound_ctrl:1
	;;#ASMEND
	;;#ASMSTART
	v_max_f32 v11, v12, v12 row_ror:4 row_mask:0xf bank_mask:0xf bound_ctrl:1
	;;#ASMEND
	;;#ASMSTART
	v_max_f32 v12, v11, v11 row_ror:8 row_mask:0xf bank_mask:0xf bound_ctrl:1
	;;#ASMEND
	;;#ASMSTART
	v_max_f32 v11, v12, v12 row_bcast:15 row_mask:0xf bank_mask:0xf bound_ctrl:1
	;;#ASMEND
	;;#ASMSTART
	v_max_f32 v12, v11, v11 row_bcast:31 row_mask:0xf bank_mask:0xf bound_ctrl:1
	;;#ASMEND
	ds_bpermute_b32 v11, v8, v12
	v_cndmask_b32_e32 v10, 0, v0, vcc
	s_waitcnt lgkmcnt(0)
	v_cmp_eq_f32_e64 s[0:1], v9, v11
	s_ff1_i32_b64 s7, s[0:1]
	s_cmp_lg_u64 s[0:1], 0
	s_cselect_b32 s0, s7, 0
	s_nop 0
	v_readlane_b32 s7, v10, s0
	v_cmp_eq_u32_e64 s[0:1], s7, v0
	s_and_b64 vcc, vcc, s[0:1]
	s_and_b32 s12, s7, 63
	v_cndmask_b32_e32 v10, 0, v3, vcc
	v_addc_co_u32_e32 v6, vcc, 0, v6, vcc
	v_readlane_b32 s0, v10, s12
	v_mov_b32_e32 v9, s7
	v_mov_b32_e32 v10, s0
	v_cmp_eq_u32_e32 vcc, s3, v0
	s_add_i32 s3, s3, 1
	v_add_f32_e32 v5, s0, v5
	v_cndmask_b32_e32 v2, v2, v10, vcc
	s_cmp_eq_u32 s2, s3
	v_cndmask_b32_e32 v1, v1, v9, vcc
	s_cbranch_scc0 .LBB259_4
.LBB259_5:
	v_cmp_gt_i32_e32 vcc, s2, v0
	s_and_saveexec_b64 s[0:1], vcc
	s_cbranch_execz .LBB259_7
; %bb.6:
	s_load_dword s2, s[4:5], 0x30
	v_max_f32_e32 v3, v5, v5
	v_max_f32_e32 v3, 0x1e3ce508, v3
	v_lshlrev_b32_e32 v0, 2, v0
	s_waitcnt lgkmcnt(0)
	v_div_scale_f32 v4, s[0:1], v3, v3, s2
	v_rcp_f32_e32 v5, v4
	v_div_scale_f32 v6, vcc, s2, v3, s2
	s_load_dwordx2 s[0:1], s[4:5], 0x20
	v_fma_f32 v7, -v4, v5, 1.0
	v_fmac_f32_e32 v5, v7, v5
	v_mul_f32_e32 v7, v6, v5
	v_fma_f32 v8, -v4, v7, v6
	v_fmac_f32_e32 v7, v8, v5
	v_fma_f32 v4, -v4, v7, v6
	v_div_fmas_f32 v4, v4, v5, v7
	v_div_fixup_f32 v3, v4, v3, s2
	s_ashr_i32 s2, s6, 31
	s_waitcnt lgkmcnt(0)
	s_mul_i32 s1, s6, s1
	s_mul_hi_u32 s3, s6, s0
	s_add_i32 s1, s3, s1
	s_mul_i32 s2, s2, s0
	s_add_i32 s1, s1, s2
	s_mul_i32 s0, s6, s0
	s_lshl_b64 s[0:1], s[0:1], 2
	s_add_u32 s2, s8, s0
	s_addc_u32 s3, s9, s1
	s_add_u32 s0, s10, s0
	v_mul_f32_e32 v2, v2, v3
	s_addc_u32 s1, s11, s1
	global_store_dword v0, v2, s[2:3]
	global_store_dword v0, v1, s[0:1]
.LBB259_7:
	s_endpgm
	.section	.rodata,"a",@progbits
	.p2align	6, 0x0
	.amdhsa_kernel _ZN5aiter24topk_softplus_kernel_optI12hip_bfloat166__halfLi64ELb1ELi0EEEvPKT_PKT0_PfPimiif
		.amdhsa_group_segment_fixed_size 0
		.amdhsa_private_segment_fixed_size 0
		.amdhsa_kernarg_size 52
		.amdhsa_user_sgpr_count 6
		.amdhsa_user_sgpr_private_segment_buffer 1
		.amdhsa_user_sgpr_dispatch_ptr 0
		.amdhsa_user_sgpr_queue_ptr 0
		.amdhsa_user_sgpr_kernarg_segment_ptr 1
		.amdhsa_user_sgpr_dispatch_id 0
		.amdhsa_user_sgpr_flat_scratch_init 0
		.amdhsa_user_sgpr_kernarg_preload_length 0
		.amdhsa_user_sgpr_kernarg_preload_offset 0
		.amdhsa_user_sgpr_private_segment_size 0
		.amdhsa_uses_dynamic_stack 0
		.amdhsa_system_sgpr_private_segment_wavefront_offset 0
		.amdhsa_system_sgpr_workgroup_id_x 1
		.amdhsa_system_sgpr_workgroup_id_y 0
		.amdhsa_system_sgpr_workgroup_id_z 0
		.amdhsa_system_sgpr_workgroup_info 0
		.amdhsa_system_vgpr_workitem_id 0
		.amdhsa_next_free_vgpr 13
		.amdhsa_next_free_sgpr 13
		.amdhsa_accum_offset 16
		.amdhsa_reserve_vcc 1
		.amdhsa_reserve_flat_scratch 0
		.amdhsa_float_round_mode_32 0
		.amdhsa_float_round_mode_16_64 0
		.amdhsa_float_denorm_mode_32 3
		.amdhsa_float_denorm_mode_16_64 3
		.amdhsa_dx10_clamp 1
		.amdhsa_ieee_mode 1
		.amdhsa_fp16_overflow 0
		.amdhsa_tg_split 0
		.amdhsa_exception_fp_ieee_invalid_op 0
		.amdhsa_exception_fp_denorm_src 0
		.amdhsa_exception_fp_ieee_div_zero 0
		.amdhsa_exception_fp_ieee_overflow 0
		.amdhsa_exception_fp_ieee_underflow 0
		.amdhsa_exception_fp_ieee_inexact 0
		.amdhsa_exception_int_div_zero 0
	.end_amdhsa_kernel
	.section	.text._ZN5aiter24topk_softplus_kernel_optI12hip_bfloat166__halfLi64ELb1ELi0EEEvPKT_PKT0_PfPimiif,"axG",@progbits,_ZN5aiter24topk_softplus_kernel_optI12hip_bfloat166__halfLi64ELb1ELi0EEEvPKT_PKT0_PfPimiif,comdat
.Lfunc_end259:
	.size	_ZN5aiter24topk_softplus_kernel_optI12hip_bfloat166__halfLi64ELb1ELi0EEEvPKT_PKT0_PfPimiif, .Lfunc_end259-_ZN5aiter24topk_softplus_kernel_optI12hip_bfloat166__halfLi64ELb1ELi0EEEvPKT_PKT0_PfPimiif
                                        ; -- End function
	.section	.AMDGPU.csdata,"",@progbits
; Kernel info:
; codeLenInByte = 812
; NumSgprs: 17
; NumVgprs: 13
; NumAgprs: 0
; TotalNumVgprs: 13
; ScratchSize: 0
; MemoryBound: 0
; FloatMode: 240
; IeeeMode: 1
; LDSByteSize: 0 bytes/workgroup (compile time only)
; SGPRBlocks: 2
; VGPRBlocks: 1
; NumSGPRsForWavesPerEU: 17
; NumVGPRsForWavesPerEU: 13
; AccumOffset: 16
; Occupancy: 8
; WaveLimiterHint : 0
; COMPUTE_PGM_RSRC2:SCRATCH_EN: 0
; COMPUTE_PGM_RSRC2:USER_SGPR: 6
; COMPUTE_PGM_RSRC2:TRAP_HANDLER: 0
; COMPUTE_PGM_RSRC2:TGID_X_EN: 1
; COMPUTE_PGM_RSRC2:TGID_Y_EN: 0
; COMPUTE_PGM_RSRC2:TGID_Z_EN: 0
; COMPUTE_PGM_RSRC2:TIDIG_COMP_CNT: 0
; COMPUTE_PGM_RSRC3_GFX90A:ACCUM_OFFSET: 3
; COMPUTE_PGM_RSRC3_GFX90A:TG_SPLIT: 0
	.section	.text._ZN5aiter24topk_softplus_kernel_optI12hip_bfloat166__halfLi64ELb0ELi0EEEvPKT_PKT0_PfPimiif,"axG",@progbits,_ZN5aiter24topk_softplus_kernel_optI12hip_bfloat166__halfLi64ELb0ELi0EEEvPKT_PKT0_PfPimiif,comdat
	.protected	_ZN5aiter24topk_softplus_kernel_optI12hip_bfloat166__halfLi64ELb0ELi0EEEvPKT_PKT0_PfPimiif ; -- Begin function _ZN5aiter24topk_softplus_kernel_optI12hip_bfloat166__halfLi64ELb0ELi0EEEvPKT_PKT0_PfPimiif
	.globl	_ZN5aiter24topk_softplus_kernel_optI12hip_bfloat166__halfLi64ELb0ELi0EEEvPKT_PKT0_PfPimiif
	.p2align	8
	.type	_ZN5aiter24topk_softplus_kernel_optI12hip_bfloat166__halfLi64ELb0ELi0EEEvPKT_PKT0_PfPimiif,@function
_ZN5aiter24topk_softplus_kernel_optI12hip_bfloat166__halfLi64ELb0ELi0EEEvPKT_PKT0_PfPimiif: ; @_ZN5aiter24topk_softplus_kernel_optI12hip_bfloat166__halfLi64ELb0ELi0EEEvPKT_PKT0_PfPimiif
; %bb.0:
	s_load_dwordx4 s[0:3], s[4:5], 0x0
	s_lshl_b32 s8, s6, 6
	s_ashr_i32 s9, s8, 31
	s_lshl_b64 s[8:9], s[8:9], 1
	v_lshlrev_b32_e32 v2, 1, v0
	s_waitcnt lgkmcnt(0)
	s_add_u32 s0, s0, s8
	s_addc_u32 s1, s1, s9
	global_load_ushort v1, v2, s[0:1]
	s_mov_b32 s1, 0xc2fc0000
	v_mov_b32_e32 v3, 0x42800000
	v_mov_b32_e32 v4, 0x1f800000
	s_mov_b32 s0, 0x41a00000
	s_cmp_eq_u64 s[2:3], 0
	s_waitcnt vmcnt(0)
	v_lshlrev_b32_e32 v1, 16, v1
	v_mul_f32_e32 v5, 0x3fb8aa3b, v1
	v_cmp_gt_f32_e32 vcc, s1, v5
	v_cndmask_b32_e32 v3, 0, v3, vcc
	v_fmac_f32_e32 v3, 0x3fb8aa3b, v1
	v_exp_f32_e32 v3, v3
	v_cndmask_b32_e32 v4, 1.0, v4, vcc
	s_mov_b32 s1, 0x800000
	v_mov_b32_e32 v5, 0x4f800000
	v_fma_f32 v3, v3, v4, 1.0
	v_cmp_gt_f32_e32 vcc, s1, v3
	v_cndmask_b32_e32 v4, 1.0, v5, vcc
	v_mul_f32_e32 v3, v3, v4
	v_log_f32_e32 v3, v3
	v_mov_b32_e32 v4, 0x42000000
	v_cndmask_b32_e32 v4, 0, v4, vcc
	v_cmp_lt_f32_e32 vcc, s0, v1
	v_sub_f32_e32 v3, v3, v4
	v_mul_f32_e32 v3, 0x3f317218, v3
	s_mov_b32 s1, 0xf800000
	v_cndmask_b32_e32 v1, v3, v1, vcc
	v_mul_f32_e32 v3, 0x4f800000, v1
	v_cmp_gt_f32_e32 vcc, s1, v1
	v_cndmask_b32_e32 v3, v1, v3, vcc
	v_sqrt_f32_e32 v4, v3
	v_mov_b32_e32 v5, 0x260
	v_mov_b32_e32 v1, 0
	v_add_u32_e32 v6, -1, v4
	v_add_u32_e32 v7, 1, v4
	v_fma_f32 v8, -v6, v4, v3
	v_fma_f32 v9, -v7, v4, v3
	v_cmp_ge_f32_e64 s[0:1], 0, v8
	v_cndmask_b32_e64 v4, v4, v6, s[0:1]
	v_cmp_lt_f32_e64 s[0:1], 0, v9
	v_cndmask_b32_e64 v4, v4, v7, s[0:1]
	v_mul_f32_e32 v6, 0x37800000, v4
	v_cndmask_b32_e32 v4, v4, v6, vcc
	v_cmp_class_f32_e32 vcc, v3, v5
	v_cndmask_b32_e32 v3, v4, v3, vcc
	v_mov_b32_e32 v4, v3
	s_cbranch_scc1 .LBB260_2
; %bb.1:
	global_load_ushort v2, v2, s[2:3]
	s_waitcnt vmcnt(0)
	v_cvt_f32_f16_e32 v2, v2
	v_add_f32_e32 v4, v3, v2
.LBB260_2:
	s_load_dword s2, s[4:5], 0x28
	s_load_dwordx4 s[8:11], s[4:5], 0x10
	s_waitcnt lgkmcnt(0)
	s_cmp_lt_i32 s2, 1
	s_cbranch_scc1 .LBB260_8
; %bb.3:
	v_mbcnt_lo_u32_b32 v1, -1, 0
	v_mbcnt_hi_u32_b32 v1, -1, v1
	v_bfrev_b32_e32 v7, 0.5
	s_mov_b32 s3, 0
	v_mov_b32_e32 v5, 0
	v_mov_b32_e32 v2, 0
	v_mov_b32_e32 v6, 0xff800000
	v_lshl_or_b32 v7, v1, 2, v7
	v_mov_b32_e32 v1, 0
.LBB260_4:                              ; =>This Inner Loop Header: Depth=1
	v_cmp_eq_u32_e32 vcc, 0, v5
	v_cndmask_b32_e32 v8, v6, v4, vcc
	;;#ASMSTART
	v_max_f32 v10, v8, v8 quad_perm:[1,0,3,2] row_mask:0xf bank_mask:0xf bound_ctrl:1
	;;#ASMEND
	;;#ASMSTART
	v_max_f32 v11, v10, v10 quad_perm:[2,3,0,1] row_mask:0xf bank_mask:0xf bound_ctrl:1
	;;#ASMEND
	;;#ASMSTART
	v_max_f32 v10, v11, v11 row_half_mirror row_mask:0xf bank_mask:0xf bound_ctrl:1
	;;#ASMEND
	;;#ASMSTART
	v_max_f32 v11, v10, v10 row_mirror row_mask:0xf bank_mask:0xf bound_ctrl:1
	;;#ASMEND
	;;#ASMSTART
	v_max_f32 v10, v11, v11 row_ror:4 row_mask:0xf bank_mask:0xf bound_ctrl:1
	;;#ASMEND
	;;#ASMSTART
	v_max_f32 v11, v10, v10 row_ror:8 row_mask:0xf bank_mask:0xf bound_ctrl:1
	;;#ASMEND
	;;#ASMSTART
	v_max_f32 v10, v11, v11 row_bcast:15 row_mask:0xf bank_mask:0xf bound_ctrl:1
	;;#ASMEND
	;;#ASMSTART
	v_max_f32 v11, v10, v10 row_bcast:31 row_mask:0xf bank_mask:0xf bound_ctrl:1
	;;#ASMEND
	ds_bpermute_b32 v10, v7, v11
	v_cndmask_b32_e32 v9, 0, v0, vcc
	s_waitcnt lgkmcnt(0)
	v_cmp_eq_f32_e64 s[0:1], v8, v10
	s_ff1_i32_b64 s7, s[0:1]
	s_cmp_lg_u64 s[0:1], 0
	s_cselect_b32 s0, s7, 0
	s_nop 0
	v_readlane_b32 s7, v9, s0
	v_cmp_eq_u32_e64 s[0:1], s7, v0
	s_and_b64 vcc, vcc, s[0:1]
	s_and_b32 s12, s7, 63
	v_cndmask_b32_e32 v9, 0, v3, vcc
	v_addc_co_u32_e32 v5, vcc, 0, v5, vcc
	v_readlane_b32 s0, v9, s12
	v_mov_b32_e32 v8, s7
	v_mov_b32_e32 v9, s0
	v_cmp_eq_u32_e32 vcc, s3, v0
	s_add_i32 s3, s3, 1
	v_cndmask_b32_e32 v2, v2, v9, vcc
	s_cmp_eq_u32 s2, s3
	v_cndmask_b32_e32 v1, v1, v8, vcc
	s_cbranch_scc0 .LBB260_4
; %bb.5:
	v_cmp_gt_i32_e32 vcc, s2, v0
	s_and_saveexec_b64 s[0:1], vcc
	s_cbranch_execz .LBB260_7
.LBB260_6:
	s_load_dword s2, s[4:5], 0x30
	s_load_dwordx2 s[0:1], s[4:5], 0x20
	s_ashr_i32 s3, s6, 31
	v_lshlrev_b32_e32 v0, 2, v0
	s_waitcnt lgkmcnt(0)
	v_mul_f32_e32 v2, s2, v2
	s_mul_i32 s1, s6, s1
	s_mul_hi_u32 s2, s6, s0
	s_add_i32 s1, s2, s1
	s_mul_i32 s3, s3, s0
	s_add_i32 s1, s1, s3
	s_mul_i32 s0, s6, s0
	s_lshl_b64 s[0:1], s[0:1], 2
	s_add_u32 s2, s8, s0
	s_addc_u32 s3, s9, s1
	s_add_u32 s0, s10, s0
	s_addc_u32 s1, s11, s1
	global_store_dword v0, v2, s[2:3]
	global_store_dword v0, v1, s[0:1]
.LBB260_7:
	s_endpgm
.LBB260_8:
	v_mov_b32_e32 v2, 0
	v_cmp_gt_i32_e32 vcc, s2, v0
	s_and_saveexec_b64 s[0:1], vcc
	s_cbranch_execnz .LBB260_6
	s_branch .LBB260_7
	.section	.rodata,"a",@progbits
	.p2align	6, 0x0
	.amdhsa_kernel _ZN5aiter24topk_softplus_kernel_optI12hip_bfloat166__halfLi64ELb0ELi0EEEvPKT_PKT0_PfPimiif
		.amdhsa_group_segment_fixed_size 0
		.amdhsa_private_segment_fixed_size 0
		.amdhsa_kernarg_size 52
		.amdhsa_user_sgpr_count 6
		.amdhsa_user_sgpr_private_segment_buffer 1
		.amdhsa_user_sgpr_dispatch_ptr 0
		.amdhsa_user_sgpr_queue_ptr 0
		.amdhsa_user_sgpr_kernarg_segment_ptr 1
		.amdhsa_user_sgpr_dispatch_id 0
		.amdhsa_user_sgpr_flat_scratch_init 0
		.amdhsa_user_sgpr_kernarg_preload_length 0
		.amdhsa_user_sgpr_kernarg_preload_offset 0
		.amdhsa_user_sgpr_private_segment_size 0
		.amdhsa_uses_dynamic_stack 0
		.amdhsa_system_sgpr_private_segment_wavefront_offset 0
		.amdhsa_system_sgpr_workgroup_id_x 1
		.amdhsa_system_sgpr_workgroup_id_y 0
		.amdhsa_system_sgpr_workgroup_id_z 0
		.amdhsa_system_sgpr_workgroup_info 0
		.amdhsa_system_vgpr_workitem_id 0
		.amdhsa_next_free_vgpr 12
		.amdhsa_next_free_sgpr 13
		.amdhsa_accum_offset 12
		.amdhsa_reserve_vcc 1
		.amdhsa_reserve_flat_scratch 0
		.amdhsa_float_round_mode_32 0
		.amdhsa_float_round_mode_16_64 0
		.amdhsa_float_denorm_mode_32 3
		.amdhsa_float_denorm_mode_16_64 3
		.amdhsa_dx10_clamp 1
		.amdhsa_ieee_mode 1
		.amdhsa_fp16_overflow 0
		.amdhsa_tg_split 0
		.amdhsa_exception_fp_ieee_invalid_op 0
		.amdhsa_exception_fp_denorm_src 0
		.amdhsa_exception_fp_ieee_div_zero 0
		.amdhsa_exception_fp_ieee_overflow 0
		.amdhsa_exception_fp_ieee_underflow 0
		.amdhsa_exception_fp_ieee_inexact 0
		.amdhsa_exception_int_div_zero 0
	.end_amdhsa_kernel
	.section	.text._ZN5aiter24topk_softplus_kernel_optI12hip_bfloat166__halfLi64ELb0ELi0EEEvPKT_PKT0_PfPimiif,"axG",@progbits,_ZN5aiter24topk_softplus_kernel_optI12hip_bfloat166__halfLi64ELb0ELi0EEEvPKT_PKT0_PfPimiif,comdat
.Lfunc_end260:
	.size	_ZN5aiter24topk_softplus_kernel_optI12hip_bfloat166__halfLi64ELb0ELi0EEEvPKT_PKT0_PfPimiif, .Lfunc_end260-_ZN5aiter24topk_softplus_kernel_optI12hip_bfloat166__halfLi64ELb0ELi0EEEvPKT_PKT0_PfPimiif
                                        ; -- End function
	.section	.AMDGPU.csdata,"",@progbits
; Kernel info:
; codeLenInByte = 728
; NumSgprs: 17
; NumVgprs: 12
; NumAgprs: 0
; TotalNumVgprs: 12
; ScratchSize: 0
; MemoryBound: 0
; FloatMode: 240
; IeeeMode: 1
; LDSByteSize: 0 bytes/workgroup (compile time only)
; SGPRBlocks: 2
; VGPRBlocks: 1
; NumSGPRsForWavesPerEU: 17
; NumVGPRsForWavesPerEU: 12
; AccumOffset: 12
; Occupancy: 8
; WaveLimiterHint : 0
; COMPUTE_PGM_RSRC2:SCRATCH_EN: 0
; COMPUTE_PGM_RSRC2:USER_SGPR: 6
; COMPUTE_PGM_RSRC2:TRAP_HANDLER: 0
; COMPUTE_PGM_RSRC2:TGID_X_EN: 1
; COMPUTE_PGM_RSRC2:TGID_Y_EN: 0
; COMPUTE_PGM_RSRC2:TGID_Z_EN: 0
; COMPUTE_PGM_RSRC2:TIDIG_COMP_CNT: 0
; COMPUTE_PGM_RSRC3_GFX90A:ACCUM_OFFSET: 2
; COMPUTE_PGM_RSRC3_GFX90A:TG_SPLIT: 0
	.section	.text._ZN5aiter24topk_softplus_kernel_optI12hip_bfloat166__halfLi128ELb1ELi0EEEvPKT_PKT0_PfPimiif,"axG",@progbits,_ZN5aiter24topk_softplus_kernel_optI12hip_bfloat166__halfLi128ELb1ELi0EEEvPKT_PKT0_PfPimiif,comdat
	.protected	_ZN5aiter24topk_softplus_kernel_optI12hip_bfloat166__halfLi128ELb1ELi0EEEvPKT_PKT0_PfPimiif ; -- Begin function _ZN5aiter24topk_softplus_kernel_optI12hip_bfloat166__halfLi128ELb1ELi0EEEvPKT_PKT0_PfPimiif
	.globl	_ZN5aiter24topk_softplus_kernel_optI12hip_bfloat166__halfLi128ELb1ELi0EEEvPKT_PKT0_PfPimiif
	.p2align	8
	.type	_ZN5aiter24topk_softplus_kernel_optI12hip_bfloat166__halfLi128ELb1ELi0EEEvPKT_PKT0_PfPimiif,@function
_ZN5aiter24topk_softplus_kernel_optI12hip_bfloat166__halfLi128ELb1ELi0EEEvPKT_PKT0_PfPimiif: ; @_ZN5aiter24topk_softplus_kernel_optI12hip_bfloat166__halfLi128ELb1ELi0EEEvPKT_PKT0_PfPimiif
; %bb.0:
	s_load_dwordx4 s[8:11], s[4:5], 0x0
	s_lshl_b32 s0, s6, 7
	s_ashr_i32 s1, s0, 31
	s_lshl_b64 s[0:1], s[0:1], 1
	v_lshlrev_b32_e32 v1, 1, v0
	s_waitcnt lgkmcnt(0)
	s_add_u32 s0, s8, s0
	s_addc_u32 s1, s9, s1
	global_load_ushort v2, v1, s[0:1]
	s_mov_b32 s12, 0xc2fc0000
	v_mov_b32_e32 v7, 0x42800000
	v_mov_b32_e32 v8, 0x1f800000
	s_mov_b32 s13, 0x800000
	v_mov_b32_e32 v9, 0x4f800000
	v_mov_b32_e32 v10, 0x42000000
	s_mov_b32 s7, 0x41a00000
	s_mov_b32 s14, 0xf800000
	v_mov_b32_e32 v4, 0x260
	s_cmp_lg_u64 s[10:11], 0
	s_cselect_b64 s[8:9], -1, 0
	s_waitcnt vmcnt(0)
	v_lshlrev_b32_e32 v2, 16, v2
	v_mul_f32_e32 v3, 0x3fb8aa3b, v2
	v_cmp_gt_f32_e32 vcc, s12, v3
	v_cndmask_b32_e32 v3, 0, v7, vcc
	v_fmac_f32_e32 v3, 0x3fb8aa3b, v2
	v_exp_f32_e32 v3, v3
	v_cndmask_b32_e32 v5, 1.0, v8, vcc
	v_fma_f32 v3, v3, v5, 1.0
	v_cmp_gt_f32_e32 vcc, s13, v3
	v_cndmask_b32_e32 v5, 1.0, v9, vcc
	v_mul_f32_e32 v3, v3, v5
	v_log_f32_e32 v3, v3
	v_cndmask_b32_e32 v6, 0, v10, vcc
	v_cmp_lt_f32_e32 vcc, s7, v2
	v_mov_b32_e32 v5, s1
	v_sub_f32_e32 v3, v3, v6
	v_mul_f32_e32 v3, 0x3f317218, v3
	v_cndmask_b32_e32 v2, v3, v2, vcc
	v_mul_f32_e32 v3, 0x4f800000, v2
	v_cmp_gt_f32_e32 vcc, s14, v2
	v_cndmask_b32_e32 v6, v2, v3, vcc
	v_sqrt_f32_e32 v11, v6
	v_add_co_u32_e64 v2, s[0:1], s0, v1
	v_addc_co_u32_e64 v3, s[0:1], 0, v5, s[0:1]
	v_add_u32_e32 v5, -1, v11
	v_add_u32_e32 v12, 1, v11
	v_fma_f32 v13, -v5, v11, v6
	v_fma_f32 v14, -v12, v11, v6
	v_cmp_ge_f32_e64 s[2:3], 0, v13
	v_cndmask_b32_e64 v5, v11, v5, s[2:3]
	v_cmp_lt_f32_e64 s[2:3], 0, v14
	v_cndmask_b32_e64 v5, v5, v12, s[2:3]
	v_mul_f32_e32 v11, 0x37800000, v5
	v_cndmask_b32_e32 v5, v5, v11, vcc
	v_cmp_class_f32_e32 vcc, v6, v4
	s_and_b64 s[0:1], exec, s[8:9]
	v_cndmask_b32_e32 v6, v5, v6, vcc
	v_mov_b32_e32 v5, v6
	s_mov_b64 vcc, s[0:1]
	s_cbranch_vccz .LBB261_2
; %bb.1:
	global_load_ushort v5, v1, s[10:11]
	s_waitcnt vmcnt(0)
	v_cvt_f32_f16_e32 v5, v5
	v_add_f32_e32 v5, v6, v5
.LBB261_2:
	global_load_ushort v2, v[2:3], off offset:128
	s_waitcnt vmcnt(0)
	v_lshlrev_b32_e32 v2, 16, v2
	v_mul_f32_e32 v3, 0x3fb8aa3b, v2
	v_cmp_gt_f32_e32 vcc, s12, v3
	v_cndmask_b32_e32 v3, 0, v7, vcc
	v_fmac_f32_e32 v3, 0x3fb8aa3b, v2
	v_exp_f32_e32 v3, v3
	v_cndmask_b32_e32 v7, 1.0, v8, vcc
	v_fma_f32 v3, v3, v7, 1.0
	v_cmp_gt_f32_e32 vcc, s13, v3
	v_cndmask_b32_e32 v7, 1.0, v9, vcc
	v_mul_f32_e32 v3, v3, v7
	v_log_f32_e32 v3, v3
	v_cndmask_b32_e32 v7, 0, v10, vcc
	v_cmp_lt_f32_e32 vcc, s7, v2
	v_sub_f32_e32 v3, v3, v7
	v_mul_f32_e32 v3, 0x3f317218, v3
	v_cndmask_b32_e32 v2, v3, v2, vcc
	v_mul_f32_e32 v3, 0x4f800000, v2
	v_cmp_gt_f32_e32 vcc, s14, v2
	v_cndmask_b32_e32 v2, v2, v3, vcc
	v_sqrt_f32_e32 v3, v2
	v_add_u32_e32 v7, -1, v3
	v_add_u32_e32 v8, 1, v3
	v_fma_f32 v9, -v7, v3, v2
	v_fma_f32 v10, -v8, v3, v2
	v_cmp_ge_f32_e64 s[0:1], 0, v9
	v_cndmask_b32_e64 v3, v3, v7, s[0:1]
	v_cmp_lt_f32_e64 s[0:1], 0, v10
	v_cndmask_b32_e64 v3, v3, v8, s[0:1]
	v_mul_f32_e32 v7, 0x37800000, v3
	v_cndmask_b32_e32 v3, v3, v7, vcc
	v_cmp_class_f32_e32 vcc, v2, v4
	v_cndmask_b32_e32 v10, v3, v2, vcc
	s_andn2_b64 vcc, exec, s[8:9]
	v_mov_b32_e32 v4, v10
	s_cbranch_vccnz .LBB261_4
; %bb.3:
	global_load_ushort v1, v1, s[10:11] offset:128
	s_waitcnt vmcnt(0)
	v_cvt_f32_f16_e32 v1, v1
	v_add_f32_e32 v4, v10, v1
.LBB261_4:
	s_load_dword s2, s[4:5], 0x28
	s_load_dwordx4 s[8:11], s[4:5], 0x10
	v_mov_b32_e32 v9, 0
	v_mov_b32_e32 v7, 0
	;; [unrolled: 1-line block ×3, first 2 shown]
	s_waitcnt lgkmcnt(0)
	s_cmp_gt_i32 s2, 0
	s_cbranch_scc0 .LBB261_7
; %bb.5:
	v_mbcnt_lo_u32_b32 v7, -1, 0
	v_add_u32_e32 v2, 64, v0
	v_cmp_lt_f32_e32 vcc, v5, v4
	v_mbcnt_hi_u32_b32 v7, -1, v7
	v_bfrev_b32_e32 v8, 0.5
	v_cndmask_b32_e32 v1, v2, v0, vcc
	v_cndmask_b32_e32 v2, v0, v2, vcc
	;; [unrolled: 1-line block ×6, first 2 shown]
	v_mov_b32_e32 v9, 0
	v_mov_b32_e32 v10, 0
	;; [unrolled: 1-line block ×3, first 2 shown]
	v_lshl_or_b32 v12, v7, 2, v8
	v_mov_b32_e32 v13, v0
	s_mov_b32 s3, s2
	v_mov_b32_e32 v7, 0
	v_mov_b32_e32 v8, 0
.LBB261_6:                              ; =>This Inner Loop Header: Depth=1
	v_cmp_eq_u32_e32 vcc, 1, v10
	v_cndmask_b32_e32 v14, v4, v3, vcc
	v_cmp_gt_u32_e64 s[0:1], 2, v10
	v_cndmask_b32_e64 v14, v11, v14, s[0:1]
	;;#ASMSTART
	v_max_f32 v18, v14, v14 quad_perm:[1,0,3,2] row_mask:0xf bank_mask:0xf bound_ctrl:1
	;;#ASMEND
	;;#ASMSTART
	v_max_f32 v19, v18, v18 quad_perm:[2,3,0,1] row_mask:0xf bank_mask:0xf bound_ctrl:1
	;;#ASMEND
	;;#ASMSTART
	v_max_f32 v18, v19, v19 row_half_mirror row_mask:0xf bank_mask:0xf bound_ctrl:1
	;;#ASMEND
	;;#ASMSTART
	v_max_f32 v19, v18, v18 row_mirror row_mask:0xf bank_mask:0xf bound_ctrl:1
	;;#ASMEND
	;;#ASMSTART
	v_max_f32 v18, v19, v19 row_ror:4 row_mask:0xf bank_mask:0xf bound_ctrl:1
	;;#ASMEND
	;;#ASMSTART
	v_max_f32 v19, v18, v18 row_ror:8 row_mask:0xf bank_mask:0xf bound_ctrl:1
	;;#ASMEND
	;;#ASMSTART
	v_max_f32 v18, v19, v19 row_bcast:15 row_mask:0xf bank_mask:0xf bound_ctrl:1
	;;#ASMEND
	;;#ASMSTART
	v_max_f32 v19, v18, v18 row_bcast:31 row_mask:0xf bank_mask:0xf bound_ctrl:1
	;;#ASMEND
	ds_bpermute_b32 v18, v12, v19
	v_cndmask_b32_e32 v15, v2, v1, vcc
	v_cndmask_b32_e32 v16, v6, v5, vcc
	v_cndmask_b32_e64 v17, 0, v15, s[0:1]
	s_waitcnt lgkmcnt(0)
	v_cmp_eq_f32_e32 vcc, v14, v18
	s_ff1_i32_b64 s7, vcc
	s_cmp_lg_u64 vcc, 0
	s_cselect_b32 s7, s7, 0
	v_readlane_b32 s7, v17, s7
	v_cmp_eq_u32_e32 vcc, s7, v15
	s_and_b64 vcc, s[0:1], vcc
	s_and_b32 s12, s7, 63
	v_cndmask_b32_e32 v15, 0, v16, vcc
	v_addc_co_u32_e32 v10, vcc, 0, v10, vcc
	v_readlane_b32 s0, v15, s12
	s_add_i32 s3, s3, -1
	v_mov_b32_e32 v14, s7
	v_mov_b32_e32 v15, s0
	v_cmp_eq_u32_e32 vcc, 0, v13
	s_cmp_eq_u32 s3, 0
	v_add_f32_e32 v9, s0, v9
	v_add_u32_e32 v13, -1, v13
	v_cndmask_b32_e32 v8, v8, v15, vcc
	v_cndmask_b32_e32 v7, v7, v14, vcc
	s_cbranch_scc0 .LBB261_6
.LBB261_7:
	v_cmp_gt_i32_e32 vcc, s2, v0
	s_and_saveexec_b64 s[0:1], vcc
	s_cbranch_execz .LBB261_9
; %bb.8:
	s_load_dword s2, s[4:5], 0x30
	v_max_f32_e32 v1, v9, v9
	v_max_f32_e32 v1, 0x1e3ce508, v1
	v_lshlrev_b32_e32 v0, 2, v0
	s_waitcnt lgkmcnt(0)
	v_div_scale_f32 v2, s[0:1], v1, v1, s2
	v_rcp_f32_e32 v3, v2
	v_div_scale_f32 v4, vcc, s2, v1, s2
	s_load_dwordx2 s[0:1], s[4:5], 0x20
	v_fma_f32 v5, -v2, v3, 1.0
	v_fmac_f32_e32 v3, v5, v3
	v_mul_f32_e32 v5, v4, v3
	v_fma_f32 v6, -v2, v5, v4
	v_fmac_f32_e32 v5, v6, v3
	v_fma_f32 v2, -v2, v5, v4
	v_div_fmas_f32 v2, v2, v3, v5
	v_div_fixup_f32 v1, v2, v1, s2
	s_ashr_i32 s2, s6, 31
	s_waitcnt lgkmcnt(0)
	s_mul_i32 s1, s6, s1
	s_mul_hi_u32 s3, s6, s0
	s_add_i32 s1, s3, s1
	s_mul_i32 s2, s2, s0
	s_add_i32 s1, s1, s2
	s_mul_i32 s0, s6, s0
	s_lshl_b64 s[0:1], s[0:1], 2
	s_add_u32 s2, s8, s0
	s_addc_u32 s3, s9, s1
	s_add_u32 s0, s10, s0
	v_mul_f32_e32 v1, v8, v1
	s_addc_u32 s1, s11, s1
	global_store_dword v0, v1, s[2:3]
	global_store_dword v0, v7, s[0:1]
.LBB261_9:
	s_endpgm
	.section	.rodata,"a",@progbits
	.p2align	6, 0x0
	.amdhsa_kernel _ZN5aiter24topk_softplus_kernel_optI12hip_bfloat166__halfLi128ELb1ELi0EEEvPKT_PKT0_PfPimiif
		.amdhsa_group_segment_fixed_size 0
		.amdhsa_private_segment_fixed_size 0
		.amdhsa_kernarg_size 52
		.amdhsa_user_sgpr_count 6
		.amdhsa_user_sgpr_private_segment_buffer 1
		.amdhsa_user_sgpr_dispatch_ptr 0
		.amdhsa_user_sgpr_queue_ptr 0
		.amdhsa_user_sgpr_kernarg_segment_ptr 1
		.amdhsa_user_sgpr_dispatch_id 0
		.amdhsa_user_sgpr_flat_scratch_init 0
		.amdhsa_user_sgpr_kernarg_preload_length 0
		.amdhsa_user_sgpr_kernarg_preload_offset 0
		.amdhsa_user_sgpr_private_segment_size 0
		.amdhsa_uses_dynamic_stack 0
		.amdhsa_system_sgpr_private_segment_wavefront_offset 0
		.amdhsa_system_sgpr_workgroup_id_x 1
		.amdhsa_system_sgpr_workgroup_id_y 0
		.amdhsa_system_sgpr_workgroup_id_z 0
		.amdhsa_system_sgpr_workgroup_info 0
		.amdhsa_system_vgpr_workitem_id 0
		.amdhsa_next_free_vgpr 20
		.amdhsa_next_free_sgpr 15
		.amdhsa_accum_offset 20
		.amdhsa_reserve_vcc 1
		.amdhsa_reserve_flat_scratch 0
		.amdhsa_float_round_mode_32 0
		.amdhsa_float_round_mode_16_64 0
		.amdhsa_float_denorm_mode_32 3
		.amdhsa_float_denorm_mode_16_64 3
		.amdhsa_dx10_clamp 1
		.amdhsa_ieee_mode 1
		.amdhsa_fp16_overflow 0
		.amdhsa_tg_split 0
		.amdhsa_exception_fp_ieee_invalid_op 0
		.amdhsa_exception_fp_denorm_src 0
		.amdhsa_exception_fp_ieee_div_zero 0
		.amdhsa_exception_fp_ieee_overflow 0
		.amdhsa_exception_fp_ieee_underflow 0
		.amdhsa_exception_fp_ieee_inexact 0
		.amdhsa_exception_int_div_zero 0
	.end_amdhsa_kernel
	.section	.text._ZN5aiter24topk_softplus_kernel_optI12hip_bfloat166__halfLi128ELb1ELi0EEEvPKT_PKT0_PfPimiif,"axG",@progbits,_ZN5aiter24topk_softplus_kernel_optI12hip_bfloat166__halfLi128ELb1ELi0EEEvPKT_PKT0_PfPimiif,comdat
.Lfunc_end261:
	.size	_ZN5aiter24topk_softplus_kernel_optI12hip_bfloat166__halfLi128ELb1ELi0EEEvPKT_PKT0_PfPimiif, .Lfunc_end261-_ZN5aiter24topk_softplus_kernel_optI12hip_bfloat166__halfLi128ELb1ELi0EEEvPKT_PKT0_PfPimiif
                                        ; -- End function
	.section	.AMDGPU.csdata,"",@progbits
; Kernel info:
; codeLenInByte = 1124
; NumSgprs: 19
; NumVgprs: 20
; NumAgprs: 0
; TotalNumVgprs: 20
; ScratchSize: 0
; MemoryBound: 0
; FloatMode: 240
; IeeeMode: 1
; LDSByteSize: 0 bytes/workgroup (compile time only)
; SGPRBlocks: 2
; VGPRBlocks: 2
; NumSGPRsForWavesPerEU: 19
; NumVGPRsForWavesPerEU: 20
; AccumOffset: 20
; Occupancy: 8
; WaveLimiterHint : 0
; COMPUTE_PGM_RSRC2:SCRATCH_EN: 0
; COMPUTE_PGM_RSRC2:USER_SGPR: 6
; COMPUTE_PGM_RSRC2:TRAP_HANDLER: 0
; COMPUTE_PGM_RSRC2:TGID_X_EN: 1
; COMPUTE_PGM_RSRC2:TGID_Y_EN: 0
; COMPUTE_PGM_RSRC2:TGID_Z_EN: 0
; COMPUTE_PGM_RSRC2:TIDIG_COMP_CNT: 0
; COMPUTE_PGM_RSRC3_GFX90A:ACCUM_OFFSET: 4
; COMPUTE_PGM_RSRC3_GFX90A:TG_SPLIT: 0
	.section	.text._ZN5aiter24topk_softplus_kernel_optI12hip_bfloat166__halfLi128ELb0ELi0EEEvPKT_PKT0_PfPimiif,"axG",@progbits,_ZN5aiter24topk_softplus_kernel_optI12hip_bfloat166__halfLi128ELb0ELi0EEEvPKT_PKT0_PfPimiif,comdat
	.protected	_ZN5aiter24topk_softplus_kernel_optI12hip_bfloat166__halfLi128ELb0ELi0EEEvPKT_PKT0_PfPimiif ; -- Begin function _ZN5aiter24topk_softplus_kernel_optI12hip_bfloat166__halfLi128ELb0ELi0EEEvPKT_PKT0_PfPimiif
	.globl	_ZN5aiter24topk_softplus_kernel_optI12hip_bfloat166__halfLi128ELb0ELi0EEEvPKT_PKT0_PfPimiif
	.p2align	8
	.type	_ZN5aiter24topk_softplus_kernel_optI12hip_bfloat166__halfLi128ELb0ELi0EEEvPKT_PKT0_PfPimiif,@function
_ZN5aiter24topk_softplus_kernel_optI12hip_bfloat166__halfLi128ELb0ELi0EEEvPKT_PKT0_PfPimiif: ; @_ZN5aiter24topk_softplus_kernel_optI12hip_bfloat166__halfLi128ELb0ELi0EEEvPKT_PKT0_PfPimiif
; %bb.0:
	s_load_dwordx4 s[8:11], s[4:5], 0x0
	s_lshl_b32 s0, s6, 7
	s_ashr_i32 s1, s0, 31
	s_lshl_b64 s[0:1], s[0:1], 1
	v_lshlrev_b32_e32 v1, 1, v0
	s_waitcnt lgkmcnt(0)
	s_add_u32 s0, s8, s0
	s_addc_u32 s1, s9, s1
	global_load_ushort v2, v1, s[0:1]
	s_mov_b32 s12, 0xc2fc0000
	v_mov_b32_e32 v5, 0x42800000
	v_mov_b32_e32 v7, 0x1f800000
	s_mov_b32 s13, 0x800000
	v_mov_b32_e32 v8, 0x4f800000
	v_mov_b32_e32 v9, 0x42000000
	s_mov_b32 s7, 0x41a00000
	s_mov_b32 s14, 0xf800000
	v_mov_b32_e32 v4, 0x260
	s_cmp_lg_u64 s[10:11], 0
	s_cselect_b64 s[8:9], -1, 0
	s_waitcnt vmcnt(0)
	v_lshlrev_b32_e32 v2, 16, v2
	v_mul_f32_e32 v3, 0x3fb8aa3b, v2
	v_cmp_gt_f32_e32 vcc, s12, v3
	v_cndmask_b32_e32 v3, 0, v5, vcc
	v_fmac_f32_e32 v3, 0x3fb8aa3b, v2
	v_exp_f32_e32 v3, v3
	v_cndmask_b32_e32 v6, 1.0, v7, vcc
	v_fma_f32 v3, v3, v6, 1.0
	v_cmp_gt_f32_e32 vcc, s13, v3
	v_cndmask_b32_e32 v6, 1.0, v8, vcc
	v_mul_f32_e32 v3, v3, v6
	v_log_f32_e32 v3, v3
	v_cndmask_b32_e32 v10, 0, v9, vcc
	v_cmp_lt_f32_e32 vcc, s7, v2
	v_mov_b32_e32 v6, s1
	v_sub_f32_e32 v3, v3, v10
	v_mul_f32_e32 v3, 0x3f317218, v3
	v_cndmask_b32_e32 v2, v3, v2, vcc
	v_mul_f32_e32 v3, 0x4f800000, v2
	v_cmp_gt_f32_e32 vcc, s14, v2
	v_cndmask_b32_e32 v10, v2, v3, vcc
	v_sqrt_f32_e32 v11, v10
	v_add_co_u32_e64 v2, s[0:1], s0, v1
	v_addc_co_u32_e64 v3, s[0:1], 0, v6, s[0:1]
	v_add_u32_e32 v6, -1, v11
	v_add_u32_e32 v12, 1, v11
	v_fma_f32 v13, -v6, v11, v10
	v_fma_f32 v14, -v12, v11, v10
	v_cmp_ge_f32_e64 s[2:3], 0, v13
	v_cndmask_b32_e64 v6, v11, v6, s[2:3]
	v_cmp_lt_f32_e64 s[2:3], 0, v14
	v_cndmask_b32_e64 v6, v6, v12, s[2:3]
	v_mul_f32_e32 v11, 0x37800000, v6
	v_cndmask_b32_e32 v6, v6, v11, vcc
	v_cmp_class_f32_e32 vcc, v10, v4
	s_and_b64 s[0:1], exec, s[8:9]
	v_cndmask_b32_e32 v6, v6, v10, vcc
	v_mov_b32_e32 v10, v6
	s_mov_b64 vcc, s[0:1]
	s_cbranch_vccz .LBB262_2
; %bb.1:
	global_load_ushort v10, v1, s[10:11]
	s_waitcnt vmcnt(0)
	v_cvt_f32_f16_e32 v10, v10
	v_add_f32_e32 v10, v6, v10
.LBB262_2:
	global_load_ushort v2, v[2:3], off offset:128
	s_waitcnt vmcnt(0)
	v_lshlrev_b32_e32 v2, 16, v2
	v_mul_f32_e32 v3, 0x3fb8aa3b, v2
	v_cmp_gt_f32_e32 vcc, s12, v3
	v_cndmask_b32_e32 v3, 0, v5, vcc
	v_fmac_f32_e32 v3, 0x3fb8aa3b, v2
	v_exp_f32_e32 v3, v3
	v_cndmask_b32_e32 v5, 1.0, v7, vcc
	v_fma_f32 v3, v3, v5, 1.0
	v_cmp_gt_f32_e32 vcc, s13, v3
	v_cndmask_b32_e32 v5, 1.0, v8, vcc
	v_mul_f32_e32 v3, v3, v5
	v_log_f32_e32 v3, v3
	v_cndmask_b32_e32 v5, 0, v9, vcc
	v_cmp_lt_f32_e32 vcc, s7, v2
	v_sub_f32_e32 v3, v3, v5
	v_mul_f32_e32 v3, 0x3f317218, v3
	v_cndmask_b32_e32 v2, v3, v2, vcc
	v_mul_f32_e32 v3, 0x4f800000, v2
	v_cmp_gt_f32_e32 vcc, s14, v2
	v_cndmask_b32_e32 v2, v2, v3, vcc
	v_sqrt_f32_e32 v3, v2
	v_add_u32_e32 v5, -1, v3
	v_add_u32_e32 v7, 1, v3
	v_fma_f32 v8, -v5, v3, v2
	v_fma_f32 v9, -v7, v3, v2
	v_cmp_ge_f32_e64 s[0:1], 0, v8
	v_cndmask_b32_e64 v3, v3, v5, s[0:1]
	v_cmp_lt_f32_e64 s[0:1], 0, v9
	v_cndmask_b32_e64 v3, v3, v7, s[0:1]
	v_mul_f32_e32 v5, 0x37800000, v3
	v_cndmask_b32_e32 v3, v3, v5, vcc
	v_cmp_class_f32_e32 vcc, v2, v4
	v_cndmask_b32_e32 v8, v3, v2, vcc
	s_andn2_b64 vcc, exec, s[8:9]
	v_mov_b32_e32 v4, v8
	s_cbranch_vccnz .LBB262_4
; %bb.3:
	global_load_ushort v1, v1, s[10:11] offset:128
	s_waitcnt vmcnt(0)
	v_cvt_f32_f16_e32 v1, v1
	v_add_f32_e32 v4, v8, v1
.LBB262_4:
	s_load_dword s2, s[4:5], 0x28
	s_load_dwordx4 s[8:11], s[4:5], 0x10
	v_mov_b32_e32 v7, 0
	s_waitcnt lgkmcnt(0)
	s_cmp_gt_i32 s2, 0
	s_cbranch_scc0 .LBB262_10
; %bb.5:
	v_mbcnt_lo_u32_b32 v7, -1, 0
	v_add_u32_e32 v2, 64, v0
	v_cmp_lt_f32_e32 vcc, v10, v4
	v_mbcnt_hi_u32_b32 v7, -1, v7
	v_bfrev_b32_e32 v11, 0.5
	v_cndmask_b32_e32 v1, v2, v0, vcc
	v_cndmask_b32_e32 v2, v0, v2, vcc
	;; [unrolled: 1-line block ×6, first 2 shown]
	v_mov_b32_e32 v9, 0
	v_mov_b32_e32 v8, 0
	;; [unrolled: 1-line block ×3, first 2 shown]
	v_lshl_or_b32 v11, v7, 2, v11
	v_mov_b32_e32 v12, v0
	s_mov_b32 s3, s2
	v_mov_b32_e32 v7, 0
.LBB262_6:                              ; =>This Inner Loop Header: Depth=1
	v_cmp_eq_u32_e32 vcc, 1, v9
	v_cndmask_b32_e32 v13, v4, v3, vcc
	v_cmp_gt_u32_e64 s[0:1], 2, v9
	v_cndmask_b32_e64 v13, v10, v13, s[0:1]
	;;#ASMSTART
	v_max_f32 v17, v13, v13 quad_perm:[1,0,3,2] row_mask:0xf bank_mask:0xf bound_ctrl:1
	;;#ASMEND
	;;#ASMSTART
	v_max_f32 v18, v17, v17 quad_perm:[2,3,0,1] row_mask:0xf bank_mask:0xf bound_ctrl:1
	;;#ASMEND
	;;#ASMSTART
	v_max_f32 v17, v18, v18 row_half_mirror row_mask:0xf bank_mask:0xf bound_ctrl:1
	;;#ASMEND
	;;#ASMSTART
	v_max_f32 v18, v17, v17 row_mirror row_mask:0xf bank_mask:0xf bound_ctrl:1
	;;#ASMEND
	;;#ASMSTART
	v_max_f32 v17, v18, v18 row_ror:4 row_mask:0xf bank_mask:0xf bound_ctrl:1
	;;#ASMEND
	;;#ASMSTART
	v_max_f32 v18, v17, v17 row_ror:8 row_mask:0xf bank_mask:0xf bound_ctrl:1
	;;#ASMEND
	;;#ASMSTART
	v_max_f32 v17, v18, v18 row_bcast:15 row_mask:0xf bank_mask:0xf bound_ctrl:1
	;;#ASMEND
	;;#ASMSTART
	v_max_f32 v18, v17, v17 row_bcast:31 row_mask:0xf bank_mask:0xf bound_ctrl:1
	;;#ASMEND
	ds_bpermute_b32 v17, v11, v18
	v_cndmask_b32_e32 v14, v2, v1, vcc
	v_cndmask_b32_e32 v15, v6, v5, vcc
	v_cndmask_b32_e64 v16, 0, v14, s[0:1]
	s_waitcnt lgkmcnt(0)
	v_cmp_eq_f32_e32 vcc, v13, v17
	s_ff1_i32_b64 s7, vcc
	s_cmp_lg_u64 vcc, 0
	s_cselect_b32 s7, s7, 0
	v_readlane_b32 s7, v16, s7
	v_cmp_eq_u32_e32 vcc, s7, v14
	s_and_b64 vcc, s[0:1], vcc
	s_and_b32 s12, s7, 63
	v_cndmask_b32_e32 v14, 0, v15, vcc
	v_addc_co_u32_e32 v9, vcc, 0, v9, vcc
	v_readlane_b32 s0, v14, s12
	s_add_i32 s3, s3, -1
	v_mov_b32_e32 v13, s7
	v_mov_b32_e32 v14, s0
	v_cmp_eq_u32_e32 vcc, 0, v12
	s_cmp_eq_u32 s3, 0
	v_add_u32_e32 v12, -1, v12
	v_cndmask_b32_e32 v8, v8, v14, vcc
	v_cndmask_b32_e32 v7, v7, v13, vcc
	s_cbranch_scc0 .LBB262_6
; %bb.7:
	v_cmp_gt_i32_e32 vcc, s2, v0
	s_and_saveexec_b64 s[0:1], vcc
	s_cbranch_execz .LBB262_9
.LBB262_8:
	s_load_dword s2, s[4:5], 0x30
	s_load_dwordx2 s[0:1], s[4:5], 0x20
	s_ashr_i32 s3, s6, 31
	v_lshlrev_b32_e32 v0, 2, v0
	s_waitcnt lgkmcnt(0)
	v_mul_f32_e32 v1, s2, v8
	s_mul_i32 s1, s6, s1
	s_mul_hi_u32 s2, s6, s0
	s_add_i32 s1, s2, s1
	s_mul_i32 s3, s3, s0
	s_add_i32 s1, s1, s3
	s_mul_i32 s0, s6, s0
	s_lshl_b64 s[0:1], s[0:1], 2
	s_add_u32 s2, s8, s0
	s_addc_u32 s3, s9, s1
	s_add_u32 s0, s10, s0
	s_addc_u32 s1, s11, s1
	global_store_dword v0, v1, s[2:3]
	global_store_dword v0, v7, s[0:1]
.LBB262_9:
	s_endpgm
.LBB262_10:
	v_mov_b32_e32 v8, 0
	v_cmp_gt_i32_e32 vcc, s2, v0
	s_and_saveexec_b64 s[0:1], vcc
	s_cbranch_execnz .LBB262_8
	s_branch .LBB262_9
	.section	.rodata,"a",@progbits
	.p2align	6, 0x0
	.amdhsa_kernel _ZN5aiter24topk_softplus_kernel_optI12hip_bfloat166__halfLi128ELb0ELi0EEEvPKT_PKT0_PfPimiif
		.amdhsa_group_segment_fixed_size 0
		.amdhsa_private_segment_fixed_size 0
		.amdhsa_kernarg_size 52
		.amdhsa_user_sgpr_count 6
		.amdhsa_user_sgpr_private_segment_buffer 1
		.amdhsa_user_sgpr_dispatch_ptr 0
		.amdhsa_user_sgpr_queue_ptr 0
		.amdhsa_user_sgpr_kernarg_segment_ptr 1
		.amdhsa_user_sgpr_dispatch_id 0
		.amdhsa_user_sgpr_flat_scratch_init 0
		.amdhsa_user_sgpr_kernarg_preload_length 0
		.amdhsa_user_sgpr_kernarg_preload_offset 0
		.amdhsa_user_sgpr_private_segment_size 0
		.amdhsa_uses_dynamic_stack 0
		.amdhsa_system_sgpr_private_segment_wavefront_offset 0
		.amdhsa_system_sgpr_workgroup_id_x 1
		.amdhsa_system_sgpr_workgroup_id_y 0
		.amdhsa_system_sgpr_workgroup_id_z 0
		.amdhsa_system_sgpr_workgroup_info 0
		.amdhsa_system_vgpr_workitem_id 0
		.amdhsa_next_free_vgpr 19
		.amdhsa_next_free_sgpr 15
		.amdhsa_accum_offset 20
		.amdhsa_reserve_vcc 1
		.amdhsa_reserve_flat_scratch 0
		.amdhsa_float_round_mode_32 0
		.amdhsa_float_round_mode_16_64 0
		.amdhsa_float_denorm_mode_32 3
		.amdhsa_float_denorm_mode_16_64 3
		.amdhsa_dx10_clamp 1
		.amdhsa_ieee_mode 1
		.amdhsa_fp16_overflow 0
		.amdhsa_tg_split 0
		.amdhsa_exception_fp_ieee_invalid_op 0
		.amdhsa_exception_fp_denorm_src 0
		.amdhsa_exception_fp_ieee_div_zero 0
		.amdhsa_exception_fp_ieee_overflow 0
		.amdhsa_exception_fp_ieee_underflow 0
		.amdhsa_exception_fp_ieee_inexact 0
		.amdhsa_exception_int_div_zero 0
	.end_amdhsa_kernel
	.section	.text._ZN5aiter24topk_softplus_kernel_optI12hip_bfloat166__halfLi128ELb0ELi0EEEvPKT_PKT0_PfPimiif,"axG",@progbits,_ZN5aiter24topk_softplus_kernel_optI12hip_bfloat166__halfLi128ELb0ELi0EEEvPKT_PKT0_PfPimiif,comdat
.Lfunc_end262:
	.size	_ZN5aiter24topk_softplus_kernel_optI12hip_bfloat166__halfLi128ELb0ELi0EEEvPKT_PKT0_PfPimiif, .Lfunc_end262-_ZN5aiter24topk_softplus_kernel_optI12hip_bfloat166__halfLi128ELb0ELi0EEEvPKT_PKT0_PfPimiif
                                        ; -- End function
	.section	.AMDGPU.csdata,"",@progbits
; Kernel info:
; codeLenInByte = 1040
; NumSgprs: 19
; NumVgprs: 19
; NumAgprs: 0
; TotalNumVgprs: 19
; ScratchSize: 0
; MemoryBound: 0
; FloatMode: 240
; IeeeMode: 1
; LDSByteSize: 0 bytes/workgroup (compile time only)
; SGPRBlocks: 2
; VGPRBlocks: 2
; NumSGPRsForWavesPerEU: 19
; NumVGPRsForWavesPerEU: 19
; AccumOffset: 20
; Occupancy: 8
; WaveLimiterHint : 0
; COMPUTE_PGM_RSRC2:SCRATCH_EN: 0
; COMPUTE_PGM_RSRC2:USER_SGPR: 6
; COMPUTE_PGM_RSRC2:TRAP_HANDLER: 0
; COMPUTE_PGM_RSRC2:TGID_X_EN: 1
; COMPUTE_PGM_RSRC2:TGID_Y_EN: 0
; COMPUTE_PGM_RSRC2:TGID_Z_EN: 0
; COMPUTE_PGM_RSRC2:TIDIG_COMP_CNT: 0
; COMPUTE_PGM_RSRC3_GFX90A:ACCUM_OFFSET: 4
; COMPUTE_PGM_RSRC3_GFX90A:TG_SPLIT: 0
	.section	.text._ZN5aiter24topk_softplus_kernel_optI12hip_bfloat166__halfLi256ELb1ELi0EEEvPKT_PKT0_PfPimiif,"axG",@progbits,_ZN5aiter24topk_softplus_kernel_optI12hip_bfloat166__halfLi256ELb1ELi0EEEvPKT_PKT0_PfPimiif,comdat
	.protected	_ZN5aiter24topk_softplus_kernel_optI12hip_bfloat166__halfLi256ELb1ELi0EEEvPKT_PKT0_PfPimiif ; -- Begin function _ZN5aiter24topk_softplus_kernel_optI12hip_bfloat166__halfLi256ELb1ELi0EEEvPKT_PKT0_PfPimiif
	.globl	_ZN5aiter24topk_softplus_kernel_optI12hip_bfloat166__halfLi256ELb1ELi0EEEvPKT_PKT0_PfPimiif
	.p2align	8
	.type	_ZN5aiter24topk_softplus_kernel_optI12hip_bfloat166__halfLi256ELb1ELi0EEEvPKT_PKT0_PfPimiif,@function
_ZN5aiter24topk_softplus_kernel_optI12hip_bfloat166__halfLi256ELb1ELi0EEEvPKT_PKT0_PfPimiif: ; @_ZN5aiter24topk_softplus_kernel_optI12hip_bfloat166__halfLi256ELb1ELi0EEEvPKT_PKT0_PfPimiif
; %bb.0:
	s_load_dwordx4 s[8:11], s[4:5], 0x0
	s_lshl_b32 s0, s6, 8
	s_ashr_i32 s1, s0, 31
	s_lshl_b64 s[0:1], s[0:1], 1
	v_lshlrev_b32_e32 v1, 1, v0
	s_waitcnt lgkmcnt(0)
	s_add_u32 s0, s8, s0
	s_addc_u32 s1, s9, s1
	global_load_ushort v2, v1, s[0:1]
	s_mov_b32 s12, 0xc2fc0000
	v_mov_b32_e32 v7, 0x42800000
	v_mov_b32_e32 v8, 0x1f800000
	s_mov_b32 s13, 0x800000
	v_mov_b32_e32 v9, 0x4f800000
	v_mov_b32_e32 v10, 0x42000000
	s_mov_b32 s7, 0x41a00000
	s_mov_b32 s14, 0xf800000
	s_cmp_lg_u64 s[10:11], 0
	s_cselect_b64 s[8:9], -1, 0
	s_waitcnt vmcnt(0)
	v_lshlrev_b32_e32 v2, 16, v2
	v_mul_f32_e32 v3, 0x3fb8aa3b, v2
	v_cmp_gt_f32_e32 vcc, s12, v3
	v_cndmask_b32_e32 v3, 0, v7, vcc
	v_fmac_f32_e32 v3, 0x3fb8aa3b, v2
	v_exp_f32_e32 v4, v3
	v_cndmask_b32_e32 v5, 1.0, v8, vcc
	v_mov_b32_e32 v3, 0x260
	v_fma_f32 v4, v4, v5, 1.0
	v_cmp_gt_f32_e32 vcc, s13, v4
	v_cndmask_b32_e32 v5, 1.0, v9, vcc
	v_mul_f32_e32 v4, v4, v5
	v_log_f32_e32 v4, v4
	v_cndmask_b32_e32 v6, 0, v10, vcc
	v_cmp_lt_f32_e32 vcc, s7, v2
	v_mov_b32_e32 v5, s1
	v_sub_f32_e32 v4, v4, v6
	v_mul_f32_e32 v4, 0x3f317218, v4
	v_cndmask_b32_e32 v2, v4, v2, vcc
	v_mul_f32_e32 v4, 0x4f800000, v2
	v_cmp_gt_f32_e32 vcc, s14, v2
	v_cndmask_b32_e32 v2, v2, v4, vcc
	v_sqrt_f32_e32 v6, v2
	v_add_co_u32_e64 v4, s[0:1], s0, v1
	v_addc_co_u32_e64 v5, s[0:1], 0, v5, s[0:1]
	v_add_u32_e32 v11, -1, v6
	v_add_u32_e32 v12, 1, v6
	v_fma_f32 v13, -v11, v6, v2
	v_fma_f32 v14, -v12, v6, v2
	v_cmp_ge_f32_e64 s[2:3], 0, v13
	v_cndmask_b32_e64 v6, v6, v11, s[2:3]
	v_cmp_lt_f32_e64 s[2:3], 0, v14
	v_cndmask_b32_e64 v6, v6, v12, s[2:3]
	v_mul_f32_e32 v11, 0x37800000, v6
	v_cndmask_b32_e32 v6, v6, v11, vcc
	v_cmp_class_f32_e32 vcc, v2, v3
	s_and_b64 s[0:1], exec, s[8:9]
	v_cndmask_b32_e32 v2, v6, v2, vcc
	v_mov_b32_e32 v6, v2
	s_mov_b64 vcc, s[0:1]
	s_cbranch_vccz .LBB263_2
; %bb.1:
	global_load_ushort v6, v1, s[10:11]
	s_waitcnt vmcnt(0)
	v_cvt_f32_f16_e32 v6, v6
	v_add_f32_e32 v6, v2, v6
.LBB263_2:
	global_load_ushort v11, v[4:5], off offset:128
	s_waitcnt vmcnt(0)
	v_lshlrev_b32_e32 v11, 16, v11
	v_mul_f32_e32 v12, 0x3fb8aa3b, v11
	v_cmp_gt_f32_e32 vcc, s12, v12
	v_cndmask_b32_e32 v7, 0, v7, vcc
	v_fmac_f32_e32 v7, 0x3fb8aa3b, v11
	v_exp_f32_e32 v7, v7
	v_cndmask_b32_e32 v8, 1.0, v8, vcc
	v_fma_f32 v7, v7, v8, 1.0
	v_cmp_gt_f32_e32 vcc, s13, v7
	v_cndmask_b32_e32 v8, 1.0, v9, vcc
	v_mul_f32_e32 v7, v7, v8
	v_log_f32_e32 v7, v7
	v_cndmask_b32_e32 v8, 0, v10, vcc
	v_cmp_lt_f32_e32 vcc, s7, v11
	v_cndmask_b32_e64 v9, 0, 1, s[8:9]
	v_sub_f32_e32 v7, v7, v8
	v_mul_f32_e32 v7, 0x3f317218, v7
	v_cndmask_b32_e32 v7, v7, v11, vcc
	v_mul_f32_e32 v8, 0x4f800000, v7
	v_cmp_gt_f32_e32 vcc, s14, v7
	v_cndmask_b32_e32 v7, v7, v8, vcc
	v_sqrt_f32_e32 v8, v7
	v_cmp_ne_u32_e64 s[0:1], 1, v9
	v_add_u32_e32 v9, -1, v8
	v_add_u32_e32 v10, 1, v8
	v_fma_f32 v11, -v9, v8, v7
	v_fma_f32 v12, -v10, v8, v7
	v_cmp_ge_f32_e64 s[2:3], 0, v11
	v_cndmask_b32_e64 v8, v8, v9, s[2:3]
	v_cmp_lt_f32_e64 s[2:3], 0, v12
	v_cndmask_b32_e64 v8, v8, v10, s[2:3]
	v_mul_f32_e32 v9, 0x37800000, v8
	v_cndmask_b32_e32 v8, v8, v9, vcc
	v_cmp_class_f32_e32 vcc, v7, v3
	v_cndmask_b32_e32 v9, v8, v7, vcc
	s_andn2_b64 vcc, exec, s[8:9]
	v_mov_b32_e32 v8, v9
	s_cbranch_vccnz .LBB263_4
; %bb.3:
	global_load_ushort v3, v1, s[10:11] offset:128
	s_waitcnt vmcnt(0)
	v_cvt_f32_f16_e32 v3, v3
	v_add_f32_e32 v8, v9, v3
.LBB263_4:
	global_load_ushort v10, v[4:5], off offset:256
	s_mov_b32 s8, 0xc2fc0000
	v_mov_b32_e32 v7, 0x42800000
	v_mov_b32_e32 v3, 0x1f800000
	s_mov_b32 s9, 0x800000
	s_mov_b32 s12, 0xf800000
	s_waitcnt vmcnt(0)
	v_lshlrev_b32_e32 v10, 16, v10
	v_mul_f32_e32 v11, 0x3fb8aa3b, v10
	v_cmp_gt_f32_e32 vcc, s8, v11
	v_cndmask_b32_e32 v11, 0, v7, vcc
	v_fmac_f32_e32 v11, 0x3fb8aa3b, v10
	v_exp_f32_e32 v12, v11
	v_cndmask_b32_e32 v13, 1.0, v3, vcc
	v_mov_b32_e32 v11, 0x4f800000
	v_fma_f32 v12, v12, v13, 1.0
	v_cmp_gt_f32_e32 vcc, s9, v12
	v_cndmask_b32_e32 v13, 1.0, v11, vcc
	v_mul_f32_e32 v12, v12, v13
	v_log_f32_e32 v12, v12
	v_mov_b32_e32 v13, 0x42000000
	v_cndmask_b32_e32 v14, 0, v13, vcc
	v_cmp_lt_f32_e32 vcc, s7, v10
	v_sub_f32_e32 v12, v12, v14
	v_mul_f32_e32 v12, 0x3f317218, v12
	v_cndmask_b32_e32 v10, v12, v10, vcc
	v_mul_f32_e32 v12, 0x4f800000, v10
	v_cmp_gt_f32_e32 vcc, s12, v10
	v_cndmask_b32_e32 v10, v10, v12, vcc
	v_sqrt_f32_e32 v12, v10
	v_mov_b32_e32 v14, 0x260
	v_add_u32_e32 v15, -1, v12
	v_add_u32_e32 v16, 1, v12
	v_fma_f32 v17, -v15, v12, v10
	v_fma_f32 v18, -v16, v12, v10
	v_cmp_ge_f32_e64 s[2:3], 0, v17
	v_cndmask_b32_e64 v12, v12, v15, s[2:3]
	v_cmp_lt_f32_e64 s[2:3], 0, v18
	v_cndmask_b32_e64 v12, v12, v16, s[2:3]
	v_mul_f32_e32 v15, 0x37800000, v12
	v_cndmask_b32_e32 v12, v12, v15, vcc
	v_cmp_class_f32_e32 vcc, v10, v14
	v_cndmask_b32_e32 v12, v12, v10, vcc
	s_and_b64 vcc, exec, s[0:1]
	v_mov_b32_e32 v10, v12
	s_cbranch_vccnz .LBB263_6
; %bb.5:
	global_load_ushort v10, v1, s[10:11] offset:256
	s_waitcnt vmcnt(0)
	v_cvt_f32_f16_e32 v10, v10
	v_add_f32_e32 v10, v12, v10
.LBB263_6:
	global_load_ushort v4, v[4:5], off offset:384
	s_waitcnt vmcnt(0)
	v_lshlrev_b32_e32 v4, 16, v4
	v_mul_f32_e32 v5, 0x3fb8aa3b, v4
	v_cmp_gt_f32_e32 vcc, s8, v5
	v_cndmask_b32_e32 v5, 0, v7, vcc
	v_fmac_f32_e32 v5, 0x3fb8aa3b, v4
	v_exp_f32_e32 v5, v5
	v_cndmask_b32_e32 v3, 1.0, v3, vcc
	v_fma_f32 v3, v5, v3, 1.0
	v_cmp_gt_f32_e32 vcc, s9, v3
	v_cndmask_b32_e32 v5, 1.0, v11, vcc
	v_mul_f32_e32 v3, v3, v5
	v_log_f32_e32 v3, v3
	v_cndmask_b32_e32 v5, 0, v13, vcc
	v_cmp_lt_f32_e32 vcc, s7, v4
	v_sub_f32_e32 v3, v3, v5
	v_mul_f32_e32 v3, 0x3f317218, v3
	v_cndmask_b32_e32 v3, v3, v4, vcc
	v_mul_f32_e32 v4, 0x4f800000, v3
	v_cmp_gt_f32_e32 vcc, s12, v3
	v_cndmask_b32_e32 v3, v3, v4, vcc
	v_sqrt_f32_e32 v4, v3
	v_add_u32_e32 v5, -1, v4
	v_add_u32_e32 v7, 1, v4
	v_fma_f32 v11, -v5, v4, v3
	v_fma_f32 v13, -v7, v4, v3
	v_cmp_ge_f32_e64 s[2:3], 0, v11
	v_cndmask_b32_e64 v4, v4, v5, s[2:3]
	v_cmp_lt_f32_e64 s[2:3], 0, v13
	v_cndmask_b32_e64 v4, v4, v7, s[2:3]
	v_mul_f32_e32 v5, 0x37800000, v4
	v_cndmask_b32_e32 v4, v4, v5, vcc
	v_cmp_class_f32_e32 vcc, v3, v14
	v_cndmask_b32_e32 v3, v4, v3, vcc
	s_and_b64 vcc, exec, s[0:1]
	v_mov_b32_e32 v5, v3
	s_cbranch_vccnz .LBB263_8
; %bb.7:
	global_load_ushort v1, v1, s[10:11] offset:384
	s_waitcnt vmcnt(0)
	v_cvt_f32_f16_e32 v1, v1
	v_add_f32_e32 v5, v3, v1
.LBB263_8:
	v_add_u32_e32 v4, 64, v0
	v_cmp_lt_f32_e32 vcc, v6, v8
	v_add_u32_e32 v15, 0x80, v0
	v_add_u32_e32 v7, 0xc0, v0
	v_cndmask_b32_e32 v11, v9, v2, vcc
	v_cndmask_b32_e32 v2, v2, v9, vcc
	;; [unrolled: 1-line block ×6, first 2 shown]
	v_cmp_lt_f32_e32 vcc, v10, v5
	v_mov_b32_e32 v8, v10
	s_and_saveexec_b64 s[0:1], vcc
	s_xor_b64 s[0:1], exec, s[0:1]
; %bb.9:
	v_mov_b32_e32 v8, v12
	v_mov_b32_e32 v14, v10
	;; [unrolled: 1-line block ×4, first 2 shown]
	v_swap_b32 v12, v3
	v_swap_b32 v15, v7
	v_mov_b32_e32 v8, v5
	v_mov_b32_e32 v5, v14
; %bb.10:
	s_or_b64 exec, exec, s[0:1]
	v_cmp_lt_f32_e32 vcc, v6, v10
	v_cndmask_b32_e32 v13, v12, v2, vcc
	v_cndmask_b32_e32 v2, v2, v12, vcc
	;; [unrolled: 1-line block ×6, first 2 shown]
	v_cmp_lt_f32_e32 vcc, v9, v5
	v_mov_b32_e32 v16, v9
	s_and_saveexec_b64 s[0:1], vcc
; %bb.11:
	v_mov_b32_e32 v15, v9
	v_mov_b32_e32 v8, v11
	;; [unrolled: 1-line block ×4, first 2 shown]
	v_swap_b32 v11, v3
	v_swap_b32 v1, v7
	v_mov_b32_e32 v16, v5
	v_mov_b32_e32 v5, v15
; %bb.12:
	s_or_b64 exec, exec, s[0:1]
	s_load_dword s2, s[4:5], 0x28
	s_load_dwordx4 s[8:11], s[4:5], 0x10
	v_mov_b32_e32 v15, 0
	s_waitcnt lgkmcnt(0)
	s_cmp_lt_i32 s2, 1
	s_cbranch_scc1 .LBB263_18
; %bb.13:
	v_cmp_lt_f32_e32 vcc, v9, v12
	v_cndmask_b32_e32 v10, v12, v9, vcc
	v_cndmask_b32_e32 v9, v16, v12, vcc
	;; [unrolled: 1-line block ×4, first 2 shown]
	v_mbcnt_lo_u32_b32 v13, -1, 0
	v_cndmask_b32_e32 v8, v14, v1, vcc
	v_cndmask_b32_e32 v1, v1, v14, vcc
	v_mbcnt_hi_u32_b32 v13, -1, v13
	v_bfrev_b32_e32 v14, 0.5
	v_mov_b32_e32 v15, 0
	v_mov_b32_e32 v16, 0
	v_mov_b32_e32 v17, 0xff800000
	v_lshl_or_b32 v18, v13, 2, v14
	v_mov_b32_e32 v19, v0
	s_mov_b32 s3, s2
	v_mov_b32_e32 v13, 0
	v_mov_b32_e32 v14, 0
.LBB263_14:                             ; =>This Inner Loop Header: Depth=1
	v_cmp_eq_u32_e32 vcc, 1, v16
	v_cndmask_b32_e32 v20, v6, v9, vcc
	v_cmp_eq_u32_e64 s[0:1], 2, v16
	v_cndmask_b32_e64 v20, v20, v10, s[0:1]
	v_cndmask_b32_e32 v21, v4, v1, vcc
	v_cndmask_b32_e32 v22, v2, v11, vcc
	v_cmp_eq_u32_e32 vcc, 3, v16
	v_cndmask_b32_e32 v20, v20, v5, vcc
	v_cndmask_b32_e64 v21, v21, v8, s[0:1]
	v_cndmask_b32_e64 v22, v22, v12, s[0:1]
	v_cmp_gt_u32_e64 s[0:1], 4, v16
	v_cndmask_b32_e64 v20, v17, v20, s[0:1]
	;;#ASMSTART
	v_max_f32 v24, v20, v20 quad_perm:[1,0,3,2] row_mask:0xf bank_mask:0xf bound_ctrl:1
	;;#ASMEND
	;;#ASMSTART
	v_max_f32 v25, v24, v24 quad_perm:[2,3,0,1] row_mask:0xf bank_mask:0xf bound_ctrl:1
	;;#ASMEND
	;;#ASMSTART
	v_max_f32 v24, v25, v25 row_half_mirror row_mask:0xf bank_mask:0xf bound_ctrl:1
	;;#ASMEND
	;;#ASMSTART
	v_max_f32 v25, v24, v24 row_mirror row_mask:0xf bank_mask:0xf bound_ctrl:1
	;;#ASMEND
	;;#ASMSTART
	v_max_f32 v24, v25, v25 row_ror:4 row_mask:0xf bank_mask:0xf bound_ctrl:1
	;;#ASMEND
	;;#ASMSTART
	v_max_f32 v25, v24, v24 row_ror:8 row_mask:0xf bank_mask:0xf bound_ctrl:1
	;;#ASMEND
	;;#ASMSTART
	v_max_f32 v24, v25, v25 row_bcast:15 row_mask:0xf bank_mask:0xf bound_ctrl:1
	;;#ASMEND
	;;#ASMSTART
	v_max_f32 v25, v24, v24 row_bcast:31 row_mask:0xf bank_mask:0xf bound_ctrl:1
	;;#ASMEND
	ds_bpermute_b32 v24, v18, v25
	v_cndmask_b32_e32 v21, v21, v7, vcc
	v_cndmask_b32_e32 v22, v22, v3, vcc
	v_cndmask_b32_e64 v23, 0, v21, s[0:1]
	s_waitcnt lgkmcnt(0)
	v_cmp_eq_f32_e32 vcc, v20, v24
	s_ff1_i32_b64 s7, vcc
	s_cmp_lg_u64 vcc, 0
	s_cselect_b32 s7, s7, 0
	v_readlane_b32 s7, v23, s7
	v_cmp_eq_u32_e32 vcc, s7, v21
	s_and_b64 vcc, s[0:1], vcc
	s_and_b32 s12, s7, 63
	v_cndmask_b32_e32 v21, 0, v22, vcc
	v_addc_co_u32_e32 v16, vcc, 0, v16, vcc
	v_readlane_b32 s0, v21, s12
	s_add_i32 s3, s3, -1
	v_mov_b32_e32 v20, s7
	v_mov_b32_e32 v21, s0
	v_cmp_eq_u32_e32 vcc, 0, v19
	s_cmp_eq_u32 s3, 0
	v_add_f32_e32 v15, s0, v15
	v_add_u32_e32 v19, -1, v19
	v_cndmask_b32_e32 v14, v14, v21, vcc
	v_cndmask_b32_e32 v13, v13, v20, vcc
	s_cbranch_scc0 .LBB263_14
; %bb.15:
	v_cmp_gt_i32_e32 vcc, s2, v0
	s_and_saveexec_b64 s[0:1], vcc
	s_cbranch_execz .LBB263_17
.LBB263_16:
	s_load_dword s2, s[4:5], 0x30
	v_max_f32_e32 v1, v15, v15
	v_max_f32_e32 v1, 0x1e3ce508, v1
	v_lshlrev_b32_e32 v0, 2, v0
	s_waitcnt lgkmcnt(0)
	v_div_scale_f32 v2, s[0:1], v1, v1, s2
	v_rcp_f32_e32 v3, v2
	v_div_scale_f32 v4, vcc, s2, v1, s2
	s_load_dwordx2 s[0:1], s[4:5], 0x20
	v_fma_f32 v5, -v2, v3, 1.0
	v_fmac_f32_e32 v3, v5, v3
	v_mul_f32_e32 v5, v4, v3
	v_fma_f32 v6, -v2, v5, v4
	v_fmac_f32_e32 v5, v6, v3
	v_fma_f32 v2, -v2, v5, v4
	v_div_fmas_f32 v2, v2, v3, v5
	v_div_fixup_f32 v1, v2, v1, s2
	s_ashr_i32 s2, s6, 31
	s_waitcnt lgkmcnt(0)
	s_mul_i32 s1, s6, s1
	s_mul_hi_u32 s3, s6, s0
	s_add_i32 s1, s3, s1
	s_mul_i32 s2, s2, s0
	s_add_i32 s1, s1, s2
	s_mul_i32 s0, s6, s0
	s_lshl_b64 s[0:1], s[0:1], 2
	s_add_u32 s2, s8, s0
	s_addc_u32 s3, s9, s1
	s_add_u32 s0, s10, s0
	v_mul_f32_e32 v1, v14, v1
	s_addc_u32 s1, s11, s1
	global_store_dword v0, v1, s[2:3]
	global_store_dword v0, v13, s[0:1]
.LBB263_17:
	s_endpgm
.LBB263_18:
	v_mov_b32_e32 v13, 0
	v_mov_b32_e32 v14, 0
	v_cmp_gt_i32_e32 vcc, s2, v0
	s_and_saveexec_b64 s[0:1], vcc
	s_cbranch_execnz .LBB263_16
	s_branch .LBB263_17
	.section	.rodata,"a",@progbits
	.p2align	6, 0x0
	.amdhsa_kernel _ZN5aiter24topk_softplus_kernel_optI12hip_bfloat166__halfLi256ELb1ELi0EEEvPKT_PKT0_PfPimiif
		.amdhsa_group_segment_fixed_size 0
		.amdhsa_private_segment_fixed_size 0
		.amdhsa_kernarg_size 52
		.amdhsa_user_sgpr_count 6
		.amdhsa_user_sgpr_private_segment_buffer 1
		.amdhsa_user_sgpr_dispatch_ptr 0
		.amdhsa_user_sgpr_queue_ptr 0
		.amdhsa_user_sgpr_kernarg_segment_ptr 1
		.amdhsa_user_sgpr_dispatch_id 0
		.amdhsa_user_sgpr_flat_scratch_init 0
		.amdhsa_user_sgpr_kernarg_preload_length 0
		.amdhsa_user_sgpr_kernarg_preload_offset 0
		.amdhsa_user_sgpr_private_segment_size 0
		.amdhsa_uses_dynamic_stack 0
		.amdhsa_system_sgpr_private_segment_wavefront_offset 0
		.amdhsa_system_sgpr_workgroup_id_x 1
		.amdhsa_system_sgpr_workgroup_id_y 0
		.amdhsa_system_sgpr_workgroup_id_z 0
		.amdhsa_system_sgpr_workgroup_info 0
		.amdhsa_system_vgpr_workitem_id 0
		.amdhsa_next_free_vgpr 26
		.amdhsa_next_free_sgpr 15
		.amdhsa_accum_offset 28
		.amdhsa_reserve_vcc 1
		.amdhsa_reserve_flat_scratch 0
		.amdhsa_float_round_mode_32 0
		.amdhsa_float_round_mode_16_64 0
		.amdhsa_float_denorm_mode_32 3
		.amdhsa_float_denorm_mode_16_64 3
		.amdhsa_dx10_clamp 1
		.amdhsa_ieee_mode 1
		.amdhsa_fp16_overflow 0
		.amdhsa_tg_split 0
		.amdhsa_exception_fp_ieee_invalid_op 0
		.amdhsa_exception_fp_denorm_src 0
		.amdhsa_exception_fp_ieee_div_zero 0
		.amdhsa_exception_fp_ieee_overflow 0
		.amdhsa_exception_fp_ieee_underflow 0
		.amdhsa_exception_fp_ieee_inexact 0
		.amdhsa_exception_int_div_zero 0
	.end_amdhsa_kernel
	.section	.text._ZN5aiter24topk_softplus_kernel_optI12hip_bfloat166__halfLi256ELb1ELi0EEEvPKT_PKT0_PfPimiif,"axG",@progbits,_ZN5aiter24topk_softplus_kernel_optI12hip_bfloat166__halfLi256ELb1ELi0EEEvPKT_PKT0_PfPimiif,comdat
.Lfunc_end263:
	.size	_ZN5aiter24topk_softplus_kernel_optI12hip_bfloat166__halfLi256ELb1ELi0EEEvPKT_PKT0_PfPimiif, .Lfunc_end263-_ZN5aiter24topk_softplus_kernel_optI12hip_bfloat166__halfLi256ELb1ELi0EEEvPKT_PKT0_PfPimiif
                                        ; -- End function
	.section	.AMDGPU.csdata,"",@progbits
; Kernel info:
; codeLenInByte = 1888
; NumSgprs: 19
; NumVgprs: 26
; NumAgprs: 0
; TotalNumVgprs: 26
; ScratchSize: 0
; MemoryBound: 0
; FloatMode: 240
; IeeeMode: 1
; LDSByteSize: 0 bytes/workgroup (compile time only)
; SGPRBlocks: 2
; VGPRBlocks: 3
; NumSGPRsForWavesPerEU: 19
; NumVGPRsForWavesPerEU: 26
; AccumOffset: 28
; Occupancy: 8
; WaveLimiterHint : 0
; COMPUTE_PGM_RSRC2:SCRATCH_EN: 0
; COMPUTE_PGM_RSRC2:USER_SGPR: 6
; COMPUTE_PGM_RSRC2:TRAP_HANDLER: 0
; COMPUTE_PGM_RSRC2:TGID_X_EN: 1
; COMPUTE_PGM_RSRC2:TGID_Y_EN: 0
; COMPUTE_PGM_RSRC2:TGID_Z_EN: 0
; COMPUTE_PGM_RSRC2:TIDIG_COMP_CNT: 0
; COMPUTE_PGM_RSRC3_GFX90A:ACCUM_OFFSET: 6
; COMPUTE_PGM_RSRC3_GFX90A:TG_SPLIT: 0
	.section	.text._ZN5aiter24topk_softplus_kernel_optI12hip_bfloat166__halfLi256ELb0ELi0EEEvPKT_PKT0_PfPimiif,"axG",@progbits,_ZN5aiter24topk_softplus_kernel_optI12hip_bfloat166__halfLi256ELb0ELi0EEEvPKT_PKT0_PfPimiif,comdat
	.protected	_ZN5aiter24topk_softplus_kernel_optI12hip_bfloat166__halfLi256ELb0ELi0EEEvPKT_PKT0_PfPimiif ; -- Begin function _ZN5aiter24topk_softplus_kernel_optI12hip_bfloat166__halfLi256ELb0ELi0EEEvPKT_PKT0_PfPimiif
	.globl	_ZN5aiter24topk_softplus_kernel_optI12hip_bfloat166__halfLi256ELb0ELi0EEEvPKT_PKT0_PfPimiif
	.p2align	8
	.type	_ZN5aiter24topk_softplus_kernel_optI12hip_bfloat166__halfLi256ELb0ELi0EEEvPKT_PKT0_PfPimiif,@function
_ZN5aiter24topk_softplus_kernel_optI12hip_bfloat166__halfLi256ELb0ELi0EEEvPKT_PKT0_PfPimiif: ; @_ZN5aiter24topk_softplus_kernel_optI12hip_bfloat166__halfLi256ELb0ELi0EEEvPKT_PKT0_PfPimiif
; %bb.0:
	s_load_dwordx4 s[8:11], s[4:5], 0x0
	s_lshl_b32 s0, s6, 8
	s_ashr_i32 s1, s0, 31
	s_lshl_b64 s[0:1], s[0:1], 1
	v_lshlrev_b32_e32 v1, 1, v0
	s_waitcnt lgkmcnt(0)
	s_add_u32 s0, s8, s0
	s_addc_u32 s1, s9, s1
	global_load_ushort v2, v1, s[0:1]
	s_mov_b32 s12, 0xc2fc0000
	v_mov_b32_e32 v7, 0x42800000
	v_mov_b32_e32 v8, 0x1f800000
	s_mov_b32 s13, 0x800000
	v_mov_b32_e32 v9, 0x4f800000
	v_mov_b32_e32 v10, 0x42000000
	s_mov_b32 s7, 0x41a00000
	s_mov_b32 s14, 0xf800000
	s_cmp_lg_u64 s[10:11], 0
	s_cselect_b64 s[8:9], -1, 0
	s_waitcnt vmcnt(0)
	v_lshlrev_b32_e32 v2, 16, v2
	v_mul_f32_e32 v3, 0x3fb8aa3b, v2
	v_cmp_gt_f32_e32 vcc, s12, v3
	v_cndmask_b32_e32 v3, 0, v7, vcc
	v_fmac_f32_e32 v3, 0x3fb8aa3b, v2
	v_exp_f32_e32 v4, v3
	v_cndmask_b32_e32 v5, 1.0, v8, vcc
	v_mov_b32_e32 v3, 0x260
	v_fma_f32 v4, v4, v5, 1.0
	v_cmp_gt_f32_e32 vcc, s13, v4
	v_cndmask_b32_e32 v5, 1.0, v9, vcc
	v_mul_f32_e32 v4, v4, v5
	v_log_f32_e32 v4, v4
	v_cndmask_b32_e32 v6, 0, v10, vcc
	v_cmp_lt_f32_e32 vcc, s7, v2
	v_mov_b32_e32 v5, s1
	v_sub_f32_e32 v4, v4, v6
	v_mul_f32_e32 v4, 0x3f317218, v4
	v_cndmask_b32_e32 v2, v4, v2, vcc
	v_mul_f32_e32 v4, 0x4f800000, v2
	v_cmp_gt_f32_e32 vcc, s14, v2
	v_cndmask_b32_e32 v2, v2, v4, vcc
	v_sqrt_f32_e32 v6, v2
	v_add_co_u32_e64 v4, s[0:1], s0, v1
	v_addc_co_u32_e64 v5, s[0:1], 0, v5, s[0:1]
	v_add_u32_e32 v11, -1, v6
	v_add_u32_e32 v12, 1, v6
	v_fma_f32 v13, -v11, v6, v2
	v_fma_f32 v14, -v12, v6, v2
	v_cmp_ge_f32_e64 s[2:3], 0, v13
	v_cndmask_b32_e64 v6, v6, v11, s[2:3]
	v_cmp_lt_f32_e64 s[2:3], 0, v14
	v_cndmask_b32_e64 v6, v6, v12, s[2:3]
	v_mul_f32_e32 v11, 0x37800000, v6
	v_cndmask_b32_e32 v6, v6, v11, vcc
	v_cmp_class_f32_e32 vcc, v2, v3
	s_and_b64 s[0:1], exec, s[8:9]
	v_cndmask_b32_e32 v2, v6, v2, vcc
	v_mov_b32_e32 v6, v2
	s_mov_b64 vcc, s[0:1]
	s_cbranch_vccz .LBB264_2
; %bb.1:
	global_load_ushort v6, v1, s[10:11]
	s_waitcnt vmcnt(0)
	v_cvt_f32_f16_e32 v6, v6
	v_add_f32_e32 v6, v2, v6
.LBB264_2:
	global_load_ushort v11, v[4:5], off offset:128
	s_waitcnt vmcnt(0)
	v_lshlrev_b32_e32 v11, 16, v11
	v_mul_f32_e32 v12, 0x3fb8aa3b, v11
	v_cmp_gt_f32_e32 vcc, s12, v12
	v_cndmask_b32_e32 v7, 0, v7, vcc
	v_fmac_f32_e32 v7, 0x3fb8aa3b, v11
	v_exp_f32_e32 v7, v7
	v_cndmask_b32_e32 v8, 1.0, v8, vcc
	v_fma_f32 v7, v7, v8, 1.0
	v_cmp_gt_f32_e32 vcc, s13, v7
	v_cndmask_b32_e32 v8, 1.0, v9, vcc
	v_mul_f32_e32 v7, v7, v8
	v_log_f32_e32 v7, v7
	v_cndmask_b32_e32 v8, 0, v10, vcc
	v_cmp_lt_f32_e32 vcc, s7, v11
	v_cndmask_b32_e64 v9, 0, 1, s[8:9]
	v_sub_f32_e32 v7, v7, v8
	v_mul_f32_e32 v7, 0x3f317218, v7
	v_cndmask_b32_e32 v7, v7, v11, vcc
	v_mul_f32_e32 v8, 0x4f800000, v7
	v_cmp_gt_f32_e32 vcc, s14, v7
	v_cndmask_b32_e32 v7, v7, v8, vcc
	v_sqrt_f32_e32 v8, v7
	v_cmp_ne_u32_e64 s[0:1], 1, v9
	v_add_u32_e32 v9, -1, v8
	v_add_u32_e32 v10, 1, v8
	v_fma_f32 v11, -v9, v8, v7
	v_fma_f32 v12, -v10, v8, v7
	v_cmp_ge_f32_e64 s[2:3], 0, v11
	v_cndmask_b32_e64 v8, v8, v9, s[2:3]
	v_cmp_lt_f32_e64 s[2:3], 0, v12
	v_cndmask_b32_e64 v8, v8, v10, s[2:3]
	v_mul_f32_e32 v9, 0x37800000, v8
	v_cndmask_b32_e32 v8, v8, v9, vcc
	v_cmp_class_f32_e32 vcc, v7, v3
	v_cndmask_b32_e32 v9, v8, v7, vcc
	s_andn2_b64 vcc, exec, s[8:9]
	v_mov_b32_e32 v8, v9
	s_cbranch_vccnz .LBB264_4
; %bb.3:
	global_load_ushort v3, v1, s[10:11] offset:128
	s_waitcnt vmcnt(0)
	v_cvt_f32_f16_e32 v3, v3
	v_add_f32_e32 v8, v9, v3
.LBB264_4:
	global_load_ushort v10, v[4:5], off offset:256
	s_mov_b32 s8, 0xc2fc0000
	v_mov_b32_e32 v7, 0x42800000
	v_mov_b32_e32 v3, 0x1f800000
	s_mov_b32 s9, 0x800000
	s_mov_b32 s12, 0xf800000
	s_waitcnt vmcnt(0)
	v_lshlrev_b32_e32 v10, 16, v10
	v_mul_f32_e32 v11, 0x3fb8aa3b, v10
	v_cmp_gt_f32_e32 vcc, s8, v11
	v_cndmask_b32_e32 v11, 0, v7, vcc
	v_fmac_f32_e32 v11, 0x3fb8aa3b, v10
	v_exp_f32_e32 v12, v11
	v_cndmask_b32_e32 v13, 1.0, v3, vcc
	v_mov_b32_e32 v11, 0x4f800000
	v_fma_f32 v12, v12, v13, 1.0
	v_cmp_gt_f32_e32 vcc, s9, v12
	v_cndmask_b32_e32 v13, 1.0, v11, vcc
	v_mul_f32_e32 v12, v12, v13
	v_log_f32_e32 v12, v12
	v_mov_b32_e32 v13, 0x42000000
	v_cndmask_b32_e32 v14, 0, v13, vcc
	v_cmp_lt_f32_e32 vcc, s7, v10
	v_sub_f32_e32 v12, v12, v14
	v_mul_f32_e32 v12, 0x3f317218, v12
	v_cndmask_b32_e32 v10, v12, v10, vcc
	v_mul_f32_e32 v12, 0x4f800000, v10
	v_cmp_gt_f32_e32 vcc, s12, v10
	v_cndmask_b32_e32 v10, v10, v12, vcc
	v_sqrt_f32_e32 v12, v10
	v_mov_b32_e32 v14, 0x260
	v_add_u32_e32 v15, -1, v12
	v_add_u32_e32 v16, 1, v12
	v_fma_f32 v17, -v15, v12, v10
	v_fma_f32 v18, -v16, v12, v10
	v_cmp_ge_f32_e64 s[2:3], 0, v17
	v_cndmask_b32_e64 v12, v12, v15, s[2:3]
	v_cmp_lt_f32_e64 s[2:3], 0, v18
	v_cndmask_b32_e64 v12, v12, v16, s[2:3]
	v_mul_f32_e32 v15, 0x37800000, v12
	v_cndmask_b32_e32 v12, v12, v15, vcc
	v_cmp_class_f32_e32 vcc, v10, v14
	v_cndmask_b32_e32 v12, v12, v10, vcc
	s_and_b64 vcc, exec, s[0:1]
	v_mov_b32_e32 v10, v12
	s_cbranch_vccnz .LBB264_6
; %bb.5:
	global_load_ushort v10, v1, s[10:11] offset:256
	s_waitcnt vmcnt(0)
	v_cvt_f32_f16_e32 v10, v10
	v_add_f32_e32 v10, v12, v10
.LBB264_6:
	global_load_ushort v4, v[4:5], off offset:384
	s_waitcnt vmcnt(0)
	v_lshlrev_b32_e32 v4, 16, v4
	v_mul_f32_e32 v5, 0x3fb8aa3b, v4
	v_cmp_gt_f32_e32 vcc, s8, v5
	v_cndmask_b32_e32 v5, 0, v7, vcc
	v_fmac_f32_e32 v5, 0x3fb8aa3b, v4
	v_exp_f32_e32 v5, v5
	v_cndmask_b32_e32 v3, 1.0, v3, vcc
	v_fma_f32 v3, v5, v3, 1.0
	v_cmp_gt_f32_e32 vcc, s9, v3
	v_cndmask_b32_e32 v5, 1.0, v11, vcc
	v_mul_f32_e32 v3, v3, v5
	v_log_f32_e32 v3, v3
	v_cndmask_b32_e32 v5, 0, v13, vcc
	v_cmp_lt_f32_e32 vcc, s7, v4
	v_sub_f32_e32 v3, v3, v5
	v_mul_f32_e32 v3, 0x3f317218, v3
	v_cndmask_b32_e32 v3, v3, v4, vcc
	v_mul_f32_e32 v4, 0x4f800000, v3
	v_cmp_gt_f32_e32 vcc, s12, v3
	v_cndmask_b32_e32 v3, v3, v4, vcc
	v_sqrt_f32_e32 v4, v3
	v_add_u32_e32 v5, -1, v4
	v_add_u32_e32 v7, 1, v4
	v_fma_f32 v11, -v5, v4, v3
	v_fma_f32 v13, -v7, v4, v3
	v_cmp_ge_f32_e64 s[2:3], 0, v11
	v_cndmask_b32_e64 v4, v4, v5, s[2:3]
	v_cmp_lt_f32_e64 s[2:3], 0, v13
	v_cndmask_b32_e64 v4, v4, v7, s[2:3]
	v_mul_f32_e32 v5, 0x37800000, v4
	v_cndmask_b32_e32 v4, v4, v5, vcc
	v_cmp_class_f32_e32 vcc, v3, v14
	v_cndmask_b32_e32 v3, v4, v3, vcc
	s_and_b64 vcc, exec, s[0:1]
	v_mov_b32_e32 v5, v3
	s_cbranch_vccnz .LBB264_8
; %bb.7:
	global_load_ushort v1, v1, s[10:11] offset:384
	s_waitcnt vmcnt(0)
	v_cvt_f32_f16_e32 v1, v1
	v_add_f32_e32 v5, v3, v1
.LBB264_8:
	v_add_u32_e32 v4, 64, v0
	v_cmp_lt_f32_e32 vcc, v6, v8
	v_add_u32_e32 v15, 0x80, v0
	v_add_u32_e32 v7, 0xc0, v0
	v_cndmask_b32_e32 v11, v9, v2, vcc
	v_cndmask_b32_e32 v2, v2, v9, vcc
	;; [unrolled: 1-line block ×6, first 2 shown]
	v_cmp_lt_f32_e32 vcc, v10, v5
	v_mov_b32_e32 v8, v10
	s_and_saveexec_b64 s[0:1], vcc
	s_xor_b64 s[0:1], exec, s[0:1]
; %bb.9:
	v_mov_b32_e32 v8, v12
	v_mov_b32_e32 v14, v10
	;; [unrolled: 1-line block ×4, first 2 shown]
	v_swap_b32 v12, v3
	v_swap_b32 v15, v7
	v_mov_b32_e32 v8, v5
	v_mov_b32_e32 v5, v14
; %bb.10:
	s_or_b64 exec, exec, s[0:1]
	v_cmp_lt_f32_e32 vcc, v6, v10
	v_cndmask_b32_e32 v13, v12, v2, vcc
	v_cndmask_b32_e32 v2, v2, v12, vcc
	v_cndmask_b32_e32 v14, v15, v4, vcc
	v_cndmask_b32_e32 v4, v4, v15, vcc
	v_cndmask_b32_e32 v12, v8, v6, vcc
	v_cndmask_b32_e32 v6, v6, v10, vcc
	v_cmp_lt_f32_e32 vcc, v9, v5
	v_mov_b32_e32 v15, v9
	s_and_saveexec_b64 s[0:1], vcc
; %bb.11:
	v_mov_b32_e32 v16, v9
	v_mov_b32_e32 v8, v11
	;; [unrolled: 1-line block ×4, first 2 shown]
	v_swap_b32 v11, v3
	v_swap_b32 v1, v7
	v_mov_b32_e32 v15, v5
	v_mov_b32_e32 v5, v16
; %bb.12:
	s_or_b64 exec, exec, s[0:1]
	s_load_dword s2, s[4:5], 0x28
	s_load_dwordx4 s[8:11], s[4:5], 0x10
	s_waitcnt lgkmcnt(0)
	s_cmp_lt_i32 s2, 1
	s_cbranch_scc1 .LBB264_18
; %bb.13:
	v_cmp_lt_f32_e32 vcc, v9, v12
	v_cndmask_b32_e32 v10, v12, v9, vcc
	v_cndmask_b32_e32 v9, v15, v12, vcc
	;; [unrolled: 1-line block ×4, first 2 shown]
	v_mbcnt_lo_u32_b32 v13, -1, 0
	v_mbcnt_hi_u32_b32 v13, -1, v13
	v_bfrev_b32_e32 v17, 0.5
	v_cndmask_b32_e32 v8, v14, v1, vcc
	v_cndmask_b32_e32 v1, v1, v14, vcc
	v_mov_b32_e32 v15, 0
	v_mov_b32_e32 v14, 0
	;; [unrolled: 1-line block ×3, first 2 shown]
	v_lshl_or_b32 v17, v13, 2, v17
	v_mov_b32_e32 v18, v0
	s_mov_b32 s3, s2
	v_mov_b32_e32 v13, 0
.LBB264_14:                             ; =>This Inner Loop Header: Depth=1
	v_cmp_eq_u32_e32 vcc, 1, v15
	v_cndmask_b32_e32 v19, v6, v9, vcc
	v_cmp_eq_u32_e64 s[0:1], 2, v15
	v_cndmask_b32_e64 v19, v19, v10, s[0:1]
	v_cndmask_b32_e32 v20, v4, v1, vcc
	v_cndmask_b32_e32 v21, v2, v11, vcc
	v_cmp_eq_u32_e32 vcc, 3, v15
	v_cndmask_b32_e32 v19, v19, v5, vcc
	v_cndmask_b32_e64 v20, v20, v8, s[0:1]
	v_cndmask_b32_e64 v21, v21, v12, s[0:1]
	v_cmp_gt_u32_e64 s[0:1], 4, v15
	v_cndmask_b32_e64 v19, v16, v19, s[0:1]
	;;#ASMSTART
	v_max_f32 v23, v19, v19 quad_perm:[1,0,3,2] row_mask:0xf bank_mask:0xf bound_ctrl:1
	;;#ASMEND
	;;#ASMSTART
	v_max_f32 v24, v23, v23 quad_perm:[2,3,0,1] row_mask:0xf bank_mask:0xf bound_ctrl:1
	;;#ASMEND
	;;#ASMSTART
	v_max_f32 v23, v24, v24 row_half_mirror row_mask:0xf bank_mask:0xf bound_ctrl:1
	;;#ASMEND
	;;#ASMSTART
	v_max_f32 v24, v23, v23 row_mirror row_mask:0xf bank_mask:0xf bound_ctrl:1
	;;#ASMEND
	;;#ASMSTART
	v_max_f32 v23, v24, v24 row_ror:4 row_mask:0xf bank_mask:0xf bound_ctrl:1
	;;#ASMEND
	;;#ASMSTART
	v_max_f32 v24, v23, v23 row_ror:8 row_mask:0xf bank_mask:0xf bound_ctrl:1
	;;#ASMEND
	;;#ASMSTART
	v_max_f32 v23, v24, v24 row_bcast:15 row_mask:0xf bank_mask:0xf bound_ctrl:1
	;;#ASMEND
	;;#ASMSTART
	v_max_f32 v24, v23, v23 row_bcast:31 row_mask:0xf bank_mask:0xf bound_ctrl:1
	;;#ASMEND
	ds_bpermute_b32 v23, v17, v24
	v_cndmask_b32_e32 v20, v20, v7, vcc
	v_cndmask_b32_e32 v21, v21, v3, vcc
	v_cndmask_b32_e64 v22, 0, v20, s[0:1]
	s_waitcnt lgkmcnt(0)
	v_cmp_eq_f32_e32 vcc, v19, v23
	s_ff1_i32_b64 s7, vcc
	s_cmp_lg_u64 vcc, 0
	s_cselect_b32 s7, s7, 0
	v_readlane_b32 s7, v22, s7
	v_cmp_eq_u32_e32 vcc, s7, v20
	s_and_b64 vcc, s[0:1], vcc
	s_and_b32 s12, s7, 63
	v_cndmask_b32_e32 v20, 0, v21, vcc
	v_addc_co_u32_e32 v15, vcc, 0, v15, vcc
	v_readlane_b32 s0, v20, s12
	s_add_i32 s3, s3, -1
	v_mov_b32_e32 v19, s7
	v_mov_b32_e32 v20, s0
	v_cmp_eq_u32_e32 vcc, 0, v18
	s_cmp_eq_u32 s3, 0
	v_add_u32_e32 v18, -1, v18
	v_cndmask_b32_e32 v14, v14, v20, vcc
	v_cndmask_b32_e32 v13, v13, v19, vcc
	s_cbranch_scc0 .LBB264_14
; %bb.15:
	v_cmp_gt_i32_e32 vcc, s2, v0
	s_and_saveexec_b64 s[0:1], vcc
	s_cbranch_execz .LBB264_17
.LBB264_16:
	s_load_dword s2, s[4:5], 0x30
	s_load_dwordx2 s[0:1], s[4:5], 0x20
	s_ashr_i32 s3, s6, 31
	v_lshlrev_b32_e32 v0, 2, v0
	s_waitcnt lgkmcnt(0)
	v_mul_f32_e32 v1, s2, v14
	s_mul_i32 s1, s6, s1
	s_mul_hi_u32 s2, s6, s0
	s_add_i32 s1, s2, s1
	s_mul_i32 s3, s3, s0
	s_add_i32 s1, s1, s3
	s_mul_i32 s0, s6, s0
	s_lshl_b64 s[0:1], s[0:1], 2
	s_add_u32 s2, s8, s0
	s_addc_u32 s3, s9, s1
	s_add_u32 s0, s10, s0
	s_addc_u32 s1, s11, s1
	global_store_dword v0, v1, s[2:3]
	global_store_dword v0, v13, s[0:1]
.LBB264_17:
	s_endpgm
.LBB264_18:
	v_mov_b32_e32 v13, 0
	v_mov_b32_e32 v14, 0
	v_cmp_gt_i32_e32 vcc, s2, v0
	s_and_saveexec_b64 s[0:1], vcc
	s_cbranch_execnz .LBB264_16
	s_branch .LBB264_17
	.section	.rodata,"a",@progbits
	.p2align	6, 0x0
	.amdhsa_kernel _ZN5aiter24topk_softplus_kernel_optI12hip_bfloat166__halfLi256ELb0ELi0EEEvPKT_PKT0_PfPimiif
		.amdhsa_group_segment_fixed_size 0
		.amdhsa_private_segment_fixed_size 0
		.amdhsa_kernarg_size 52
		.amdhsa_user_sgpr_count 6
		.amdhsa_user_sgpr_private_segment_buffer 1
		.amdhsa_user_sgpr_dispatch_ptr 0
		.amdhsa_user_sgpr_queue_ptr 0
		.amdhsa_user_sgpr_kernarg_segment_ptr 1
		.amdhsa_user_sgpr_dispatch_id 0
		.amdhsa_user_sgpr_flat_scratch_init 0
		.amdhsa_user_sgpr_kernarg_preload_length 0
		.amdhsa_user_sgpr_kernarg_preload_offset 0
		.amdhsa_user_sgpr_private_segment_size 0
		.amdhsa_uses_dynamic_stack 0
		.amdhsa_system_sgpr_private_segment_wavefront_offset 0
		.amdhsa_system_sgpr_workgroup_id_x 1
		.amdhsa_system_sgpr_workgroup_id_y 0
		.amdhsa_system_sgpr_workgroup_id_z 0
		.amdhsa_system_sgpr_workgroup_info 0
		.amdhsa_system_vgpr_workitem_id 0
		.amdhsa_next_free_vgpr 25
		.amdhsa_next_free_sgpr 15
		.amdhsa_accum_offset 28
		.amdhsa_reserve_vcc 1
		.amdhsa_reserve_flat_scratch 0
		.amdhsa_float_round_mode_32 0
		.amdhsa_float_round_mode_16_64 0
		.amdhsa_float_denorm_mode_32 3
		.amdhsa_float_denorm_mode_16_64 3
		.amdhsa_dx10_clamp 1
		.amdhsa_ieee_mode 1
		.amdhsa_fp16_overflow 0
		.amdhsa_tg_split 0
		.amdhsa_exception_fp_ieee_invalid_op 0
		.amdhsa_exception_fp_denorm_src 0
		.amdhsa_exception_fp_ieee_div_zero 0
		.amdhsa_exception_fp_ieee_overflow 0
		.amdhsa_exception_fp_ieee_underflow 0
		.amdhsa_exception_fp_ieee_inexact 0
		.amdhsa_exception_int_div_zero 0
	.end_amdhsa_kernel
	.section	.text._ZN5aiter24topk_softplus_kernel_optI12hip_bfloat166__halfLi256ELb0ELi0EEEvPKT_PKT0_PfPimiif,"axG",@progbits,_ZN5aiter24topk_softplus_kernel_optI12hip_bfloat166__halfLi256ELb0ELi0EEEvPKT_PKT0_PfPimiif,comdat
.Lfunc_end264:
	.size	_ZN5aiter24topk_softplus_kernel_optI12hip_bfloat166__halfLi256ELb0ELi0EEEvPKT_PKT0_PfPimiif, .Lfunc_end264-_ZN5aiter24topk_softplus_kernel_optI12hip_bfloat166__halfLi256ELb0ELi0EEEvPKT_PKT0_PfPimiif
                                        ; -- End function
	.section	.AMDGPU.csdata,"",@progbits
; Kernel info:
; codeLenInByte = 1788
; NumSgprs: 19
; NumVgprs: 25
; NumAgprs: 0
; TotalNumVgprs: 25
; ScratchSize: 0
; MemoryBound: 0
; FloatMode: 240
; IeeeMode: 1
; LDSByteSize: 0 bytes/workgroup (compile time only)
; SGPRBlocks: 2
; VGPRBlocks: 3
; NumSGPRsForWavesPerEU: 19
; NumVGPRsForWavesPerEU: 25
; AccumOffset: 28
; Occupancy: 8
; WaveLimiterHint : 0
; COMPUTE_PGM_RSRC2:SCRATCH_EN: 0
; COMPUTE_PGM_RSRC2:USER_SGPR: 6
; COMPUTE_PGM_RSRC2:TRAP_HANDLER: 0
; COMPUTE_PGM_RSRC2:TGID_X_EN: 1
; COMPUTE_PGM_RSRC2:TGID_Y_EN: 0
; COMPUTE_PGM_RSRC2:TGID_Z_EN: 0
; COMPUTE_PGM_RSRC2:TIDIG_COMP_CNT: 0
; COMPUTE_PGM_RSRC3_GFX90A:ACCUM_OFFSET: 6
; COMPUTE_PGM_RSRC3_GFX90A:TG_SPLIT: 0
	.section	.text._ZN5aiter24topk_softplus_kernel_optI12hip_bfloat166__halfLi384ELb1ELi0EEEvPKT_PKT0_PfPimiif,"axG",@progbits,_ZN5aiter24topk_softplus_kernel_optI12hip_bfloat166__halfLi384ELb1ELi0EEEvPKT_PKT0_PfPimiif,comdat
	.protected	_ZN5aiter24topk_softplus_kernel_optI12hip_bfloat166__halfLi384ELb1ELi0EEEvPKT_PKT0_PfPimiif ; -- Begin function _ZN5aiter24topk_softplus_kernel_optI12hip_bfloat166__halfLi384ELb1ELi0EEEvPKT_PKT0_PfPimiif
	.globl	_ZN5aiter24topk_softplus_kernel_optI12hip_bfloat166__halfLi384ELb1ELi0EEEvPKT_PKT0_PfPimiif
	.p2align	8
	.type	_ZN5aiter24topk_softplus_kernel_optI12hip_bfloat166__halfLi384ELb1ELi0EEEvPKT_PKT0_PfPimiif,@function
_ZN5aiter24topk_softplus_kernel_optI12hip_bfloat166__halfLi384ELb1ELi0EEEvPKT_PKT0_PfPimiif: ; @_ZN5aiter24topk_softplus_kernel_optI12hip_bfloat166__halfLi384ELb1ELi0EEEvPKT_PKT0_PfPimiif
; %bb.0:
	s_load_dwordx4 s[8:11], s[4:5], 0x0
	s_mul_i32 s0, s6, 0x180
	s_ashr_i32 s1, s0, 31
	s_lshl_b64 s[0:1], s[0:1], 1
	v_lshlrev_b32_e32 v1, 1, v0
	s_waitcnt lgkmcnt(0)
	s_add_u32 s0, s8, s0
	s_addc_u32 s1, s9, s1
	global_load_ushort v2, v1, s[0:1]
	s_mov_b32 s12, 0xc2fc0000
	v_mov_b32_e32 v7, 0x42800000
	v_mov_b32_e32 v8, 0x1f800000
	s_mov_b32 s13, 0x800000
	v_mov_b32_e32 v9, 0x4f800000
	v_mov_b32_e32 v10, 0x42000000
	s_mov_b32 s7, 0x41a00000
	s_mov_b32 s14, 0xf800000
	v_mov_b32_e32 v6, 0x260
	s_cmp_lg_u64 s[10:11], 0
	s_cselect_b64 s[8:9], -1, 0
	s_waitcnt vmcnt(0)
	v_lshlrev_b32_e32 v2, 16, v2
	v_mul_f32_e32 v3, 0x3fb8aa3b, v2
	v_cmp_gt_f32_e32 vcc, s12, v3
	v_cndmask_b32_e32 v3, 0, v7, vcc
	v_fmac_f32_e32 v3, 0x3fb8aa3b, v2
	v_exp_f32_e32 v3, v3
	v_cndmask_b32_e32 v4, 1.0, v8, vcc
	v_fma_f32 v3, v3, v4, 1.0
	v_cmp_gt_f32_e32 vcc, s13, v3
	v_cndmask_b32_e32 v4, 1.0, v9, vcc
	v_mul_f32_e32 v3, v3, v4
	v_log_f32_e32 v3, v3
	v_cndmask_b32_e32 v5, 0, v10, vcc
	v_cmp_lt_f32_e32 vcc, s7, v2
	v_mov_b32_e32 v4, s1
	v_sub_f32_e32 v3, v3, v5
	v_mul_f32_e32 v3, 0x3f317218, v3
	v_cndmask_b32_e32 v2, v3, v2, vcc
	v_mul_f32_e32 v3, 0x4f800000, v2
	v_cmp_gt_f32_e32 vcc, s14, v2
	v_cndmask_b32_e32 v5, v2, v3, vcc
	v_sqrt_f32_e32 v11, v5
	v_add_co_u32_e64 v2, s[0:1], s0, v1
	v_addc_co_u32_e64 v3, s[0:1], 0, v4, s[0:1]
	v_add_u32_e32 v4, -1, v11
	v_add_u32_e32 v12, 1, v11
	v_fma_f32 v13, -v4, v11, v5
	v_fma_f32 v14, -v12, v11, v5
	v_cmp_ge_f32_e64 s[2:3], 0, v13
	v_cndmask_b32_e64 v4, v11, v4, s[2:3]
	v_cmp_lt_f32_e64 s[2:3], 0, v14
	v_cndmask_b32_e64 v4, v4, v12, s[2:3]
	v_mul_f32_e32 v11, 0x37800000, v4
	v_cndmask_b32_e32 v4, v4, v11, vcc
	v_cmp_class_f32_e32 vcc, v5, v6
	s_and_b64 s[0:1], exec, s[8:9]
	v_cndmask_b32_e32 v4, v4, v5, vcc
	v_mov_b32_e32 v5, v4
	s_mov_b64 vcc, s[0:1]
	s_cbranch_vccz .LBB265_2
; %bb.1:
	global_load_ushort v5, v1, s[10:11]
	s_waitcnt vmcnt(0)
	v_cvt_f32_f16_e32 v5, v5
	v_add_f32_e32 v5, v4, v5
.LBB265_2:
	global_load_ushort v11, v[2:3], off offset:128
	s_waitcnt vmcnt(0)
	v_lshlrev_b32_e32 v11, 16, v11
	v_mul_f32_e32 v12, 0x3fb8aa3b, v11
	v_cmp_gt_f32_e32 vcc, s12, v12
	v_cndmask_b32_e32 v7, 0, v7, vcc
	v_fmac_f32_e32 v7, 0x3fb8aa3b, v11
	v_exp_f32_e32 v7, v7
	v_cndmask_b32_e32 v8, 1.0, v8, vcc
	v_fma_f32 v7, v7, v8, 1.0
	v_cmp_gt_f32_e32 vcc, s13, v7
	v_cndmask_b32_e32 v8, 1.0, v9, vcc
	v_mul_f32_e32 v7, v7, v8
	v_log_f32_e32 v7, v7
	v_cndmask_b32_e32 v8, 0, v10, vcc
	v_cmp_lt_f32_e32 vcc, s7, v11
	v_cndmask_b32_e64 v9, 0, 1, s[8:9]
	v_sub_f32_e32 v7, v7, v8
	v_mul_f32_e32 v7, 0x3f317218, v7
	v_cndmask_b32_e32 v7, v7, v11, vcc
	v_mul_f32_e32 v8, 0x4f800000, v7
	v_cmp_gt_f32_e32 vcc, s14, v7
	v_cndmask_b32_e32 v7, v7, v8, vcc
	v_sqrt_f32_e32 v8, v7
	v_cmp_ne_u32_e64 s[0:1], 1, v9
	v_add_u32_e32 v9, -1, v8
	v_add_u32_e32 v10, 1, v8
	v_fma_f32 v11, -v9, v8, v7
	v_fma_f32 v12, -v10, v8, v7
	v_cmp_ge_f32_e64 s[2:3], 0, v11
	v_cndmask_b32_e64 v8, v8, v9, s[2:3]
	v_cmp_lt_f32_e64 s[2:3], 0, v12
	v_cndmask_b32_e64 v8, v8, v10, s[2:3]
	v_mul_f32_e32 v9, 0x37800000, v8
	v_cndmask_b32_e32 v8, v8, v9, vcc
	v_cmp_class_f32_e32 vcc, v7, v6
	v_cndmask_b32_e32 v6, v8, v7, vcc
	s_andn2_b64 vcc, exec, s[8:9]
	v_mov_b32_e32 v7, v6
	s_cbranch_vccnz .LBB265_4
; %bb.3:
	global_load_ushort v7, v1, s[10:11] offset:128
	s_waitcnt vmcnt(0)
	v_cvt_f32_f16_e32 v7, v7
	v_add_f32_e32 v7, v6, v7
.LBB265_4:
	global_load_ushort v8, v[2:3], off offset:256
	s_mov_b32 s8, 0xc2fc0000
	v_mov_b32_e32 v11, 0x42800000
	v_mov_b32_e32 v10, 0x1f800000
	s_mov_b32 s9, 0x800000
	v_mov_b32_e32 v12, 0x4f800000
	s_mov_b32 s12, 0xf800000
	s_waitcnt vmcnt(0)
	v_lshlrev_b32_e32 v8, 16, v8
	v_mul_f32_e32 v9, 0x3fb8aa3b, v8
	v_cmp_gt_f32_e32 vcc, s8, v9
	v_cndmask_b32_e32 v9, 0, v11, vcc
	v_fmac_f32_e32 v9, 0x3fb8aa3b, v8
	v_exp_f32_e32 v9, v9
	v_cndmask_b32_e32 v13, 1.0, v10, vcc
	v_fma_f32 v9, v9, v13, 1.0
	v_cmp_gt_f32_e32 vcc, s9, v9
	v_cndmask_b32_e32 v13, 1.0, v12, vcc
	v_mul_f32_e32 v9, v9, v13
	v_log_f32_e32 v9, v9
	v_mov_b32_e32 v13, 0x42000000
	v_cndmask_b32_e32 v14, 0, v13, vcc
	v_cmp_lt_f32_e32 vcc, s7, v8
	v_sub_f32_e32 v9, v9, v14
	v_mul_f32_e32 v9, 0x3f317218, v9
	v_cndmask_b32_e32 v8, v9, v8, vcc
	v_mul_f32_e32 v9, 0x4f800000, v8
	v_cmp_gt_f32_e32 vcc, s12, v8
	v_cndmask_b32_e32 v8, v8, v9, vcc
	v_sqrt_f32_e32 v9, v8
	v_mov_b32_e32 v14, 0x260
	v_add_u32_e32 v15, -1, v9
	v_add_u32_e32 v16, 1, v9
	v_fma_f32 v17, -v15, v9, v8
	v_fma_f32 v18, -v16, v9, v8
	v_cmp_ge_f32_e64 s[2:3], 0, v17
	v_cndmask_b32_e64 v9, v9, v15, s[2:3]
	v_cmp_lt_f32_e64 s[2:3], 0, v18
	v_cndmask_b32_e64 v9, v9, v16, s[2:3]
	v_mul_f32_e32 v15, 0x37800000, v9
	v_cndmask_b32_e32 v9, v9, v15, vcc
	v_cmp_class_f32_e32 vcc, v8, v14
	v_cndmask_b32_e32 v8, v9, v8, vcc
	s_and_b64 vcc, exec, s[0:1]
	v_mov_b32_e32 v9, v8
	s_cbranch_vccnz .LBB265_6
; %bb.5:
	global_load_ushort v9, v1, s[10:11] offset:256
	s_waitcnt vmcnt(0)
	v_cvt_f32_f16_e32 v9, v9
	v_add_f32_e32 v9, v8, v9
.LBB265_6:
	global_load_ushort v15, v[2:3], off offset:384
	s_waitcnt vmcnt(0)
	v_lshlrev_b32_e32 v15, 16, v15
	v_mul_f32_e32 v16, 0x3fb8aa3b, v15
	v_cmp_gt_f32_e32 vcc, s8, v16
	v_cndmask_b32_e32 v11, 0, v11, vcc
	v_fmac_f32_e32 v11, 0x3fb8aa3b, v15
	v_exp_f32_e32 v11, v11
	v_cndmask_b32_e32 v10, 1.0, v10, vcc
	v_fma_f32 v10, v11, v10, 1.0
	v_cmp_gt_f32_e32 vcc, s9, v10
	v_cndmask_b32_e32 v11, 1.0, v12, vcc
	v_mul_f32_e32 v10, v10, v11
	v_log_f32_e32 v10, v10
	v_cndmask_b32_e32 v11, 0, v13, vcc
	v_cmp_lt_f32_e32 vcc, s7, v15
	v_sub_f32_e32 v10, v10, v11
	v_mul_f32_e32 v10, 0x3f317218, v10
	v_cndmask_b32_e32 v10, v10, v15, vcc
	v_mul_f32_e32 v11, 0x4f800000, v10
	v_cmp_gt_f32_e32 vcc, s12, v10
	v_cndmask_b32_e32 v10, v10, v11, vcc
	v_sqrt_f32_e32 v11, v10
	v_add_u32_e32 v12, -1, v11
	v_add_u32_e32 v13, 1, v11
	v_fma_f32 v15, -v12, v11, v10
	v_fma_f32 v16, -v13, v11, v10
	v_cmp_ge_f32_e64 s[2:3], 0, v15
	v_cndmask_b32_e64 v11, v11, v12, s[2:3]
	v_cmp_lt_f32_e64 s[2:3], 0, v16
	v_cndmask_b32_e64 v11, v11, v13, s[2:3]
	v_mul_f32_e32 v12, 0x37800000, v11
	v_cndmask_b32_e32 v11, v11, v12, vcc
	v_cmp_class_f32_e32 vcc, v10, v14
	v_cndmask_b32_e32 v10, v11, v10, vcc
	s_and_b64 vcc, exec, s[0:1]
	v_mov_b32_e32 v11, v10
	s_cbranch_vccnz .LBB265_8
; %bb.7:
	global_load_ushort v11, v1, s[10:11] offset:384
	s_waitcnt vmcnt(0)
	v_cvt_f32_f16_e32 v11, v11
	v_add_f32_e32 v11, v10, v11
.LBB265_8:
	global_load_ushort v12, v[2:3], off offset:512
	v_mov_b32_e32 v15, 0x42800000
	v_mov_b32_e32 v14, 0x1f800000
	;; [unrolled: 1-line block ×3, first 2 shown]
	s_waitcnt vmcnt(0)
	v_lshlrev_b32_e32 v12, 16, v12
	v_mul_f32_e32 v13, 0x3fb8aa3b, v12
	v_cmp_gt_f32_e32 vcc, s8, v13
	v_cndmask_b32_e32 v13, 0, v15, vcc
	v_fmac_f32_e32 v13, 0x3fb8aa3b, v12
	v_exp_f32_e32 v13, v13
	v_cndmask_b32_e32 v17, 1.0, v14, vcc
	v_fma_f32 v13, v13, v17, 1.0
	v_cmp_gt_f32_e32 vcc, s9, v13
	v_cndmask_b32_e32 v17, 1.0, v16, vcc
	v_mul_f32_e32 v13, v13, v17
	v_log_f32_e32 v13, v13
	v_mov_b32_e32 v17, 0x42000000
	v_cndmask_b32_e32 v18, 0, v17, vcc
	v_cmp_lt_f32_e32 vcc, s7, v12
	v_sub_f32_e32 v13, v13, v18
	v_mul_f32_e32 v13, 0x3f317218, v13
	v_cndmask_b32_e32 v12, v13, v12, vcc
	v_mul_f32_e32 v13, 0x4f800000, v12
	v_cmp_gt_f32_e32 vcc, s12, v12
	v_cndmask_b32_e32 v12, v12, v13, vcc
	v_sqrt_f32_e32 v13, v12
	v_mov_b32_e32 v18, 0x260
	v_add_u32_e32 v19, -1, v13
	v_add_u32_e32 v20, 1, v13
	v_fma_f32 v21, -v19, v13, v12
	v_fma_f32 v22, -v20, v13, v12
	v_cmp_ge_f32_e64 s[2:3], 0, v21
	v_cndmask_b32_e64 v13, v13, v19, s[2:3]
	v_cmp_lt_f32_e64 s[2:3], 0, v22
	v_cndmask_b32_e64 v13, v13, v20, s[2:3]
	v_mul_f32_e32 v19, 0x37800000, v13
	v_cndmask_b32_e32 v13, v13, v19, vcc
	v_cmp_class_f32_e32 vcc, v12, v18
	v_cndmask_b32_e32 v12, v13, v12, vcc
	s_and_b64 vcc, exec, s[0:1]
	v_mov_b32_e32 v13, v12
	s_cbranch_vccnz .LBB265_10
; %bb.9:
	global_load_ushort v13, v1, s[10:11] offset:512
	s_waitcnt vmcnt(0)
	v_cvt_f32_f16_e32 v13, v13
	v_add_f32_e32 v13, v12, v13
.LBB265_10:
	global_load_ushort v2, v[2:3], off offset:640
	s_waitcnt vmcnt(0)
	v_lshlrev_b32_e32 v2, 16, v2
	v_mul_f32_e32 v3, 0x3fb8aa3b, v2
	v_cmp_gt_f32_e32 vcc, s8, v3
	v_cndmask_b32_e32 v3, 0, v15, vcc
	v_fmac_f32_e32 v3, 0x3fb8aa3b, v2
	v_exp_f32_e32 v3, v3
	v_cndmask_b32_e32 v14, 1.0, v14, vcc
	v_fma_f32 v3, v3, v14, 1.0
	v_cmp_gt_f32_e32 vcc, s9, v3
	v_cndmask_b32_e32 v14, 1.0, v16, vcc
	v_mul_f32_e32 v3, v3, v14
	v_log_f32_e32 v3, v3
	v_cndmask_b32_e32 v14, 0, v17, vcc
	v_cmp_lt_f32_e32 vcc, s7, v2
	v_sub_f32_e32 v3, v3, v14
	v_mul_f32_e32 v3, 0x3f317218, v3
	v_cndmask_b32_e32 v2, v3, v2, vcc
	v_mul_f32_e32 v3, 0x4f800000, v2
	v_cmp_gt_f32_e32 vcc, s12, v2
	v_cndmask_b32_e32 v2, v2, v3, vcc
	v_sqrt_f32_e32 v3, v2
	v_add_u32_e32 v14, -1, v3
	v_add_u32_e32 v15, 1, v3
	v_fma_f32 v16, -v14, v3, v2
	v_fma_f32 v17, -v15, v3, v2
	v_cmp_ge_f32_e64 s[2:3], 0, v16
	v_cndmask_b32_e64 v3, v3, v14, s[2:3]
	v_cmp_lt_f32_e64 s[2:3], 0, v17
	v_cndmask_b32_e64 v3, v3, v15, s[2:3]
	v_mul_f32_e32 v14, 0x37800000, v3
	v_cndmask_b32_e32 v3, v3, v14, vcc
	v_cmp_class_f32_e32 vcc, v2, v18
	v_cndmask_b32_e32 v2, v3, v2, vcc
	s_and_b64 vcc, exec, s[0:1]
	v_mov_b32_e32 v3, v2
	s_cbranch_vccnz .LBB265_12
; %bb.11:
	global_load_ushort v1, v1, s[10:11] offset:640
	s_waitcnt vmcnt(0)
	v_cvt_f32_f16_e32 v1, v1
	v_add_f32_e32 v3, v2, v1
.LBB265_12:
	v_add_u32_e32 v1, 64, v0
	v_cmp_lt_f32_e32 vcc, v5, v7
	v_add_u32_e32 v14, 0x80, v0
	v_add_u32_e32 v15, 0xc0, v0
	v_cndmask_b32_e32 v18, v6, v4, vcc
	v_cndmask_b32_e32 v4, v4, v6, vcc
	;; [unrolled: 1-line block ×6, first 2 shown]
	v_cmp_lt_f32_e32 vcc, v9, v11
	v_add_u32_e32 v16, 0x100, v0
	v_add_u32_e32 v17, 0x140, v0
	v_cndmask_b32_e32 v7, v10, v8, vcc
	v_cndmask_b32_e32 v8, v8, v10, vcc
	v_cndmask_b32_e32 v10, v15, v14, vcc
	v_cndmask_b32_e32 v14, v14, v15, vcc
	v_cndmask_b32_e32 v15, v11, v9, vcc
	v_cndmask_b32_e32 v9, v9, v11, vcc
	v_cmp_lt_f32_e32 vcc, v13, v3
	v_cndmask_b32_e32 v11, v2, v12, vcc
	v_cndmask_b32_e32 v2, v12, v2, vcc
	v_cndmask_b32_e32 v12, v17, v16, vcc
	v_cndmask_b32_e32 v16, v16, v17, vcc
	v_cndmask_b32_e32 v17, v3, v13, vcc
	v_cndmask_b32_e32 v3, v13, v3, vcc
	v_cmp_lt_f32_e32 vcc, v5, v9
	;; [unrolled: 7-line block ×7, first 2 shown]
	v_cndmask_b32_e32 v12, v21, v23, vcc
	v_cmp_lt_f32_e64 s[0:1], v26, v13
	v_cndmask_b32_e32 v5, v22, v9, vcc
	v_cndmask_b32_e32 v8, v9, v22, vcc
	;; [unrolled: 1-line block ×3, first 2 shown]
	v_cndmask_b32_e64 v18, v1, v24, s[0:1]
	v_cndmask_b32_e64 v14, v3, v25, s[0:1]
	;; [unrolled: 1-line block ×3, first 2 shown]
	v_cmp_lt_f32_e64 s[2:3], v16, v12
	v_cndmask_b32_e32 v10, v20, v11, vcc
	v_cndmask_b32_e32 v9, v23, v21, vcc
	v_cndmask_b32_e64 v1, v24, v1, s[0:1]
	v_cndmask_b32_e64 v3, v25, v3, s[0:1]
	;; [unrolled: 1-line block ×3, first 2 shown]
	s_and_saveexec_b64 s[0:1], s[2:3]
	s_xor_b64 s[0:1], exec, s[0:1]
; %bb.13:
	v_mov_b32_e32 v13, v19
	v_mov_b32_e32 v20, v15
	;; [unrolled: 1-line block ×3, first 2 shown]
	v_swap_b32 v16, v12
	v_swap_b32 v19, v8
	;; [unrolled: 1-line block ×3, first 2 shown]
; %bb.14:
	s_or_b64 exec, exec, s[0:1]
	s_load_dword s7, s[4:5], 0x28
	s_load_dwordx4 s[16:19], s[4:5], 0x10
	v_mov_b32_e32 v21, 0
	s_waitcnt lgkmcnt(0)
	s_cmp_lt_i32 s7, 1
	s_cbranch_scc1 .LBB265_20
; %bb.15:
	v_cmp_lt_f32_e32 vcc, v17, v16
	v_cndmask_b32_e32 v13, v15, v14, vcc
	v_cndmask_b32_e32 v14, v14, v15, vcc
	;; [unrolled: 1-line block ×6, first 2 shown]
	v_mbcnt_lo_u32_b32 v19, -1, 0
	v_mbcnt_hi_u32_b32 v19, -1, v19
	v_bfrev_b32_e32 v20, 0.5
	v_mov_b32_e32 v21, 0
	v_mov_b32_e32 v22, 0
	;; [unrolled: 1-line block ×3, first 2 shown]
	v_lshl_or_b32 v24, v19, 2, v20
	v_mov_b32_e32 v25, v0
	s_mov_b32 s20, s7
	v_mov_b32_e32 v19, 0
	v_mov_b32_e32 v20, 0
.LBB265_16:                             ; =>This Inner Loop Header: Depth=1
	v_cmp_eq_u32_e32 vcc, 1, v22
	v_cndmask_b32_e32 v26, v6, v11, vcc
	v_cmp_eq_u32_e64 s[0:1], 2, v22
	v_cndmask_b32_e64 v26, v26, v16, s[0:1]
	v_cmp_eq_u32_e64 s[2:3], 3, v22
	v_cndmask_b32_e64 v26, v26, v15, s[2:3]
	;; [unrolled: 2-line block ×4, first 2 shown]
	v_cmp_gt_u32_e64 s[12:13], 6, v22
	v_cndmask_b32_e64 v26, v23, v26, s[12:13]
	;;#ASMSTART
	v_max_f32 v27, v26, v26 quad_perm:[1,0,3,2] row_mask:0xf bank_mask:0xf bound_ctrl:1
	;;#ASMEND
	;;#ASMSTART
	v_max_f32 v28, v27, v27 quad_perm:[2,3,0,1] row_mask:0xf bank_mask:0xf bound_ctrl:1
	;;#ASMEND
	;;#ASMSTART
	v_max_f32 v27, v28, v28 row_half_mirror row_mask:0xf bank_mask:0xf bound_ctrl:1
	;;#ASMEND
	;;#ASMSTART
	v_max_f32 v28, v27, v27 row_mirror row_mask:0xf bank_mask:0xf bound_ctrl:1
	;;#ASMEND
	;;#ASMSTART
	v_max_f32 v27, v28, v28 row_ror:4 row_mask:0xf bank_mask:0xf bound_ctrl:1
	;;#ASMEND
	;;#ASMSTART
	v_max_f32 v28, v27, v27 row_ror:8 row_mask:0xf bank_mask:0xf bound_ctrl:1
	;;#ASMEND
	;;#ASMSTART
	v_max_f32 v27, v28, v28 row_bcast:15 row_mask:0xf bank_mask:0xf bound_ctrl:1
	;;#ASMEND
	;;#ASMSTART
	v_max_f32 v28, v27, v27 row_bcast:31 row_mask:0xf bank_mask:0xf bound_ctrl:1
	;;#ASMEND
	ds_bpermute_b32 v27, v24, v28
	s_waitcnt lgkmcnt(0)
	v_cmp_eq_f32_e64 s[14:15], v26, v27
	v_cndmask_b32_e32 v26, v4, v3, vcc
	v_cndmask_b32_e64 v26, v26, v14, s[0:1]
	v_cndmask_b32_e64 v26, v26, v13, s[2:3]
	;; [unrolled: 1-line block ×4, first 2 shown]
	s_ff1_i32_b64 s21, s[14:15]
	s_cmp_lg_u64 s[14:15], 0
	s_cselect_b32 s14, s21, 0
	v_cndmask_b32_e64 v27, 0, v26, s[12:13]
	v_readlane_b32 s21, v27, s14
	v_cmp_eq_u32_e64 s[14:15], s21, v26
	v_cndmask_b32_e32 v26, v2, v1, vcc
	v_cndmask_b32_e64 v26, v26, v18, s[0:1]
	v_cndmask_b32_e64 v26, v26, v17, s[2:3]
	;; [unrolled: 1-line block ×4, first 2 shown]
	s_and_b64 vcc, s[12:13], s[14:15]
	s_and_b32 s0, s21, 63
	v_cndmask_b32_e32 v26, 0, v26, vcc
	v_readlane_b32 s2, v26, s0
	v_mov_b32_e32 v26, s2
	v_cmp_eq_u32_e64 s[0:1], 0, v25
	v_cndmask_b32_e64 v20, v20, v26, s[0:1]
	v_mov_b32_e32 v26, s21
	s_add_i32 s20, s20, -1
	v_cndmask_b32_e64 v19, v19, v26, s[0:1]
	v_addc_co_u32_e32 v22, vcc, 0, v22, vcc
	s_cmp_eq_u32 s20, 0
	v_add_f32_e32 v21, s2, v21
	v_add_u32_e32 v25, -1, v25
	s_cbranch_scc0 .LBB265_16
; %bb.17:
	v_cmp_gt_i32_e32 vcc, s7, v0
	s_and_saveexec_b64 s[0:1], vcc
	s_cbranch_execz .LBB265_19
.LBB265_18:
	s_load_dword s2, s[4:5], 0x30
	v_max_f32_e32 v1, v21, v21
	v_max_f32_e32 v1, 0x1e3ce508, v1
	v_lshlrev_b32_e32 v0, 2, v0
	s_waitcnt lgkmcnt(0)
	v_div_scale_f32 v2, s[0:1], v1, v1, s2
	v_rcp_f32_e32 v3, v2
	v_div_scale_f32 v4, vcc, s2, v1, s2
	s_load_dwordx2 s[0:1], s[4:5], 0x20
	v_fma_f32 v5, -v2, v3, 1.0
	v_fmac_f32_e32 v3, v5, v3
	v_mul_f32_e32 v5, v4, v3
	v_fma_f32 v6, -v2, v5, v4
	v_fmac_f32_e32 v5, v6, v3
	v_fma_f32 v2, -v2, v5, v4
	v_div_fmas_f32 v2, v2, v3, v5
	v_div_fixup_f32 v1, v2, v1, s2
	s_ashr_i32 s2, s6, 31
	s_waitcnt lgkmcnt(0)
	s_mul_i32 s1, s6, s1
	s_mul_hi_u32 s3, s6, s0
	s_add_i32 s1, s3, s1
	s_mul_i32 s2, s2, s0
	s_add_i32 s1, s1, s2
	s_mul_i32 s0, s6, s0
	s_lshl_b64 s[0:1], s[0:1], 2
	s_add_u32 s2, s16, s0
	s_addc_u32 s3, s17, s1
	s_add_u32 s0, s18, s0
	v_mul_f32_e32 v1, v20, v1
	s_addc_u32 s1, s19, s1
	global_store_dword v0, v1, s[2:3]
	global_store_dword v0, v19, s[0:1]
.LBB265_19:
	s_endpgm
.LBB265_20:
	v_mov_b32_e32 v19, 0
	v_mov_b32_e32 v20, 0
	v_cmp_gt_i32_e32 vcc, s7, v0
	s_and_saveexec_b64 s[0:1], vcc
	s_cbranch_execnz .LBB265_18
	s_branch .LBB265_19
	.section	.rodata,"a",@progbits
	.p2align	6, 0x0
	.amdhsa_kernel _ZN5aiter24topk_softplus_kernel_optI12hip_bfloat166__halfLi384ELb1ELi0EEEvPKT_PKT0_PfPimiif
		.amdhsa_group_segment_fixed_size 0
		.amdhsa_private_segment_fixed_size 0
		.amdhsa_kernarg_size 52
		.amdhsa_user_sgpr_count 6
		.amdhsa_user_sgpr_private_segment_buffer 1
		.amdhsa_user_sgpr_dispatch_ptr 0
		.amdhsa_user_sgpr_queue_ptr 0
		.amdhsa_user_sgpr_kernarg_segment_ptr 1
		.amdhsa_user_sgpr_dispatch_id 0
		.amdhsa_user_sgpr_flat_scratch_init 0
		.amdhsa_user_sgpr_kernarg_preload_length 0
		.amdhsa_user_sgpr_kernarg_preload_offset 0
		.amdhsa_user_sgpr_private_segment_size 0
		.amdhsa_uses_dynamic_stack 0
		.amdhsa_system_sgpr_private_segment_wavefront_offset 0
		.amdhsa_system_sgpr_workgroup_id_x 1
		.amdhsa_system_sgpr_workgroup_id_y 0
		.amdhsa_system_sgpr_workgroup_id_z 0
		.amdhsa_system_sgpr_workgroup_info 0
		.amdhsa_system_vgpr_workitem_id 0
		.amdhsa_next_free_vgpr 29
		.amdhsa_next_free_sgpr 22
		.amdhsa_accum_offset 32
		.amdhsa_reserve_vcc 1
		.amdhsa_reserve_flat_scratch 0
		.amdhsa_float_round_mode_32 0
		.amdhsa_float_round_mode_16_64 0
		.amdhsa_float_denorm_mode_32 3
		.amdhsa_float_denorm_mode_16_64 3
		.amdhsa_dx10_clamp 1
		.amdhsa_ieee_mode 1
		.amdhsa_fp16_overflow 0
		.amdhsa_tg_split 0
		.amdhsa_exception_fp_ieee_invalid_op 0
		.amdhsa_exception_fp_denorm_src 0
		.amdhsa_exception_fp_ieee_div_zero 0
		.amdhsa_exception_fp_ieee_overflow 0
		.amdhsa_exception_fp_ieee_underflow 0
		.amdhsa_exception_fp_ieee_inexact 0
		.amdhsa_exception_int_div_zero 0
	.end_amdhsa_kernel
	.section	.text._ZN5aiter24topk_softplus_kernel_optI12hip_bfloat166__halfLi384ELb1ELi0EEEvPKT_PKT0_PfPimiif,"axG",@progbits,_ZN5aiter24topk_softplus_kernel_optI12hip_bfloat166__halfLi384ELb1ELi0EEEvPKT_PKT0_PfPimiif,comdat
.Lfunc_end265:
	.size	_ZN5aiter24topk_softplus_kernel_optI12hip_bfloat166__halfLi384ELb1ELi0EEEvPKT_PKT0_PfPimiif, .Lfunc_end265-_ZN5aiter24topk_softplus_kernel_optI12hip_bfloat166__halfLi384ELb1ELi0EEEvPKT_PKT0_PfPimiif
                                        ; -- End function
	.section	.AMDGPU.csdata,"",@progbits
; Kernel info:
; codeLenInByte = 2692
; NumSgprs: 26
; NumVgprs: 29
; NumAgprs: 0
; TotalNumVgprs: 29
; ScratchSize: 0
; MemoryBound: 0
; FloatMode: 240
; IeeeMode: 1
; LDSByteSize: 0 bytes/workgroup (compile time only)
; SGPRBlocks: 3
; VGPRBlocks: 3
; NumSGPRsForWavesPerEU: 26
; NumVGPRsForWavesPerEU: 29
; AccumOffset: 32
; Occupancy: 8
; WaveLimiterHint : 0
; COMPUTE_PGM_RSRC2:SCRATCH_EN: 0
; COMPUTE_PGM_RSRC2:USER_SGPR: 6
; COMPUTE_PGM_RSRC2:TRAP_HANDLER: 0
; COMPUTE_PGM_RSRC2:TGID_X_EN: 1
; COMPUTE_PGM_RSRC2:TGID_Y_EN: 0
; COMPUTE_PGM_RSRC2:TGID_Z_EN: 0
; COMPUTE_PGM_RSRC2:TIDIG_COMP_CNT: 0
; COMPUTE_PGM_RSRC3_GFX90A:ACCUM_OFFSET: 7
; COMPUTE_PGM_RSRC3_GFX90A:TG_SPLIT: 0
	.section	.text._ZN5aiter24topk_softplus_kernel_optI12hip_bfloat166__halfLi384ELb0ELi0EEEvPKT_PKT0_PfPimiif,"axG",@progbits,_ZN5aiter24topk_softplus_kernel_optI12hip_bfloat166__halfLi384ELb0ELi0EEEvPKT_PKT0_PfPimiif,comdat
	.protected	_ZN5aiter24topk_softplus_kernel_optI12hip_bfloat166__halfLi384ELb0ELi0EEEvPKT_PKT0_PfPimiif ; -- Begin function _ZN5aiter24topk_softplus_kernel_optI12hip_bfloat166__halfLi384ELb0ELi0EEEvPKT_PKT0_PfPimiif
	.globl	_ZN5aiter24topk_softplus_kernel_optI12hip_bfloat166__halfLi384ELb0ELi0EEEvPKT_PKT0_PfPimiif
	.p2align	8
	.type	_ZN5aiter24topk_softplus_kernel_optI12hip_bfloat166__halfLi384ELb0ELi0EEEvPKT_PKT0_PfPimiif,@function
_ZN5aiter24topk_softplus_kernel_optI12hip_bfloat166__halfLi384ELb0ELi0EEEvPKT_PKT0_PfPimiif: ; @_ZN5aiter24topk_softplus_kernel_optI12hip_bfloat166__halfLi384ELb0ELi0EEEvPKT_PKT0_PfPimiif
; %bb.0:
	s_load_dwordx4 s[8:11], s[4:5], 0x0
	s_mul_i32 s0, s6, 0x180
	s_ashr_i32 s1, s0, 31
	s_lshl_b64 s[0:1], s[0:1], 1
	v_lshlrev_b32_e32 v1, 1, v0
	s_waitcnt lgkmcnt(0)
	s_add_u32 s0, s8, s0
	s_addc_u32 s1, s9, s1
	global_load_ushort v2, v1, s[0:1]
	s_mov_b32 s12, 0xc2fc0000
	v_mov_b32_e32 v7, 0x42800000
	v_mov_b32_e32 v8, 0x1f800000
	s_mov_b32 s13, 0x800000
	v_mov_b32_e32 v9, 0x4f800000
	v_mov_b32_e32 v10, 0x42000000
	s_mov_b32 s7, 0x41a00000
	s_mov_b32 s14, 0xf800000
	v_mov_b32_e32 v6, 0x260
	s_cmp_lg_u64 s[10:11], 0
	s_cselect_b64 s[8:9], -1, 0
	s_waitcnt vmcnt(0)
	v_lshlrev_b32_e32 v2, 16, v2
	v_mul_f32_e32 v3, 0x3fb8aa3b, v2
	v_cmp_gt_f32_e32 vcc, s12, v3
	v_cndmask_b32_e32 v3, 0, v7, vcc
	v_fmac_f32_e32 v3, 0x3fb8aa3b, v2
	v_exp_f32_e32 v3, v3
	v_cndmask_b32_e32 v4, 1.0, v8, vcc
	v_fma_f32 v3, v3, v4, 1.0
	v_cmp_gt_f32_e32 vcc, s13, v3
	v_cndmask_b32_e32 v4, 1.0, v9, vcc
	v_mul_f32_e32 v3, v3, v4
	v_log_f32_e32 v3, v3
	v_cndmask_b32_e32 v5, 0, v10, vcc
	v_cmp_lt_f32_e32 vcc, s7, v2
	v_mov_b32_e32 v4, s1
	v_sub_f32_e32 v3, v3, v5
	v_mul_f32_e32 v3, 0x3f317218, v3
	v_cndmask_b32_e32 v2, v3, v2, vcc
	v_mul_f32_e32 v3, 0x4f800000, v2
	v_cmp_gt_f32_e32 vcc, s14, v2
	v_cndmask_b32_e32 v5, v2, v3, vcc
	v_sqrt_f32_e32 v11, v5
	v_add_co_u32_e64 v2, s[0:1], s0, v1
	v_addc_co_u32_e64 v3, s[0:1], 0, v4, s[0:1]
	v_add_u32_e32 v4, -1, v11
	v_add_u32_e32 v12, 1, v11
	v_fma_f32 v13, -v4, v11, v5
	v_fma_f32 v14, -v12, v11, v5
	v_cmp_ge_f32_e64 s[2:3], 0, v13
	v_cndmask_b32_e64 v4, v11, v4, s[2:3]
	v_cmp_lt_f32_e64 s[2:3], 0, v14
	v_cndmask_b32_e64 v4, v4, v12, s[2:3]
	v_mul_f32_e32 v11, 0x37800000, v4
	v_cndmask_b32_e32 v4, v4, v11, vcc
	v_cmp_class_f32_e32 vcc, v5, v6
	s_and_b64 s[0:1], exec, s[8:9]
	v_cndmask_b32_e32 v4, v4, v5, vcc
	v_mov_b32_e32 v5, v4
	s_mov_b64 vcc, s[0:1]
	s_cbranch_vccz .LBB266_2
; %bb.1:
	global_load_ushort v5, v1, s[10:11]
	s_waitcnt vmcnt(0)
	v_cvt_f32_f16_e32 v5, v5
	v_add_f32_e32 v5, v4, v5
.LBB266_2:
	global_load_ushort v11, v[2:3], off offset:128
	s_waitcnt vmcnt(0)
	v_lshlrev_b32_e32 v11, 16, v11
	v_mul_f32_e32 v12, 0x3fb8aa3b, v11
	v_cmp_gt_f32_e32 vcc, s12, v12
	v_cndmask_b32_e32 v7, 0, v7, vcc
	v_fmac_f32_e32 v7, 0x3fb8aa3b, v11
	v_exp_f32_e32 v7, v7
	v_cndmask_b32_e32 v8, 1.0, v8, vcc
	v_fma_f32 v7, v7, v8, 1.0
	v_cmp_gt_f32_e32 vcc, s13, v7
	v_cndmask_b32_e32 v8, 1.0, v9, vcc
	v_mul_f32_e32 v7, v7, v8
	v_log_f32_e32 v7, v7
	v_cndmask_b32_e32 v8, 0, v10, vcc
	v_cmp_lt_f32_e32 vcc, s7, v11
	v_cndmask_b32_e64 v9, 0, 1, s[8:9]
	v_sub_f32_e32 v7, v7, v8
	v_mul_f32_e32 v7, 0x3f317218, v7
	v_cndmask_b32_e32 v7, v7, v11, vcc
	v_mul_f32_e32 v8, 0x4f800000, v7
	v_cmp_gt_f32_e32 vcc, s14, v7
	v_cndmask_b32_e32 v7, v7, v8, vcc
	v_sqrt_f32_e32 v8, v7
	v_cmp_ne_u32_e64 s[0:1], 1, v9
	v_add_u32_e32 v9, -1, v8
	v_add_u32_e32 v10, 1, v8
	v_fma_f32 v11, -v9, v8, v7
	v_fma_f32 v12, -v10, v8, v7
	v_cmp_ge_f32_e64 s[2:3], 0, v11
	v_cndmask_b32_e64 v8, v8, v9, s[2:3]
	v_cmp_lt_f32_e64 s[2:3], 0, v12
	v_cndmask_b32_e64 v8, v8, v10, s[2:3]
	v_mul_f32_e32 v9, 0x37800000, v8
	v_cndmask_b32_e32 v8, v8, v9, vcc
	v_cmp_class_f32_e32 vcc, v7, v6
	v_cndmask_b32_e32 v6, v8, v7, vcc
	s_andn2_b64 vcc, exec, s[8:9]
	v_mov_b32_e32 v7, v6
	s_cbranch_vccnz .LBB266_4
; %bb.3:
	global_load_ushort v7, v1, s[10:11] offset:128
	s_waitcnt vmcnt(0)
	v_cvt_f32_f16_e32 v7, v7
	v_add_f32_e32 v7, v6, v7
.LBB266_4:
	global_load_ushort v8, v[2:3], off offset:256
	s_mov_b32 s8, 0xc2fc0000
	v_mov_b32_e32 v11, 0x42800000
	v_mov_b32_e32 v10, 0x1f800000
	s_mov_b32 s9, 0x800000
	v_mov_b32_e32 v12, 0x4f800000
	s_mov_b32 s12, 0xf800000
	s_waitcnt vmcnt(0)
	v_lshlrev_b32_e32 v8, 16, v8
	v_mul_f32_e32 v9, 0x3fb8aa3b, v8
	v_cmp_gt_f32_e32 vcc, s8, v9
	v_cndmask_b32_e32 v9, 0, v11, vcc
	v_fmac_f32_e32 v9, 0x3fb8aa3b, v8
	v_exp_f32_e32 v9, v9
	v_cndmask_b32_e32 v13, 1.0, v10, vcc
	v_fma_f32 v9, v9, v13, 1.0
	v_cmp_gt_f32_e32 vcc, s9, v9
	v_cndmask_b32_e32 v13, 1.0, v12, vcc
	v_mul_f32_e32 v9, v9, v13
	v_log_f32_e32 v9, v9
	v_mov_b32_e32 v13, 0x42000000
	v_cndmask_b32_e32 v14, 0, v13, vcc
	v_cmp_lt_f32_e32 vcc, s7, v8
	v_sub_f32_e32 v9, v9, v14
	v_mul_f32_e32 v9, 0x3f317218, v9
	v_cndmask_b32_e32 v8, v9, v8, vcc
	v_mul_f32_e32 v9, 0x4f800000, v8
	v_cmp_gt_f32_e32 vcc, s12, v8
	v_cndmask_b32_e32 v8, v8, v9, vcc
	v_sqrt_f32_e32 v9, v8
	v_mov_b32_e32 v14, 0x260
	v_add_u32_e32 v15, -1, v9
	v_add_u32_e32 v16, 1, v9
	v_fma_f32 v17, -v15, v9, v8
	v_fma_f32 v18, -v16, v9, v8
	v_cmp_ge_f32_e64 s[2:3], 0, v17
	v_cndmask_b32_e64 v9, v9, v15, s[2:3]
	v_cmp_lt_f32_e64 s[2:3], 0, v18
	v_cndmask_b32_e64 v9, v9, v16, s[2:3]
	v_mul_f32_e32 v15, 0x37800000, v9
	v_cndmask_b32_e32 v9, v9, v15, vcc
	v_cmp_class_f32_e32 vcc, v8, v14
	v_cndmask_b32_e32 v8, v9, v8, vcc
	s_and_b64 vcc, exec, s[0:1]
	v_mov_b32_e32 v9, v8
	s_cbranch_vccnz .LBB266_6
; %bb.5:
	global_load_ushort v9, v1, s[10:11] offset:256
	s_waitcnt vmcnt(0)
	v_cvt_f32_f16_e32 v9, v9
	v_add_f32_e32 v9, v8, v9
.LBB266_6:
	global_load_ushort v15, v[2:3], off offset:384
	s_waitcnt vmcnt(0)
	v_lshlrev_b32_e32 v15, 16, v15
	v_mul_f32_e32 v16, 0x3fb8aa3b, v15
	v_cmp_gt_f32_e32 vcc, s8, v16
	v_cndmask_b32_e32 v11, 0, v11, vcc
	v_fmac_f32_e32 v11, 0x3fb8aa3b, v15
	v_exp_f32_e32 v11, v11
	v_cndmask_b32_e32 v10, 1.0, v10, vcc
	v_fma_f32 v10, v11, v10, 1.0
	v_cmp_gt_f32_e32 vcc, s9, v10
	v_cndmask_b32_e32 v11, 1.0, v12, vcc
	v_mul_f32_e32 v10, v10, v11
	v_log_f32_e32 v10, v10
	v_cndmask_b32_e32 v11, 0, v13, vcc
	v_cmp_lt_f32_e32 vcc, s7, v15
	v_sub_f32_e32 v10, v10, v11
	v_mul_f32_e32 v10, 0x3f317218, v10
	v_cndmask_b32_e32 v10, v10, v15, vcc
	v_mul_f32_e32 v11, 0x4f800000, v10
	v_cmp_gt_f32_e32 vcc, s12, v10
	v_cndmask_b32_e32 v10, v10, v11, vcc
	v_sqrt_f32_e32 v11, v10
	v_add_u32_e32 v12, -1, v11
	v_add_u32_e32 v13, 1, v11
	v_fma_f32 v15, -v12, v11, v10
	v_fma_f32 v16, -v13, v11, v10
	v_cmp_ge_f32_e64 s[2:3], 0, v15
	v_cndmask_b32_e64 v11, v11, v12, s[2:3]
	v_cmp_lt_f32_e64 s[2:3], 0, v16
	v_cndmask_b32_e64 v11, v11, v13, s[2:3]
	v_mul_f32_e32 v12, 0x37800000, v11
	v_cndmask_b32_e32 v11, v11, v12, vcc
	v_cmp_class_f32_e32 vcc, v10, v14
	v_cndmask_b32_e32 v10, v11, v10, vcc
	s_and_b64 vcc, exec, s[0:1]
	v_mov_b32_e32 v11, v10
	s_cbranch_vccnz .LBB266_8
; %bb.7:
	global_load_ushort v11, v1, s[10:11] offset:384
	s_waitcnt vmcnt(0)
	v_cvt_f32_f16_e32 v11, v11
	v_add_f32_e32 v11, v10, v11
.LBB266_8:
	global_load_ushort v12, v[2:3], off offset:512
	v_mov_b32_e32 v15, 0x42800000
	v_mov_b32_e32 v14, 0x1f800000
	;; [unrolled: 1-line block ×3, first 2 shown]
	s_waitcnt vmcnt(0)
	v_lshlrev_b32_e32 v12, 16, v12
	v_mul_f32_e32 v13, 0x3fb8aa3b, v12
	v_cmp_gt_f32_e32 vcc, s8, v13
	v_cndmask_b32_e32 v13, 0, v15, vcc
	v_fmac_f32_e32 v13, 0x3fb8aa3b, v12
	v_exp_f32_e32 v13, v13
	v_cndmask_b32_e32 v17, 1.0, v14, vcc
	v_fma_f32 v13, v13, v17, 1.0
	v_cmp_gt_f32_e32 vcc, s9, v13
	v_cndmask_b32_e32 v17, 1.0, v16, vcc
	v_mul_f32_e32 v13, v13, v17
	v_log_f32_e32 v13, v13
	v_mov_b32_e32 v17, 0x42000000
	v_cndmask_b32_e32 v18, 0, v17, vcc
	v_cmp_lt_f32_e32 vcc, s7, v12
	v_sub_f32_e32 v13, v13, v18
	v_mul_f32_e32 v13, 0x3f317218, v13
	v_cndmask_b32_e32 v12, v13, v12, vcc
	v_mul_f32_e32 v13, 0x4f800000, v12
	v_cmp_gt_f32_e32 vcc, s12, v12
	v_cndmask_b32_e32 v12, v12, v13, vcc
	v_sqrt_f32_e32 v13, v12
	v_mov_b32_e32 v18, 0x260
	v_add_u32_e32 v19, -1, v13
	v_add_u32_e32 v20, 1, v13
	v_fma_f32 v21, -v19, v13, v12
	v_fma_f32 v22, -v20, v13, v12
	v_cmp_ge_f32_e64 s[2:3], 0, v21
	v_cndmask_b32_e64 v13, v13, v19, s[2:3]
	v_cmp_lt_f32_e64 s[2:3], 0, v22
	v_cndmask_b32_e64 v13, v13, v20, s[2:3]
	v_mul_f32_e32 v19, 0x37800000, v13
	v_cndmask_b32_e32 v13, v13, v19, vcc
	v_cmp_class_f32_e32 vcc, v12, v18
	v_cndmask_b32_e32 v12, v13, v12, vcc
	s_and_b64 vcc, exec, s[0:1]
	v_mov_b32_e32 v13, v12
	s_cbranch_vccnz .LBB266_10
; %bb.9:
	global_load_ushort v13, v1, s[10:11] offset:512
	s_waitcnt vmcnt(0)
	v_cvt_f32_f16_e32 v13, v13
	v_add_f32_e32 v13, v12, v13
.LBB266_10:
	global_load_ushort v2, v[2:3], off offset:640
	s_waitcnt vmcnt(0)
	v_lshlrev_b32_e32 v2, 16, v2
	v_mul_f32_e32 v3, 0x3fb8aa3b, v2
	v_cmp_gt_f32_e32 vcc, s8, v3
	v_cndmask_b32_e32 v3, 0, v15, vcc
	v_fmac_f32_e32 v3, 0x3fb8aa3b, v2
	v_exp_f32_e32 v3, v3
	v_cndmask_b32_e32 v14, 1.0, v14, vcc
	v_fma_f32 v3, v3, v14, 1.0
	v_cmp_gt_f32_e32 vcc, s9, v3
	v_cndmask_b32_e32 v14, 1.0, v16, vcc
	v_mul_f32_e32 v3, v3, v14
	v_log_f32_e32 v3, v3
	v_cndmask_b32_e32 v14, 0, v17, vcc
	v_cmp_lt_f32_e32 vcc, s7, v2
	v_sub_f32_e32 v3, v3, v14
	v_mul_f32_e32 v3, 0x3f317218, v3
	v_cndmask_b32_e32 v2, v3, v2, vcc
	v_mul_f32_e32 v3, 0x4f800000, v2
	v_cmp_gt_f32_e32 vcc, s12, v2
	v_cndmask_b32_e32 v2, v2, v3, vcc
	v_sqrt_f32_e32 v3, v2
	v_add_u32_e32 v14, -1, v3
	v_add_u32_e32 v15, 1, v3
	v_fma_f32 v16, -v14, v3, v2
	v_fma_f32 v17, -v15, v3, v2
	v_cmp_ge_f32_e64 s[2:3], 0, v16
	v_cndmask_b32_e64 v3, v3, v14, s[2:3]
	v_cmp_lt_f32_e64 s[2:3], 0, v17
	v_cndmask_b32_e64 v3, v3, v15, s[2:3]
	v_mul_f32_e32 v14, 0x37800000, v3
	v_cndmask_b32_e32 v3, v3, v14, vcc
	v_cmp_class_f32_e32 vcc, v2, v18
	v_cndmask_b32_e32 v2, v3, v2, vcc
	s_and_b64 vcc, exec, s[0:1]
	v_mov_b32_e32 v3, v2
	s_cbranch_vccnz .LBB266_12
; %bb.11:
	global_load_ushort v1, v1, s[10:11] offset:640
	s_waitcnt vmcnt(0)
	v_cvt_f32_f16_e32 v1, v1
	v_add_f32_e32 v3, v2, v1
.LBB266_12:
	v_add_u32_e32 v1, 64, v0
	v_cmp_lt_f32_e32 vcc, v5, v7
	v_add_u32_e32 v14, 0x80, v0
	v_add_u32_e32 v15, 0xc0, v0
	v_cndmask_b32_e32 v18, v6, v4, vcc
	v_cndmask_b32_e32 v4, v4, v6, vcc
	v_cndmask_b32_e32 v6, v1, v0, vcc
	v_cndmask_b32_e32 v1, v0, v1, vcc
	v_cndmask_b32_e32 v19, v7, v5, vcc
	v_cndmask_b32_e32 v5, v5, v7, vcc
	v_cmp_lt_f32_e32 vcc, v9, v11
	v_add_u32_e32 v16, 0x100, v0
	v_add_u32_e32 v17, 0x140, v0
	v_cndmask_b32_e32 v7, v10, v8, vcc
	v_cndmask_b32_e32 v8, v8, v10, vcc
	v_cndmask_b32_e32 v10, v15, v14, vcc
	v_cndmask_b32_e32 v14, v14, v15, vcc
	v_cndmask_b32_e32 v15, v11, v9, vcc
	v_cndmask_b32_e32 v9, v9, v11, vcc
	v_cmp_lt_f32_e32 vcc, v13, v3
	v_cndmask_b32_e32 v11, v2, v12, vcc
	v_cndmask_b32_e32 v2, v12, v2, vcc
	v_cndmask_b32_e32 v12, v17, v16, vcc
	v_cndmask_b32_e32 v16, v16, v17, vcc
	v_cndmask_b32_e32 v17, v3, v13, vcc
	v_cndmask_b32_e32 v3, v13, v3, vcc
	v_cmp_lt_f32_e32 vcc, v5, v9
	;; [unrolled: 7-line block ×7, first 2 shown]
	v_cndmask_b32_e32 v12, v21, v23, vcc
	v_cmp_lt_f32_e64 s[0:1], v26, v13
	v_cndmask_b32_e32 v5, v22, v9, vcc
	v_cndmask_b32_e32 v8, v9, v22, vcc
	v_cndmask_b32_e32 v7, v11, v20, vcc
	v_cndmask_b32_e64 v18, v1, v24, s[0:1]
	v_cndmask_b32_e64 v14, v3, v25, s[0:1]
	v_cndmask_b32_e64 v17, v13, v26, s[0:1]
	v_cmp_lt_f32_e64 s[2:3], v16, v12
	v_cndmask_b32_e32 v10, v20, v11, vcc
	v_cndmask_b32_e32 v9, v23, v21, vcc
	v_cndmask_b32_e64 v1, v24, v1, s[0:1]
	v_cndmask_b32_e64 v3, v25, v3, s[0:1]
	;; [unrolled: 1-line block ×3, first 2 shown]
	s_and_saveexec_b64 s[0:1], s[2:3]
	s_xor_b64 s[0:1], exec, s[0:1]
; %bb.13:
	v_mov_b32_e32 v13, v19
	v_mov_b32_e32 v20, v15
	;; [unrolled: 1-line block ×3, first 2 shown]
	v_swap_b32 v16, v12
	v_swap_b32 v19, v8
	;; [unrolled: 1-line block ×3, first 2 shown]
; %bb.14:
	s_or_b64 exec, exec, s[0:1]
	s_load_dword s7, s[4:5], 0x28
	s_load_dwordx4 s[16:19], s[4:5], 0x10
	s_waitcnt lgkmcnt(0)
	s_cmp_lt_i32 s7, 1
	s_cbranch_scc1 .LBB266_20
; %bb.15:
	v_cmp_lt_f32_e32 vcc, v17, v16
	v_cndmask_b32_e32 v13, v15, v14, vcc
	v_cndmask_b32_e32 v14, v14, v15, vcc
	;; [unrolled: 1-line block ×6, first 2 shown]
	v_mbcnt_lo_u32_b32 v19, -1, 0
	v_mbcnt_hi_u32_b32 v19, -1, v19
	v_bfrev_b32_e32 v23, 0.5
	v_mov_b32_e32 v21, 0
	v_mov_b32_e32 v20, 0
	;; [unrolled: 1-line block ×3, first 2 shown]
	v_lshl_or_b32 v23, v19, 2, v23
	v_mov_b32_e32 v24, v0
	s_mov_b32 s20, s7
	v_mov_b32_e32 v19, 0
.LBB266_16:                             ; =>This Inner Loop Header: Depth=1
	v_cmp_eq_u32_e32 vcc, 1, v21
	v_cndmask_b32_e32 v25, v6, v11, vcc
	v_cmp_eq_u32_e64 s[0:1], 2, v21
	v_cndmask_b32_e64 v25, v25, v16, s[0:1]
	v_cmp_eq_u32_e64 s[2:3], 3, v21
	v_cndmask_b32_e64 v25, v25, v15, s[2:3]
	;; [unrolled: 2-line block ×4, first 2 shown]
	v_cmp_gt_u32_e64 s[12:13], 6, v21
	v_cndmask_b32_e64 v25, v22, v25, s[12:13]
	;;#ASMSTART
	v_max_f32 v26, v25, v25 quad_perm:[1,0,3,2] row_mask:0xf bank_mask:0xf bound_ctrl:1
	;;#ASMEND
	;;#ASMSTART
	v_max_f32 v27, v26, v26 quad_perm:[2,3,0,1] row_mask:0xf bank_mask:0xf bound_ctrl:1
	;;#ASMEND
	;;#ASMSTART
	v_max_f32 v26, v27, v27 row_half_mirror row_mask:0xf bank_mask:0xf bound_ctrl:1
	;;#ASMEND
	;;#ASMSTART
	v_max_f32 v27, v26, v26 row_mirror row_mask:0xf bank_mask:0xf bound_ctrl:1
	;;#ASMEND
	;;#ASMSTART
	v_max_f32 v26, v27, v27 row_ror:4 row_mask:0xf bank_mask:0xf bound_ctrl:1
	;;#ASMEND
	;;#ASMSTART
	v_max_f32 v27, v26, v26 row_ror:8 row_mask:0xf bank_mask:0xf bound_ctrl:1
	;;#ASMEND
	;;#ASMSTART
	v_max_f32 v26, v27, v27 row_bcast:15 row_mask:0xf bank_mask:0xf bound_ctrl:1
	;;#ASMEND
	;;#ASMSTART
	v_max_f32 v27, v26, v26 row_bcast:31 row_mask:0xf bank_mask:0xf bound_ctrl:1
	;;#ASMEND
	ds_bpermute_b32 v26, v23, v27
	s_waitcnt lgkmcnt(0)
	v_cmp_eq_f32_e64 s[14:15], v25, v26
	v_cndmask_b32_e32 v25, v4, v3, vcc
	v_cndmask_b32_e64 v25, v25, v14, s[0:1]
	v_cndmask_b32_e64 v25, v25, v13, s[2:3]
	;; [unrolled: 1-line block ×4, first 2 shown]
	s_ff1_i32_b64 s21, s[14:15]
	s_cmp_lg_u64 s[14:15], 0
	s_cselect_b32 s14, s21, 0
	v_cndmask_b32_e64 v26, 0, v25, s[12:13]
	v_readlane_b32 s21, v26, s14
	v_cmp_eq_u32_e64 s[14:15], s21, v25
	v_cndmask_b32_e32 v25, v2, v1, vcc
	v_cndmask_b32_e64 v25, v25, v18, s[0:1]
	v_cndmask_b32_e64 v25, v25, v17, s[2:3]
	;; [unrolled: 1-line block ×4, first 2 shown]
	s_and_b64 vcc, s[12:13], s[14:15]
	s_and_b32 s0, s21, 63
	v_cndmask_b32_e32 v25, 0, v25, vcc
	v_readlane_b32 s0, v25, s0
	v_mov_b32_e32 v25, s0
	v_cmp_eq_u32_e64 s[0:1], 0, v24
	v_cndmask_b32_e64 v20, v20, v25, s[0:1]
	v_mov_b32_e32 v25, s21
	s_add_i32 s20, s20, -1
	v_cndmask_b32_e64 v19, v19, v25, s[0:1]
	v_addc_co_u32_e32 v21, vcc, 0, v21, vcc
	s_cmp_eq_u32 s20, 0
	v_add_u32_e32 v24, -1, v24
	s_cbranch_scc0 .LBB266_16
; %bb.17:
	v_cmp_gt_i32_e32 vcc, s7, v0
	s_and_saveexec_b64 s[0:1], vcc
	s_cbranch_execz .LBB266_19
.LBB266_18:
	s_load_dword s2, s[4:5], 0x30
	s_load_dwordx2 s[0:1], s[4:5], 0x20
	s_ashr_i32 s3, s6, 31
	v_lshlrev_b32_e32 v0, 2, v0
	s_waitcnt lgkmcnt(0)
	v_mul_f32_e32 v1, s2, v20
	s_mul_i32 s1, s6, s1
	s_mul_hi_u32 s2, s6, s0
	s_add_i32 s1, s2, s1
	s_mul_i32 s3, s3, s0
	s_add_i32 s1, s1, s3
	s_mul_i32 s0, s6, s0
	s_lshl_b64 s[0:1], s[0:1], 2
	s_add_u32 s2, s16, s0
	s_addc_u32 s3, s17, s1
	s_add_u32 s0, s18, s0
	s_addc_u32 s1, s19, s1
	global_store_dword v0, v1, s[2:3]
	global_store_dword v0, v19, s[0:1]
.LBB266_19:
	s_endpgm
.LBB266_20:
	v_mov_b32_e32 v19, 0
	v_mov_b32_e32 v20, 0
	v_cmp_gt_i32_e32 vcc, s7, v0
	s_and_saveexec_b64 s[0:1], vcc
	s_cbranch_execnz .LBB266_18
	s_branch .LBB266_19
	.section	.rodata,"a",@progbits
	.p2align	6, 0x0
	.amdhsa_kernel _ZN5aiter24topk_softplus_kernel_optI12hip_bfloat166__halfLi384ELb0ELi0EEEvPKT_PKT0_PfPimiif
		.amdhsa_group_segment_fixed_size 0
		.amdhsa_private_segment_fixed_size 0
		.amdhsa_kernarg_size 52
		.amdhsa_user_sgpr_count 6
		.amdhsa_user_sgpr_private_segment_buffer 1
		.amdhsa_user_sgpr_dispatch_ptr 0
		.amdhsa_user_sgpr_queue_ptr 0
		.amdhsa_user_sgpr_kernarg_segment_ptr 1
		.amdhsa_user_sgpr_dispatch_id 0
		.amdhsa_user_sgpr_flat_scratch_init 0
		.amdhsa_user_sgpr_kernarg_preload_length 0
		.amdhsa_user_sgpr_kernarg_preload_offset 0
		.amdhsa_user_sgpr_private_segment_size 0
		.amdhsa_uses_dynamic_stack 0
		.amdhsa_system_sgpr_private_segment_wavefront_offset 0
		.amdhsa_system_sgpr_workgroup_id_x 1
		.amdhsa_system_sgpr_workgroup_id_y 0
		.amdhsa_system_sgpr_workgroup_id_z 0
		.amdhsa_system_sgpr_workgroup_info 0
		.amdhsa_system_vgpr_workitem_id 0
		.amdhsa_next_free_vgpr 28
		.amdhsa_next_free_sgpr 22
		.amdhsa_accum_offset 28
		.amdhsa_reserve_vcc 1
		.amdhsa_reserve_flat_scratch 0
		.amdhsa_float_round_mode_32 0
		.amdhsa_float_round_mode_16_64 0
		.amdhsa_float_denorm_mode_32 3
		.amdhsa_float_denorm_mode_16_64 3
		.amdhsa_dx10_clamp 1
		.amdhsa_ieee_mode 1
		.amdhsa_fp16_overflow 0
		.amdhsa_tg_split 0
		.amdhsa_exception_fp_ieee_invalid_op 0
		.amdhsa_exception_fp_denorm_src 0
		.amdhsa_exception_fp_ieee_div_zero 0
		.amdhsa_exception_fp_ieee_overflow 0
		.amdhsa_exception_fp_ieee_underflow 0
		.amdhsa_exception_fp_ieee_inexact 0
		.amdhsa_exception_int_div_zero 0
	.end_amdhsa_kernel
	.section	.text._ZN5aiter24topk_softplus_kernel_optI12hip_bfloat166__halfLi384ELb0ELi0EEEvPKT_PKT0_PfPimiif,"axG",@progbits,_ZN5aiter24topk_softplus_kernel_optI12hip_bfloat166__halfLi384ELb0ELi0EEEvPKT_PKT0_PfPimiif,comdat
.Lfunc_end266:
	.size	_ZN5aiter24topk_softplus_kernel_optI12hip_bfloat166__halfLi384ELb0ELi0EEEvPKT_PKT0_PfPimiif, .Lfunc_end266-_ZN5aiter24topk_softplus_kernel_optI12hip_bfloat166__halfLi384ELb0ELi0EEEvPKT_PKT0_PfPimiif
                                        ; -- End function
	.section	.AMDGPU.csdata,"",@progbits
; Kernel info:
; codeLenInByte = 2592
; NumSgprs: 26
; NumVgprs: 28
; NumAgprs: 0
; TotalNumVgprs: 28
; ScratchSize: 0
; MemoryBound: 0
; FloatMode: 240
; IeeeMode: 1
; LDSByteSize: 0 bytes/workgroup (compile time only)
; SGPRBlocks: 3
; VGPRBlocks: 3
; NumSGPRsForWavesPerEU: 26
; NumVGPRsForWavesPerEU: 28
; AccumOffset: 28
; Occupancy: 8
; WaveLimiterHint : 0
; COMPUTE_PGM_RSRC2:SCRATCH_EN: 0
; COMPUTE_PGM_RSRC2:USER_SGPR: 6
; COMPUTE_PGM_RSRC2:TRAP_HANDLER: 0
; COMPUTE_PGM_RSRC2:TGID_X_EN: 1
; COMPUTE_PGM_RSRC2:TGID_Y_EN: 0
; COMPUTE_PGM_RSRC2:TGID_Z_EN: 0
; COMPUTE_PGM_RSRC2:TIDIG_COMP_CNT: 0
; COMPUTE_PGM_RSRC3_GFX90A:ACCUM_OFFSET: 6
; COMPUTE_PGM_RSRC3_GFX90A:TG_SPLIT: 0
	.section	.text._ZN5aiter20topk_softplus_kernelI12hip_bfloat166__halfDv4_fLb1ELi0EEEvPKT_PKT0_PfPimiiif,"axG",@progbits,_ZN5aiter20topk_softplus_kernelI12hip_bfloat166__halfDv4_fLb1ELi0EEEvPKT_PKT0_PfPimiiif,comdat
	.protected	_ZN5aiter20topk_softplus_kernelI12hip_bfloat166__halfDv4_fLb1ELi0EEEvPKT_PKT0_PfPimiiif ; -- Begin function _ZN5aiter20topk_softplus_kernelI12hip_bfloat166__halfDv4_fLb1ELi0EEEvPKT_PKT0_PfPimiiif
	.globl	_ZN5aiter20topk_softplus_kernelI12hip_bfloat166__halfDv4_fLb1ELi0EEEvPKT_PKT0_PfPimiiif
	.p2align	8
	.type	_ZN5aiter20topk_softplus_kernelI12hip_bfloat166__halfDv4_fLb1ELi0EEEvPKT_PKT0_PfPimiiif,@function
_ZN5aiter20topk_softplus_kernelI12hip_bfloat166__halfDv4_fLb1ELi0EEEvPKT_PKT0_PfPimiiif: ; @_ZN5aiter20topk_softplus_kernelI12hip_bfloat166__halfDv4_fLb1ELi0EEEvPKT_PKT0_PfPimiiif
; %bb.0:
	s_load_dwordx2 s[20:21], s[4:5], 0x28
	s_load_dwordx8 s[12:19], s[4:5], 0x0
	v_lshlrev_b32_e32 v1, 2, v0
	v_lshl_add_u32 v12, v0, 4, 0
	s_waitcnt lgkmcnt(0)
	s_ashr_i32 s0, s20, 31
	s_lshr_b32 s0, s0, 30
	s_add_i32 s0, s20, s0
	s_mul_i32 s22, s6, s20
	s_ashr_i32 s7, s0, 2
	s_ashr_i32 s23, s22, 31
	v_cmp_gt_i32_e64 s[0:1], s7, v0
	s_and_saveexec_b64 s[24:25], s[0:1]
	s_cbranch_execz .LBB267_11
; %bb.1:
	s_load_dword s8, s[4:5], 0x44
	s_cmp_lg_u64 s[14:15], 0
	s_cselect_b64 s[2:3], -1, 0
	v_lshlrev_b32_e32 v2, 3, v0
	s_mov_b64 s[26:27], 0
	s_waitcnt lgkmcnt(0)
	s_and_b32 s28, s8, 0xffff
	s_add_u32 s29, s14, 2
	s_addc_u32 s30, s15, 0
	s_add_u32 s31, s14, 4
	s_addc_u32 s33, s15, 0
	;; [unrolled: 2-line block ×3, first 2 shown]
	s_lshl_b64 s[8:9], s[22:23], 1
	s_add_u32 s8, s12, s8
	s_addc_u32 s9, s13, s9
	v_mov_b32_e32 v3, s9
	v_add_co_u32_e32 v6, vcc, s8, v2
	v_cndmask_b32_e64 v2, 0, 1, s[2:3]
	s_mov_b32 s36, 0
	v_addc_co_u32_e32 v7, vcc, 0, v3, vcc
	s_lshl_b32 s37, s28, 3
	v_lshlrev_b32_e32 v8, 2, v0
	s_lshl_b32 s38, s28, 2
	v_lshl_add_u32 v13, v0, 4, 0
	s_lshl_b32 s39, s28, 4
	v_mov_b32_e32 v9, 0
	s_mov_b32 s40, 0xc2fc0000
	v_mov_b32_e32 v14, 0x42800000
	v_mov_b32_e32 v15, 0x1f800000
	s_mov_b32 s41, 0x800000
	v_mov_b32_e32 v16, 0x4f800000
	;; [unrolled: 3-line block ×3, first 2 shown]
	v_cmp_ne_u32_e64 s[2:3], 1, v2
	v_mov_b32_e32 v19, 20
	v_mov_b32_e32 v20, v0
	s_branch .LBB267_3
.LBB267_2:                              ;   in Loop: Header=BB267_3 Depth=1
	ds_write_b128 v13, v[2:5]
	v_mov_b32_e32 v2, s36
	v_add_co_u32_e32 v6, vcc, s37, v6
	v_add_u32_e32 v20, s28, v20
	v_addc_co_u32_e32 v7, vcc, v7, v2, vcc
	v_cmp_le_i32_e32 vcc, s7, v20
	v_add_u32_e32 v8, s38, v8
	s_or_b64 s[26:27], vcc, s[26:27]
	v_add_u32_e32 v13, s39, v13
	s_andn2_b64 exec, exec, s[26:27]
	s_cbranch_execz .LBB267_11
.LBB267_3:                              ; =>This Inner Loop Header: Depth=1
	global_load_dwordx2 v[4:5], v[6:7], off
	s_waitcnt vmcnt(0)
	v_cvt_f32_u32_sdwa v2, v4 dst_sel:DWORD dst_unused:UNUSED_PAD src0_sel:WORD_0
	v_mul_f32_e32 v3, 0x3fb8aa3b, v2
	v_cmp_gt_f32_e32 vcc, s40, v3
	v_cndmask_b32_e32 v3, 0, v14, vcc
	v_fmac_f32_e32 v3, 0x3fb8aa3b, v2
	v_exp_f32_e32 v3, v3
	v_cndmask_b32_e32 v10, 1.0, v15, vcc
	v_fma_f32 v3, v3, v10, 1.0
	v_cmp_gt_f32_e32 vcc, s41, v3
	v_cndmask_b32_e32 v10, 1.0, v16, vcc
	v_mul_f32_e32 v3, v3, v10
	v_log_f32_e32 v3, v3
	v_cndmask_b32_e32 v10, 0, v17, vcc
	v_cmp_lt_u16_e32 vcc, 20, v4
	v_sub_f32_e32 v3, v3, v10
	v_mul_f32_e32 v3, 0x3f317218, v3
	v_cndmask_b32_e32 v2, v3, v2, vcc
	v_mul_f32_e32 v3, 0x4f800000, v2
	v_cmp_gt_f32_e64 s[8:9], s42, v2
	v_cndmask_b32_e64 v2, v2, v3, s[8:9]
	v_sqrt_f32_e32 v3, v2
	s_and_b64 vcc, exec, s[2:3]
	v_add_u32_e32 v10, -1, v3
	v_add_u32_e32 v11, 1, v3
	v_fma_f32 v21, -v10, v3, v2
	v_fma_f32 v22, -v11, v3, v2
	v_cmp_ge_f32_e64 s[10:11], 0, v21
	v_cndmask_b32_e64 v3, v3, v10, s[10:11]
	v_cmp_lt_f32_e64 s[10:11], 0, v22
	v_cndmask_b32_e64 v3, v3, v11, s[10:11]
	v_mul_f32_e32 v10, 0x37800000, v3
	v_cndmask_b32_e64 v3, v3, v10, s[8:9]
	v_cmp_class_f32_e64 s[8:9], v2, v18
	v_cndmask_b32_e64 v2, v3, v2, s[8:9]
	v_lshlrev_b64 v[10:11], 1, v[8:9]
	s_cbranch_vccnz .LBB267_5
; %bb.4:                                ;   in Loop: Header=BB267_3 Depth=1
	v_mov_b32_e32 v3, s15
	v_add_co_u32_e32 v22, vcc, s14, v10
	v_addc_co_u32_e32 v23, vcc, v3, v11, vcc
	global_load_ushort v3, v[22:23], off
	s_waitcnt vmcnt(0)
	v_cvt_f32_f16_e32 v3, v3
	v_add_f32_e32 v2, v2, v3
.LBB267_5:                              ;   in Loop: Header=BB267_3 Depth=1
	v_cvt_f32_u32_sdwa v3, v4 dst_sel:DWORD dst_unused:UNUSED_PAD src0_sel:WORD_1
	v_mul_f32_e32 v21, 0x3fb8aa3b, v3
	v_cmp_gt_f32_e32 vcc, s40, v21
	v_cndmask_b32_e32 v21, 0, v14, vcc
	v_fmac_f32_e32 v21, 0x3fb8aa3b, v3
	v_exp_f32_e32 v21, v21
	v_cndmask_b32_e32 v22, 1.0, v15, vcc
	v_fma_f32 v21, v21, v22, 1.0
	v_cmp_gt_f32_e32 vcc, s41, v21
	v_cndmask_b32_e32 v22, 1.0, v16, vcc
	v_mul_f32_e32 v21, v21, v22
	v_log_f32_e32 v21, v21
	v_cndmask_b32_e32 v22, 0, v17, vcc
	v_cmp_gt_u16_sdwa vcc, v4, v19 src0_sel:WORD_1 src1_sel:DWORD
	v_sub_f32_e32 v21, v21, v22
	v_mul_f32_e32 v21, 0x3f317218, v21
	v_cndmask_b32_e32 v3, v21, v3, vcc
	v_mul_f32_e32 v4, 0x4f800000, v3
	v_cmp_gt_f32_e64 s[8:9], s42, v3
	v_cndmask_b32_e64 v3, v3, v4, s[8:9]
	v_sqrt_f32_e32 v4, v3
	s_and_b64 vcc, exec, s[2:3]
	v_add_u32_e32 v21, -1, v4
	v_add_u32_e32 v22, 1, v4
	v_fma_f32 v23, -v21, v4, v3
	v_fma_f32 v24, -v22, v4, v3
	v_cmp_ge_f32_e64 s[10:11], 0, v23
	v_cndmask_b32_e64 v4, v4, v21, s[10:11]
	v_cmp_lt_f32_e64 s[10:11], 0, v24
	v_cndmask_b32_e64 v4, v4, v22, s[10:11]
	v_mul_f32_e32 v21, 0x37800000, v4
	v_cndmask_b32_e64 v4, v4, v21, s[8:9]
	v_cmp_class_f32_e64 s[8:9], v3, v18
	v_cndmask_b32_e64 v3, v4, v3, s[8:9]
	s_cbranch_vccnz .LBB267_7
; %bb.6:                                ;   in Loop: Header=BB267_3 Depth=1
	v_mov_b32_e32 v4, s30
	v_add_co_u32_e32 v22, vcc, s29, v10
	v_addc_co_u32_e32 v23, vcc, v4, v11, vcc
	global_load_ushort v4, v[22:23], off
	s_waitcnt vmcnt(0)
	v_cvt_f32_f16_e32 v4, v4
	v_add_f32_e32 v3, v3, v4
.LBB267_7:                              ;   in Loop: Header=BB267_3 Depth=1
	v_cvt_f32_u32_sdwa v4, v5 dst_sel:DWORD dst_unused:UNUSED_PAD src0_sel:WORD_0
	v_mul_f32_e32 v21, 0x3fb8aa3b, v4
	v_cmp_gt_f32_e32 vcc, s40, v21
	v_cndmask_b32_e32 v21, 0, v14, vcc
	v_fmac_f32_e32 v21, 0x3fb8aa3b, v4
	v_exp_f32_e32 v21, v21
	v_cndmask_b32_e32 v22, 1.0, v15, vcc
	v_fma_f32 v21, v21, v22, 1.0
	v_cmp_gt_f32_e32 vcc, s41, v21
	v_cndmask_b32_e32 v22, 1.0, v16, vcc
	v_mul_f32_e32 v21, v21, v22
	v_log_f32_e32 v21, v21
	v_cndmask_b32_e32 v22, 0, v17, vcc
	v_cmp_lt_u16_e32 vcc, 20, v5
	v_sub_f32_e32 v21, v21, v22
	v_mul_f32_e32 v21, 0x3f317218, v21
	v_cndmask_b32_e32 v4, v21, v4, vcc
	v_mul_f32_e32 v21, 0x4f800000, v4
	v_cmp_gt_f32_e64 s[8:9], s42, v4
	v_cndmask_b32_e64 v4, v4, v21, s[8:9]
	v_sqrt_f32_e32 v21, v4
	s_and_b64 vcc, exec, s[2:3]
	v_add_u32_e32 v22, -1, v21
	v_add_u32_e32 v23, 1, v21
	v_fma_f32 v24, -v22, v21, v4
	v_fma_f32 v25, -v23, v21, v4
	v_cmp_ge_f32_e64 s[10:11], 0, v24
	v_cndmask_b32_e64 v21, v21, v22, s[10:11]
	v_cmp_lt_f32_e64 s[10:11], 0, v25
	v_cndmask_b32_e64 v21, v21, v23, s[10:11]
	v_mul_f32_e32 v22, 0x37800000, v21
	v_cndmask_b32_e64 v21, v21, v22, s[8:9]
	v_cmp_class_f32_e64 s[8:9], v4, v18
	v_cndmask_b32_e64 v4, v21, v4, s[8:9]
	s_cbranch_vccnz .LBB267_9
; %bb.8:                                ;   in Loop: Header=BB267_3 Depth=1
	v_mov_b32_e32 v21, s33
	v_add_co_u32_e32 v22, vcc, s31, v10
	v_addc_co_u32_e32 v23, vcc, v21, v11, vcc
	global_load_ushort v21, v[22:23], off
	s_waitcnt vmcnt(0)
	v_cvt_f32_f16_e32 v21, v21
	v_add_f32_e32 v4, v4, v21
.LBB267_9:                              ;   in Loop: Header=BB267_3 Depth=1
	v_cvt_f32_u32_sdwa v21, v5 dst_sel:DWORD dst_unused:UNUSED_PAD src0_sel:WORD_1
	v_mul_f32_e32 v22, 0x3fb8aa3b, v21
	v_cmp_gt_f32_e32 vcc, s40, v22
	v_cndmask_b32_e32 v22, 0, v14, vcc
	v_fmac_f32_e32 v22, 0x3fb8aa3b, v21
	v_exp_f32_e32 v22, v22
	v_cndmask_b32_e32 v23, 1.0, v15, vcc
	v_fma_f32 v22, v22, v23, 1.0
	v_cmp_gt_f32_e32 vcc, s41, v22
	v_cndmask_b32_e32 v23, 1.0, v16, vcc
	v_mul_f32_e32 v22, v22, v23
	v_log_f32_e32 v22, v22
	v_cndmask_b32_e32 v23, 0, v17, vcc
	v_cmp_gt_u16_sdwa vcc, v5, v19 src0_sel:WORD_1 src1_sel:DWORD
	v_sub_f32_e32 v22, v22, v23
	v_mul_f32_e32 v22, 0x3f317218, v22
	v_cndmask_b32_e32 v5, v22, v21, vcc
	v_mul_f32_e32 v21, 0x4f800000, v5
	v_cmp_gt_f32_e64 s[8:9], s42, v5
	v_cndmask_b32_e64 v5, v5, v21, s[8:9]
	v_sqrt_f32_e32 v21, v5
	s_and_b64 vcc, exec, s[2:3]
	v_add_u32_e32 v22, -1, v21
	v_add_u32_e32 v23, 1, v21
	v_fma_f32 v24, -v22, v21, v5
	v_fma_f32 v25, -v23, v21, v5
	v_cmp_ge_f32_e64 s[10:11], 0, v24
	v_cndmask_b32_e64 v21, v21, v22, s[10:11]
	v_cmp_lt_f32_e64 s[10:11], 0, v25
	v_cndmask_b32_e64 v21, v21, v23, s[10:11]
	v_mul_f32_e32 v22, 0x37800000, v21
	v_cndmask_b32_e64 v21, v21, v22, s[8:9]
	v_cmp_class_f32_e64 s[8:9], v5, v18
	v_cndmask_b32_e64 v5, v21, v5, s[8:9]
	s_cbranch_vccnz .LBB267_2
; %bb.10:                               ;   in Loop: Header=BB267_3 Depth=1
	v_mov_b32_e32 v21, s35
	v_add_co_u32_e32 v10, vcc, s34, v10
	v_addc_co_u32_e32 v11, vcc, v21, v11, vcc
	global_load_ushort v10, v[10:11], off
	s_waitcnt vmcnt(0)
	v_cvt_f32_f16_e32 v10, v10
	v_add_f32_e32 v5, v5, v10
	s_branch .LBB267_2
.LBB267_11:
	s_or_b64 exec, exec, s[24:25]
	v_lshl_add_u32 v2, s7, 2, v0
	v_cmp_gt_i32_e32 vcc, s20, v2
	s_and_saveexec_b64 s[10:11], vcc
	s_cbranch_execz .LBB267_16
; %bb.12:
	s_load_dword s8, s[4:5], 0x44
	s_lshl_b64 s[2:3], s[22:23], 1
	s_add_u32 s22, s12, s2
	s_addc_u32 s9, s13, s3
	s_cmp_lg_u64 s[14:15], 0
	s_cselect_b64 s[2:3], -1, 0
	s_waitcnt lgkmcnt(0)
	s_and_b32 s23, s8, 0xffff
	s_lshl_b32 s8, s7, 4
	s_add_i32 s8, s8, 0
	v_cndmask_b32_e64 v3, 0, 1, s[2:3]
	s_mov_b64 s[12:13], 0
	v_lshl_add_u32 v6, v0, 2, s8
	s_lshl_b32 s24, s23, 2
	v_mov_b32_e32 v7, s9
	s_mov_b32 s25, 0x41a00000
	s_mov_b32 s26, 0xc2fc0000
	v_mov_b32_e32 v8, 0x42800000
	v_mov_b32_e32 v9, 0x1f800000
	s_mov_b32 s27, 0x800000
	v_mov_b32_e32 v10, 0x4f800000
	v_mov_b32_e32 v11, 0x42000000
	s_mov_b32 s28, 0xf800000
	v_mov_b32_e32 v13, 0x260
	v_cmp_ne_u32_e64 s[2:3], 1, v3
	s_branch .LBB267_14
.LBB267_13:                             ;   in Loop: Header=BB267_14 Depth=1
	v_add_u32_e32 v2, s23, v2
	v_cmp_le_i32_e32 vcc, s20, v2
	s_or_b64 s[12:13], vcc, s[12:13]
	v_add_u32_e32 v6, s24, v6
	s_andn2_b64 exec, exec, s[12:13]
	s_cbranch_execz .LBB267_16
.LBB267_14:                             ; =>This Inner Loop Header: Depth=1
	v_ashrrev_i32_e32 v3, 31, v2
	v_lshlrev_b64 v[4:5], 1, v[2:3]
	v_add_co_u32_e32 v14, vcc, s22, v4
	v_addc_co_u32_e32 v15, vcc, v7, v5, vcc
	global_load_ushort v3, v[14:15], off
	s_waitcnt vmcnt(0)
	v_lshlrev_b32_e32 v3, 16, v3
	v_mul_f32_e32 v14, 0x3fb8aa3b, v3
	v_cmp_gt_f32_e32 vcc, s26, v14
	v_cndmask_b32_e32 v14, 0, v8, vcc
	v_fmac_f32_e32 v14, 0x3fb8aa3b, v3
	v_exp_f32_e32 v14, v14
	v_cndmask_b32_e32 v15, 1.0, v9, vcc
	v_fma_f32 v14, v14, v15, 1.0
	v_cmp_gt_f32_e32 vcc, s27, v14
	v_cndmask_b32_e32 v15, 1.0, v10, vcc
	v_mul_f32_e32 v14, v14, v15
	v_log_f32_e32 v14, v14
	v_cndmask_b32_e32 v15, 0, v11, vcc
	v_cmp_lt_f32_e32 vcc, s25, v3
	v_sub_f32_e32 v14, v14, v15
	v_mul_f32_e32 v14, 0x3f317218, v14
	v_cndmask_b32_e32 v3, v14, v3, vcc
	v_mul_f32_e32 v14, 0x4f800000, v3
	v_cmp_gt_f32_e32 vcc, s28, v3
	v_cndmask_b32_e32 v3, v3, v14, vcc
	v_sqrt_f32_e32 v14, v3
	v_add_u32_e32 v15, -1, v14
	v_add_u32_e32 v16, 1, v14
	v_fma_f32 v17, -v15, v14, v3
	v_fma_f32 v18, -v16, v14, v3
	v_cmp_ge_f32_e64 s[8:9], 0, v17
	v_cndmask_b32_e64 v14, v14, v15, s[8:9]
	v_cmp_lt_f32_e64 s[8:9], 0, v18
	v_cndmask_b32_e64 v14, v14, v16, s[8:9]
	v_mul_f32_e32 v15, 0x37800000, v14
	v_cndmask_b32_e32 v14, v14, v15, vcc
	v_cmp_class_f32_e32 vcc, v3, v13
	v_cndmask_b32_e32 v3, v14, v3, vcc
	s_and_b64 vcc, exec, s[2:3]
	ds_write_b32 v6, v3
	s_cbranch_vccnz .LBB267_13
; %bb.15:                               ;   in Loop: Header=BB267_14 Depth=1
	v_mov_b32_e32 v14, s15
	v_add_co_u32_e32 v4, vcc, s14, v4
	v_addc_co_u32_e32 v5, vcc, v14, v5, vcc
	global_load_ushort v4, v[4:5], off
	s_waitcnt vmcnt(0)
	v_cvt_f32_f16_e32 v4, v4
	v_add_f32_e32 v3, v3, v4
	ds_write_b32 v6, v3
	s_branch .LBB267_13
.LBB267_16:
	s_or_b64 exec, exec, s[10:11]
	s_cmp_lt_i32 s21, 1
	v_mov_b32_e32 v3, 0
	s_waitcnt lgkmcnt(0)
	s_barrier
	s_cbranch_scc1 .LBB267_25
; %bb.17:
	s_add_u32 s2, s4, 56
	s_addc_u32 s3, s5, 0
	v_mbcnt_lo_u32_b32 v2, -1, 0
	s_cmp_lg_u64 s[14:15], 0
	v_mbcnt_hi_u32_b32 v2, -1, v2
	v_bfrev_b32_e32 v4, 0.5
	s_cselect_b64 s[8:9], -1, 0
	s_mov_b32 s20, 0
	v_mov_b32_e32 v3, 0
	v_lshl_or_b32 v5, v2, 2, v4
	v_mov_b32_e32 v6, 0
	v_mov_b32_e32 v7, 0xff800000
	;; [unrolled: 1-line block ×4, first 2 shown]
	s_branch .LBB267_19
.LBB267_18:                             ;   in Loop: Header=BB267_19 Depth=1
	s_lshl_b32 s11, s10, 2
	s_add_i32 s11, s11, 0
	v_mov_b32_e32 v8, s11
	ds_write_b32 v8, v7
	v_mov_b32_e32 v8, s10
	v_cmp_eq_u32_e32 vcc, s20, v0
	s_add_i32 s20, s20, 1
	v_cndmask_b32_e32 v2, v2, v8, vcc
	v_cndmask_b32_e32 v3, v3, v10, vcc
	s_cmp_eq_u32 s20, s21
	v_add_f32_e32 v4, v4, v10
	s_cbranch_scc1 .LBB267_26
.LBB267_19:                             ; =>This Loop Header: Depth=1
                                        ;     Child Loop BB267_21 Depth 2
	v_mov_b32_e32 v8, s20
	v_mov_b32_e32 v9, 0xff800000
	s_and_saveexec_b64 s[10:11], s[0:1]
	s_cbranch_execz .LBB267_23
; %bb.20:                               ;   in Loop: Header=BB267_19 Depth=1
	s_load_dword s22, s[2:3], 0xc
	s_mov_b64 s[12:13], 0
	v_mov_b32_e32 v8, s20
	v_mov_b32_e32 v9, 0xff800000
	v_mov_b32_e32 v10, v12
	s_waitcnt lgkmcnt(0)
	s_and_b32 s22, s22, 0xffff
	s_lshl_b32 s23, s22, 2
	s_lshl_b32 s24, s22, 4
	v_mov_b32_e32 v11, v1
	v_mov_b32_e32 v13, v0
.LBB267_21:                             ;   Parent Loop BB267_19 Depth=1
                                        ; =>  This Inner Loop Header: Depth=2
	ds_read_b128 v[14:17], v10
	v_add_u32_e32 v13, s22, v13
	v_cmp_le_i32_e32 vcc, s7, v13
	s_or_b64 s[12:13], vcc, s[12:13]
	v_add_u32_e32 v18, 1, v11
	s_waitcnt lgkmcnt(0)
	v_cmp_gt_f32_e32 vcc, v14, v9
	v_cndmask_b32_e32 v9, v9, v14, vcc
	v_cndmask_b32_e32 v8, v8, v11, vcc
	v_cmp_gt_f32_e32 vcc, v15, v9
	v_cndmask_b32_e32 v9, v9, v15, vcc
	v_cndmask_b32_e32 v8, v8, v18, vcc
	v_cmp_gt_f32_e32 vcc, v16, v9
	v_add_u32_e32 v19, 2, v11
	v_cndmask_b32_e32 v9, v9, v16, vcc
	v_add_u32_e32 v20, 3, v11
	v_cndmask_b32_e32 v8, v8, v19, vcc
	v_cmp_gt_f32_e32 vcc, v17, v9
	v_add_u32_e32 v10, s24, v10
	v_add_u32_e32 v11, s23, v11
	v_cndmask_b32_e32 v9, v9, v17, vcc
	v_cndmask_b32_e32 v8, v8, v20, vcc
	s_andn2_b64 exec, exec, s[12:13]
	s_cbranch_execnz .LBB267_21
; %bb.22:                               ;   in Loop: Header=BB267_19 Depth=1
	s_or_b64 exec, exec, s[12:13]
.LBB267_23:                             ;   in Loop: Header=BB267_19 Depth=1
	s_or_b64 exec, exec, s[10:11]
	;;#ASMSTART
	v_max_f32 v10, v9, v9 quad_perm:[1,0,3,2] row_mask:0xf bank_mask:0xf bound_ctrl:1
	;;#ASMEND
	;;#ASMSTART
	v_max_f32 v11, v10, v10 quad_perm:[2,3,0,1] row_mask:0xf bank_mask:0xf bound_ctrl:1
	;;#ASMEND
	;;#ASMSTART
	v_max_f32 v10, v11, v11 row_half_mirror row_mask:0xf bank_mask:0xf bound_ctrl:1
	;;#ASMEND
	;;#ASMSTART
	v_max_f32 v11, v10, v10 row_mirror row_mask:0xf bank_mask:0xf bound_ctrl:1
	;;#ASMEND
	;;#ASMSTART
	v_max_f32 v10, v11, v11 row_ror:4 row_mask:0xf bank_mask:0xf bound_ctrl:1
	;;#ASMEND
	;;#ASMSTART
	v_max_f32 v11, v10, v10 row_ror:8 row_mask:0xf bank_mask:0xf bound_ctrl:1
	;;#ASMEND
	;;#ASMSTART
	v_max_f32 v10, v11, v11 row_bcast:15 row_mask:0xf bank_mask:0xf bound_ctrl:1
	;;#ASMEND
	;;#ASMSTART
	v_max_f32 v11, v10, v10 row_bcast:31 row_mask:0xf bank_mask:0xf bound_ctrl:1
	;;#ASMEND
	ds_bpermute_b32 v10, v5, v11
	s_waitcnt lgkmcnt(0)
	v_cmp_eq_f32_e32 vcc, v9, v10
	s_ff1_i32_b64 s10, vcc
	s_cmp_lg_u64 vcc, 0
	s_cselect_b32 s10, s10, 0
	s_and_b64 vcc, exec, s[8:9]
	v_readlane_b32 s10, v8, s10
	s_cbranch_vccz .LBB267_18
; %bb.24:                               ;   in Loop: Header=BB267_19 Depth=1
	s_ashr_i32 s11, s10, 31
	s_lshl_b64 s[12:13], s[10:11], 1
	s_add_u32 s12, s14, s12
	s_addc_u32 s13, s15, s13
	global_load_ushort v8, v6, s[12:13]
	s_waitcnt vmcnt(0)
	v_cvt_f32_f16_e32 v8, v8
	v_sub_f32_e32 v10, v10, v8
	s_branch .LBB267_18
.LBB267_25:
	v_mov_b32_e32 v2, 0
	v_mov_b32_e32 v4, 0
.LBB267_26:
	v_cmp_gt_i32_e32 vcc, s21, v0
	s_and_saveexec_b64 s[0:1], vcc
	s_cbranch_execz .LBB267_29
; %bb.27:
	s_load_dword s2, s[4:5], 0x34
	v_max_f32_e32 v1, v4, v4
	v_max_f32_e32 v1, 0x1e3ce508, v1
	s_load_dword s3, s[4:5], 0x44
	s_waitcnt lgkmcnt(0)
	v_div_scale_f32 v4, s[0:1], v1, v1, s2
	s_load_dwordx2 s[0:1], s[4:5], 0x20
	v_rcp_f32_e32 v5, v4
	v_div_scale_f32 v6, vcc, s2, v1, s2
	s_and_b32 s3, s3, 0xffff
	v_fma_f32 v7, -v4, v5, 1.0
	v_fmac_f32_e32 v5, v7, v5
	v_mul_f32_e32 v7, v6, v5
	v_fma_f32 v8, -v4, v7, v6
	v_fmac_f32_e32 v7, v8, v5
	v_fma_f32 v4, -v4, v7, v6
	v_div_fmas_f32 v4, v4, v5, v7
	v_div_fixup_f32 v1, v4, v1, s2
	s_ashr_i32 s2, s6, 31
	s_waitcnt lgkmcnt(0)
	s_mul_i32 s1, s6, s1
	s_mul_hi_u32 s4, s6, s0
	s_add_i32 s1, s4, s1
	s_mul_i32 s2, s2, s0
	s_add_i32 s4, s1, s2
	v_mul_f32_e32 v1, v3, v1
	s_mul_i32 s2, s6, s0
	s_mov_b64 s[0:1], 0
	v_mov_b32_e32 v3, s4
	v_mov_b32_e32 v4, s17
	;; [unrolled: 1-line block ×3, first 2 shown]
.LBB267_28:                             ; =>This Inner Loop Header: Depth=1
	v_ashrrev_i32_e32 v7, 31, v0
	v_add_co_u32_e32 v6, vcc, s2, v0
	v_addc_co_u32_e32 v7, vcc, v3, v7, vcc
	v_add_u32_e32 v0, s3, v0
	v_cmp_le_i32_e32 vcc, s21, v0
	v_lshlrev_b64 v[6:7], 2, v[6:7]
	s_or_b64 s[0:1], vcc, s[0:1]
	v_add_co_u32_e32 v8, vcc, s16, v6
	v_addc_co_u32_e32 v9, vcc, v4, v7, vcc
	v_add_co_u32_e32 v6, vcc, s18, v6
	v_addc_co_u32_e32 v7, vcc, v5, v7, vcc
	global_store_dword v[8:9], v1, off
	global_store_dword v[6:7], v2, off
	s_andn2_b64 exec, exec, s[0:1]
	s_cbranch_execnz .LBB267_28
.LBB267_29:
	s_endpgm
	.section	.rodata,"a",@progbits
	.p2align	6, 0x0
	.amdhsa_kernel _ZN5aiter20topk_softplus_kernelI12hip_bfloat166__halfDv4_fLb1ELi0EEEvPKT_PKT0_PfPimiiif
		.amdhsa_group_segment_fixed_size 0
		.amdhsa_private_segment_fixed_size 0
		.amdhsa_kernarg_size 312
		.amdhsa_user_sgpr_count 6
		.amdhsa_user_sgpr_private_segment_buffer 1
		.amdhsa_user_sgpr_dispatch_ptr 0
		.amdhsa_user_sgpr_queue_ptr 0
		.amdhsa_user_sgpr_kernarg_segment_ptr 1
		.amdhsa_user_sgpr_dispatch_id 0
		.amdhsa_user_sgpr_flat_scratch_init 0
		.amdhsa_user_sgpr_kernarg_preload_length 0
		.amdhsa_user_sgpr_kernarg_preload_offset 0
		.amdhsa_user_sgpr_private_segment_size 0
		.amdhsa_uses_dynamic_stack 0
		.amdhsa_system_sgpr_private_segment_wavefront_offset 0
		.amdhsa_system_sgpr_workgroup_id_x 1
		.amdhsa_system_sgpr_workgroup_id_y 0
		.amdhsa_system_sgpr_workgroup_id_z 0
		.amdhsa_system_sgpr_workgroup_info 0
		.amdhsa_system_vgpr_workitem_id 0
		.amdhsa_next_free_vgpr 26
		.amdhsa_next_free_sgpr 43
		.amdhsa_accum_offset 28
		.amdhsa_reserve_vcc 1
		.amdhsa_reserve_flat_scratch 0
		.amdhsa_float_round_mode_32 0
		.amdhsa_float_round_mode_16_64 0
		.amdhsa_float_denorm_mode_32 3
		.amdhsa_float_denorm_mode_16_64 3
		.amdhsa_dx10_clamp 1
		.amdhsa_ieee_mode 1
		.amdhsa_fp16_overflow 0
		.amdhsa_tg_split 0
		.amdhsa_exception_fp_ieee_invalid_op 0
		.amdhsa_exception_fp_denorm_src 0
		.amdhsa_exception_fp_ieee_div_zero 0
		.amdhsa_exception_fp_ieee_overflow 0
		.amdhsa_exception_fp_ieee_underflow 0
		.amdhsa_exception_fp_ieee_inexact 0
		.amdhsa_exception_int_div_zero 0
	.end_amdhsa_kernel
	.section	.text._ZN5aiter20topk_softplus_kernelI12hip_bfloat166__halfDv4_fLb1ELi0EEEvPKT_PKT0_PfPimiiif,"axG",@progbits,_ZN5aiter20topk_softplus_kernelI12hip_bfloat166__halfDv4_fLb1ELi0EEEvPKT_PKT0_PfPimiiif,comdat
.Lfunc_end267:
	.size	_ZN5aiter20topk_softplus_kernelI12hip_bfloat166__halfDv4_fLb1ELi0EEEvPKT_PKT0_PfPimiiif, .Lfunc_end267-_ZN5aiter20topk_softplus_kernelI12hip_bfloat166__halfDv4_fLb1ELi0EEEvPKT_PKT0_PfPimiiif
                                        ; -- End function
	.section	.AMDGPU.csdata,"",@progbits
; Kernel info:
; codeLenInByte = 2568
; NumSgprs: 47
; NumVgprs: 26
; NumAgprs: 0
; TotalNumVgprs: 26
; ScratchSize: 0
; MemoryBound: 0
; FloatMode: 240
; IeeeMode: 1
; LDSByteSize: 0 bytes/workgroup (compile time only)
; SGPRBlocks: 5
; VGPRBlocks: 3
; NumSGPRsForWavesPerEU: 47
; NumVGPRsForWavesPerEU: 26
; AccumOffset: 28
; Occupancy: 8
; WaveLimiterHint : 0
; COMPUTE_PGM_RSRC2:SCRATCH_EN: 0
; COMPUTE_PGM_RSRC2:USER_SGPR: 6
; COMPUTE_PGM_RSRC2:TRAP_HANDLER: 0
; COMPUTE_PGM_RSRC2:TGID_X_EN: 1
; COMPUTE_PGM_RSRC2:TGID_Y_EN: 0
; COMPUTE_PGM_RSRC2:TGID_Z_EN: 0
; COMPUTE_PGM_RSRC2:TIDIG_COMP_CNT: 0
; COMPUTE_PGM_RSRC3_GFX90A:ACCUM_OFFSET: 6
; COMPUTE_PGM_RSRC3_GFX90A:TG_SPLIT: 0
	.section	.text._ZN5aiter20topk_softplus_kernelI12hip_bfloat166__halfDv4_fLb0ELi0EEEvPKT_PKT0_PfPimiiif,"axG",@progbits,_ZN5aiter20topk_softplus_kernelI12hip_bfloat166__halfDv4_fLb0ELi0EEEvPKT_PKT0_PfPimiiif,comdat
	.protected	_ZN5aiter20topk_softplus_kernelI12hip_bfloat166__halfDv4_fLb0ELi0EEEvPKT_PKT0_PfPimiiif ; -- Begin function _ZN5aiter20topk_softplus_kernelI12hip_bfloat166__halfDv4_fLb0ELi0EEEvPKT_PKT0_PfPimiiif
	.globl	_ZN5aiter20topk_softplus_kernelI12hip_bfloat166__halfDv4_fLb0ELi0EEEvPKT_PKT0_PfPimiiif
	.p2align	8
	.type	_ZN5aiter20topk_softplus_kernelI12hip_bfloat166__halfDv4_fLb0ELi0EEEvPKT_PKT0_PfPimiiif,@function
_ZN5aiter20topk_softplus_kernelI12hip_bfloat166__halfDv4_fLb0ELi0EEEvPKT_PKT0_PfPimiiif: ; @_ZN5aiter20topk_softplus_kernelI12hip_bfloat166__halfDv4_fLb0ELi0EEEvPKT_PKT0_PfPimiiif
; %bb.0:
	s_load_dwordx2 s[20:21], s[4:5], 0x28
	s_load_dwordx8 s[12:19], s[4:5], 0x0
	v_lshlrev_b32_e32 v1, 2, v0
	v_lshl_add_u32 v12, v0, 4, 0
	s_waitcnt lgkmcnt(0)
	s_ashr_i32 s0, s20, 31
	s_lshr_b32 s0, s0, 30
	s_add_i32 s0, s20, s0
	s_mul_i32 s22, s6, s20
	s_ashr_i32 s7, s0, 2
	s_ashr_i32 s23, s22, 31
	v_cmp_gt_i32_e64 s[0:1], s7, v0
	s_and_saveexec_b64 s[24:25], s[0:1]
	s_cbranch_execz .LBB268_11
; %bb.1:
	s_load_dword s8, s[4:5], 0x44
	s_cmp_lg_u64 s[14:15], 0
	s_cselect_b64 s[2:3], -1, 0
	v_lshlrev_b32_e32 v2, 3, v0
	s_mov_b64 s[26:27], 0
	s_waitcnt lgkmcnt(0)
	s_and_b32 s28, s8, 0xffff
	s_add_u32 s29, s14, 2
	s_addc_u32 s30, s15, 0
	s_add_u32 s31, s14, 4
	s_addc_u32 s33, s15, 0
	s_add_u32 s34, s14, 6
	s_addc_u32 s35, s15, 0
	s_lshl_b64 s[8:9], s[22:23], 1
	s_add_u32 s8, s12, s8
	s_addc_u32 s9, s13, s9
	v_mov_b32_e32 v3, s9
	v_add_co_u32_e32 v6, vcc, s8, v2
	v_cndmask_b32_e64 v2, 0, 1, s[2:3]
	s_mov_b32 s36, 0
	v_addc_co_u32_e32 v7, vcc, 0, v3, vcc
	s_lshl_b32 s37, s28, 3
	v_lshlrev_b32_e32 v8, 2, v0
	s_lshl_b32 s38, s28, 2
	v_lshl_add_u32 v13, v0, 4, 0
	s_lshl_b32 s39, s28, 4
	v_mov_b32_e32 v9, 0
	s_mov_b32 s40, 0xc2fc0000
	v_mov_b32_e32 v14, 0x42800000
	v_mov_b32_e32 v15, 0x1f800000
	s_mov_b32 s41, 0x800000
	v_mov_b32_e32 v16, 0x4f800000
	;; [unrolled: 3-line block ×3, first 2 shown]
	v_cmp_ne_u32_e64 s[2:3], 1, v2
	v_mov_b32_e32 v19, 20
	v_mov_b32_e32 v20, v0
	s_branch .LBB268_3
.LBB268_2:                              ;   in Loop: Header=BB268_3 Depth=1
	ds_write_b128 v13, v[2:5]
	v_mov_b32_e32 v2, s36
	v_add_co_u32_e32 v6, vcc, s37, v6
	v_add_u32_e32 v20, s28, v20
	v_addc_co_u32_e32 v7, vcc, v7, v2, vcc
	v_cmp_le_i32_e32 vcc, s7, v20
	v_add_u32_e32 v8, s38, v8
	s_or_b64 s[26:27], vcc, s[26:27]
	v_add_u32_e32 v13, s39, v13
	s_andn2_b64 exec, exec, s[26:27]
	s_cbranch_execz .LBB268_11
.LBB268_3:                              ; =>This Inner Loop Header: Depth=1
	global_load_dwordx2 v[4:5], v[6:7], off
	s_waitcnt vmcnt(0)
	v_cvt_f32_u32_sdwa v2, v4 dst_sel:DWORD dst_unused:UNUSED_PAD src0_sel:WORD_0
	v_mul_f32_e32 v3, 0x3fb8aa3b, v2
	v_cmp_gt_f32_e32 vcc, s40, v3
	v_cndmask_b32_e32 v3, 0, v14, vcc
	v_fmac_f32_e32 v3, 0x3fb8aa3b, v2
	v_exp_f32_e32 v3, v3
	v_cndmask_b32_e32 v10, 1.0, v15, vcc
	v_fma_f32 v3, v3, v10, 1.0
	v_cmp_gt_f32_e32 vcc, s41, v3
	v_cndmask_b32_e32 v10, 1.0, v16, vcc
	v_mul_f32_e32 v3, v3, v10
	v_log_f32_e32 v3, v3
	v_cndmask_b32_e32 v10, 0, v17, vcc
	v_cmp_lt_u16_e32 vcc, 20, v4
	v_sub_f32_e32 v3, v3, v10
	v_mul_f32_e32 v3, 0x3f317218, v3
	v_cndmask_b32_e32 v2, v3, v2, vcc
	v_mul_f32_e32 v3, 0x4f800000, v2
	v_cmp_gt_f32_e64 s[8:9], s42, v2
	v_cndmask_b32_e64 v2, v2, v3, s[8:9]
	v_sqrt_f32_e32 v3, v2
	s_and_b64 vcc, exec, s[2:3]
	v_add_u32_e32 v10, -1, v3
	v_add_u32_e32 v11, 1, v3
	v_fma_f32 v21, -v10, v3, v2
	v_fma_f32 v22, -v11, v3, v2
	v_cmp_ge_f32_e64 s[10:11], 0, v21
	v_cndmask_b32_e64 v3, v3, v10, s[10:11]
	v_cmp_lt_f32_e64 s[10:11], 0, v22
	v_cndmask_b32_e64 v3, v3, v11, s[10:11]
	v_mul_f32_e32 v10, 0x37800000, v3
	v_cndmask_b32_e64 v3, v3, v10, s[8:9]
	v_cmp_class_f32_e64 s[8:9], v2, v18
	v_cndmask_b32_e64 v2, v3, v2, s[8:9]
	v_lshlrev_b64 v[10:11], 1, v[8:9]
	s_cbranch_vccnz .LBB268_5
; %bb.4:                                ;   in Loop: Header=BB268_3 Depth=1
	v_mov_b32_e32 v3, s15
	v_add_co_u32_e32 v22, vcc, s14, v10
	v_addc_co_u32_e32 v23, vcc, v3, v11, vcc
	global_load_ushort v3, v[22:23], off
	s_waitcnt vmcnt(0)
	v_cvt_f32_f16_e32 v3, v3
	v_add_f32_e32 v2, v2, v3
.LBB268_5:                              ;   in Loop: Header=BB268_3 Depth=1
	v_cvt_f32_u32_sdwa v3, v4 dst_sel:DWORD dst_unused:UNUSED_PAD src0_sel:WORD_1
	v_mul_f32_e32 v21, 0x3fb8aa3b, v3
	v_cmp_gt_f32_e32 vcc, s40, v21
	v_cndmask_b32_e32 v21, 0, v14, vcc
	v_fmac_f32_e32 v21, 0x3fb8aa3b, v3
	v_exp_f32_e32 v21, v21
	v_cndmask_b32_e32 v22, 1.0, v15, vcc
	v_fma_f32 v21, v21, v22, 1.0
	v_cmp_gt_f32_e32 vcc, s41, v21
	v_cndmask_b32_e32 v22, 1.0, v16, vcc
	v_mul_f32_e32 v21, v21, v22
	v_log_f32_e32 v21, v21
	v_cndmask_b32_e32 v22, 0, v17, vcc
	v_cmp_gt_u16_sdwa vcc, v4, v19 src0_sel:WORD_1 src1_sel:DWORD
	v_sub_f32_e32 v21, v21, v22
	v_mul_f32_e32 v21, 0x3f317218, v21
	v_cndmask_b32_e32 v3, v21, v3, vcc
	v_mul_f32_e32 v4, 0x4f800000, v3
	v_cmp_gt_f32_e64 s[8:9], s42, v3
	v_cndmask_b32_e64 v3, v3, v4, s[8:9]
	v_sqrt_f32_e32 v4, v3
	s_and_b64 vcc, exec, s[2:3]
	v_add_u32_e32 v21, -1, v4
	v_add_u32_e32 v22, 1, v4
	v_fma_f32 v23, -v21, v4, v3
	v_fma_f32 v24, -v22, v4, v3
	v_cmp_ge_f32_e64 s[10:11], 0, v23
	v_cndmask_b32_e64 v4, v4, v21, s[10:11]
	v_cmp_lt_f32_e64 s[10:11], 0, v24
	v_cndmask_b32_e64 v4, v4, v22, s[10:11]
	v_mul_f32_e32 v21, 0x37800000, v4
	v_cndmask_b32_e64 v4, v4, v21, s[8:9]
	v_cmp_class_f32_e64 s[8:9], v3, v18
	v_cndmask_b32_e64 v3, v4, v3, s[8:9]
	s_cbranch_vccnz .LBB268_7
; %bb.6:                                ;   in Loop: Header=BB268_3 Depth=1
	v_mov_b32_e32 v4, s30
	v_add_co_u32_e32 v22, vcc, s29, v10
	v_addc_co_u32_e32 v23, vcc, v4, v11, vcc
	global_load_ushort v4, v[22:23], off
	s_waitcnt vmcnt(0)
	v_cvt_f32_f16_e32 v4, v4
	v_add_f32_e32 v3, v3, v4
.LBB268_7:                              ;   in Loop: Header=BB268_3 Depth=1
	v_cvt_f32_u32_sdwa v4, v5 dst_sel:DWORD dst_unused:UNUSED_PAD src0_sel:WORD_0
	v_mul_f32_e32 v21, 0x3fb8aa3b, v4
	v_cmp_gt_f32_e32 vcc, s40, v21
	v_cndmask_b32_e32 v21, 0, v14, vcc
	v_fmac_f32_e32 v21, 0x3fb8aa3b, v4
	v_exp_f32_e32 v21, v21
	v_cndmask_b32_e32 v22, 1.0, v15, vcc
	v_fma_f32 v21, v21, v22, 1.0
	v_cmp_gt_f32_e32 vcc, s41, v21
	v_cndmask_b32_e32 v22, 1.0, v16, vcc
	v_mul_f32_e32 v21, v21, v22
	v_log_f32_e32 v21, v21
	v_cndmask_b32_e32 v22, 0, v17, vcc
	v_cmp_lt_u16_e32 vcc, 20, v5
	v_sub_f32_e32 v21, v21, v22
	v_mul_f32_e32 v21, 0x3f317218, v21
	v_cndmask_b32_e32 v4, v21, v4, vcc
	v_mul_f32_e32 v21, 0x4f800000, v4
	v_cmp_gt_f32_e64 s[8:9], s42, v4
	v_cndmask_b32_e64 v4, v4, v21, s[8:9]
	v_sqrt_f32_e32 v21, v4
	s_and_b64 vcc, exec, s[2:3]
	v_add_u32_e32 v22, -1, v21
	v_add_u32_e32 v23, 1, v21
	v_fma_f32 v24, -v22, v21, v4
	v_fma_f32 v25, -v23, v21, v4
	v_cmp_ge_f32_e64 s[10:11], 0, v24
	v_cndmask_b32_e64 v21, v21, v22, s[10:11]
	v_cmp_lt_f32_e64 s[10:11], 0, v25
	v_cndmask_b32_e64 v21, v21, v23, s[10:11]
	v_mul_f32_e32 v22, 0x37800000, v21
	v_cndmask_b32_e64 v21, v21, v22, s[8:9]
	v_cmp_class_f32_e64 s[8:9], v4, v18
	v_cndmask_b32_e64 v4, v21, v4, s[8:9]
	s_cbranch_vccnz .LBB268_9
; %bb.8:                                ;   in Loop: Header=BB268_3 Depth=1
	v_mov_b32_e32 v21, s33
	v_add_co_u32_e32 v22, vcc, s31, v10
	v_addc_co_u32_e32 v23, vcc, v21, v11, vcc
	global_load_ushort v21, v[22:23], off
	s_waitcnt vmcnt(0)
	v_cvt_f32_f16_e32 v21, v21
	v_add_f32_e32 v4, v4, v21
.LBB268_9:                              ;   in Loop: Header=BB268_3 Depth=1
	v_cvt_f32_u32_sdwa v21, v5 dst_sel:DWORD dst_unused:UNUSED_PAD src0_sel:WORD_1
	v_mul_f32_e32 v22, 0x3fb8aa3b, v21
	v_cmp_gt_f32_e32 vcc, s40, v22
	v_cndmask_b32_e32 v22, 0, v14, vcc
	v_fmac_f32_e32 v22, 0x3fb8aa3b, v21
	v_exp_f32_e32 v22, v22
	v_cndmask_b32_e32 v23, 1.0, v15, vcc
	v_fma_f32 v22, v22, v23, 1.0
	v_cmp_gt_f32_e32 vcc, s41, v22
	v_cndmask_b32_e32 v23, 1.0, v16, vcc
	v_mul_f32_e32 v22, v22, v23
	v_log_f32_e32 v22, v22
	v_cndmask_b32_e32 v23, 0, v17, vcc
	v_cmp_gt_u16_sdwa vcc, v5, v19 src0_sel:WORD_1 src1_sel:DWORD
	v_sub_f32_e32 v22, v22, v23
	v_mul_f32_e32 v22, 0x3f317218, v22
	v_cndmask_b32_e32 v5, v22, v21, vcc
	v_mul_f32_e32 v21, 0x4f800000, v5
	v_cmp_gt_f32_e64 s[8:9], s42, v5
	v_cndmask_b32_e64 v5, v5, v21, s[8:9]
	v_sqrt_f32_e32 v21, v5
	s_and_b64 vcc, exec, s[2:3]
	v_add_u32_e32 v22, -1, v21
	v_add_u32_e32 v23, 1, v21
	v_fma_f32 v24, -v22, v21, v5
	v_fma_f32 v25, -v23, v21, v5
	v_cmp_ge_f32_e64 s[10:11], 0, v24
	v_cndmask_b32_e64 v21, v21, v22, s[10:11]
	v_cmp_lt_f32_e64 s[10:11], 0, v25
	v_cndmask_b32_e64 v21, v21, v23, s[10:11]
	v_mul_f32_e32 v22, 0x37800000, v21
	v_cndmask_b32_e64 v21, v21, v22, s[8:9]
	v_cmp_class_f32_e64 s[8:9], v5, v18
	v_cndmask_b32_e64 v5, v21, v5, s[8:9]
	s_cbranch_vccnz .LBB268_2
; %bb.10:                               ;   in Loop: Header=BB268_3 Depth=1
	v_mov_b32_e32 v21, s35
	v_add_co_u32_e32 v10, vcc, s34, v10
	v_addc_co_u32_e32 v11, vcc, v21, v11, vcc
	global_load_ushort v10, v[10:11], off
	s_waitcnt vmcnt(0)
	v_cvt_f32_f16_e32 v10, v10
	v_add_f32_e32 v5, v5, v10
	s_branch .LBB268_2
.LBB268_11:
	s_or_b64 exec, exec, s[24:25]
	v_lshl_add_u32 v2, s7, 2, v0
	v_cmp_gt_i32_e32 vcc, s20, v2
	s_and_saveexec_b64 s[10:11], vcc
	s_cbranch_execz .LBB268_16
; %bb.12:
	s_load_dword s8, s[4:5], 0x44
	s_lshl_b64 s[2:3], s[22:23], 1
	s_add_u32 s22, s12, s2
	s_addc_u32 s9, s13, s3
	s_cmp_lg_u64 s[14:15], 0
	s_cselect_b64 s[2:3], -1, 0
	s_waitcnt lgkmcnt(0)
	s_and_b32 s23, s8, 0xffff
	s_lshl_b32 s8, s7, 4
	s_add_i32 s8, s8, 0
	v_cndmask_b32_e64 v3, 0, 1, s[2:3]
	s_mov_b64 s[12:13], 0
	v_lshl_add_u32 v6, v0, 2, s8
	s_lshl_b32 s24, s23, 2
	v_mov_b32_e32 v7, s9
	s_mov_b32 s25, 0x41a00000
	s_mov_b32 s26, 0xc2fc0000
	v_mov_b32_e32 v8, 0x42800000
	v_mov_b32_e32 v9, 0x1f800000
	s_mov_b32 s27, 0x800000
	v_mov_b32_e32 v10, 0x4f800000
	v_mov_b32_e32 v11, 0x42000000
	s_mov_b32 s28, 0xf800000
	v_mov_b32_e32 v13, 0x260
	v_cmp_ne_u32_e64 s[2:3], 1, v3
	s_branch .LBB268_14
.LBB268_13:                             ;   in Loop: Header=BB268_14 Depth=1
	v_add_u32_e32 v2, s23, v2
	v_cmp_le_i32_e32 vcc, s20, v2
	s_or_b64 s[12:13], vcc, s[12:13]
	v_add_u32_e32 v6, s24, v6
	s_andn2_b64 exec, exec, s[12:13]
	s_cbranch_execz .LBB268_16
.LBB268_14:                             ; =>This Inner Loop Header: Depth=1
	v_ashrrev_i32_e32 v3, 31, v2
	v_lshlrev_b64 v[4:5], 1, v[2:3]
	v_add_co_u32_e32 v14, vcc, s22, v4
	v_addc_co_u32_e32 v15, vcc, v7, v5, vcc
	global_load_ushort v3, v[14:15], off
	s_waitcnt vmcnt(0)
	v_lshlrev_b32_e32 v3, 16, v3
	v_mul_f32_e32 v14, 0x3fb8aa3b, v3
	v_cmp_gt_f32_e32 vcc, s26, v14
	v_cndmask_b32_e32 v14, 0, v8, vcc
	v_fmac_f32_e32 v14, 0x3fb8aa3b, v3
	v_exp_f32_e32 v14, v14
	v_cndmask_b32_e32 v15, 1.0, v9, vcc
	v_fma_f32 v14, v14, v15, 1.0
	v_cmp_gt_f32_e32 vcc, s27, v14
	v_cndmask_b32_e32 v15, 1.0, v10, vcc
	v_mul_f32_e32 v14, v14, v15
	v_log_f32_e32 v14, v14
	v_cndmask_b32_e32 v15, 0, v11, vcc
	v_cmp_lt_f32_e32 vcc, s25, v3
	v_sub_f32_e32 v14, v14, v15
	v_mul_f32_e32 v14, 0x3f317218, v14
	v_cndmask_b32_e32 v3, v14, v3, vcc
	v_mul_f32_e32 v14, 0x4f800000, v3
	v_cmp_gt_f32_e32 vcc, s28, v3
	v_cndmask_b32_e32 v3, v3, v14, vcc
	v_sqrt_f32_e32 v14, v3
	v_add_u32_e32 v15, -1, v14
	v_add_u32_e32 v16, 1, v14
	v_fma_f32 v17, -v15, v14, v3
	v_fma_f32 v18, -v16, v14, v3
	v_cmp_ge_f32_e64 s[8:9], 0, v17
	v_cndmask_b32_e64 v14, v14, v15, s[8:9]
	v_cmp_lt_f32_e64 s[8:9], 0, v18
	v_cndmask_b32_e64 v14, v14, v16, s[8:9]
	v_mul_f32_e32 v15, 0x37800000, v14
	v_cndmask_b32_e32 v14, v14, v15, vcc
	v_cmp_class_f32_e32 vcc, v3, v13
	v_cndmask_b32_e32 v3, v14, v3, vcc
	s_and_b64 vcc, exec, s[2:3]
	ds_write_b32 v6, v3
	s_cbranch_vccnz .LBB268_13
; %bb.15:                               ;   in Loop: Header=BB268_14 Depth=1
	v_mov_b32_e32 v14, s15
	v_add_co_u32_e32 v4, vcc, s14, v4
	v_addc_co_u32_e32 v5, vcc, v14, v5, vcc
	global_load_ushort v4, v[4:5], off
	s_waitcnt vmcnt(0)
	v_cvt_f32_f16_e32 v4, v4
	v_add_f32_e32 v3, v3, v4
	ds_write_b32 v6, v3
	s_branch .LBB268_13
.LBB268_16:
	s_or_b64 exec, exec, s[10:11]
	s_cmp_lt_i32 s21, 1
	s_waitcnt lgkmcnt(0)
	s_barrier
	s_cbranch_scc1 .LBB268_25
; %bb.17:
	s_add_u32 s2, s4, 56
	s_addc_u32 s3, s5, 0
	v_mbcnt_lo_u32_b32 v3, -1, 0
	s_cmp_lg_u64 s[14:15], 0
	v_mbcnt_hi_u32_b32 v3, -1, v3
	v_bfrev_b32_e32 v5, 0.5
	s_cselect_b64 s[8:9], -1, 0
	s_mov_b32 s20, 0
	v_mov_b32_e32 v2, 0
	v_mov_b32_e32 v4, 0
	v_lshl_or_b32 v5, v3, 2, v5
	v_mov_b32_e32 v6, 0xff800000
	v_mov_b32_e32 v3, 0
	s_branch .LBB268_19
.LBB268_18:                             ;   in Loop: Header=BB268_19 Depth=1
	s_lshl_b32 s11, s10, 2
	s_add_i32 s11, s11, 0
	v_mov_b32_e32 v7, s11
	ds_write_b32 v7, v6
	v_mov_b32_e32 v7, s10
	v_cmp_eq_u32_e32 vcc, s20, v0
	s_add_i32 s20, s20, 1
	v_cndmask_b32_e32 v2, v2, v7, vcc
	s_cmp_eq_u32 s20, s21
	v_cndmask_b32_e32 v3, v3, v9, vcc
	s_cbranch_scc1 .LBB268_26
.LBB268_19:                             ; =>This Loop Header: Depth=1
                                        ;     Child Loop BB268_21 Depth 2
	v_mov_b32_e32 v7, s20
	v_mov_b32_e32 v8, 0xff800000
	s_and_saveexec_b64 s[10:11], s[0:1]
	s_cbranch_execz .LBB268_23
; %bb.20:                               ;   in Loop: Header=BB268_19 Depth=1
	s_load_dword s22, s[2:3], 0xc
	s_mov_b64 s[12:13], 0
	v_mov_b32_e32 v7, s20
	v_mov_b32_e32 v8, 0xff800000
	;; [unrolled: 1-line block ×3, first 2 shown]
	s_waitcnt lgkmcnt(0)
	s_and_b32 s22, s22, 0xffff
	s_lshl_b32 s23, s22, 2
	s_lshl_b32 s24, s22, 4
	v_mov_b32_e32 v10, v1
	v_mov_b32_e32 v11, v0
.LBB268_21:                             ;   Parent Loop BB268_19 Depth=1
                                        ; =>  This Inner Loop Header: Depth=2
	ds_read_b128 v[14:17], v9
	v_add_u32_e32 v11, s22, v11
	v_cmp_le_i32_e32 vcc, s7, v11
	s_or_b64 s[12:13], vcc, s[12:13]
	v_add_u32_e32 v13, 1, v10
	s_waitcnt lgkmcnt(0)
	v_cmp_gt_f32_e32 vcc, v14, v8
	v_cndmask_b32_e32 v8, v8, v14, vcc
	v_cndmask_b32_e32 v7, v7, v10, vcc
	v_cmp_gt_f32_e32 vcc, v15, v8
	v_cndmask_b32_e32 v8, v8, v15, vcc
	v_cndmask_b32_e32 v7, v7, v13, vcc
	v_cmp_gt_f32_e32 vcc, v16, v8
	v_add_u32_e32 v18, 2, v10
	v_cndmask_b32_e32 v8, v8, v16, vcc
	v_add_u32_e32 v19, 3, v10
	v_cndmask_b32_e32 v7, v7, v18, vcc
	v_cmp_gt_f32_e32 vcc, v17, v8
	v_add_u32_e32 v9, s24, v9
	v_add_u32_e32 v10, s23, v10
	v_cndmask_b32_e32 v8, v8, v17, vcc
	v_cndmask_b32_e32 v7, v7, v19, vcc
	s_andn2_b64 exec, exec, s[12:13]
	s_cbranch_execnz .LBB268_21
; %bb.22:                               ;   in Loop: Header=BB268_19 Depth=1
	s_or_b64 exec, exec, s[12:13]
.LBB268_23:                             ;   in Loop: Header=BB268_19 Depth=1
	s_or_b64 exec, exec, s[10:11]
	;;#ASMSTART
	v_max_f32 v9, v8, v8 quad_perm:[1,0,3,2] row_mask:0xf bank_mask:0xf bound_ctrl:1
	;;#ASMEND
	;;#ASMSTART
	v_max_f32 v10, v9, v9 quad_perm:[2,3,0,1] row_mask:0xf bank_mask:0xf bound_ctrl:1
	;;#ASMEND
	;;#ASMSTART
	v_max_f32 v9, v10, v10 row_half_mirror row_mask:0xf bank_mask:0xf bound_ctrl:1
	;;#ASMEND
	;;#ASMSTART
	v_max_f32 v10, v9, v9 row_mirror row_mask:0xf bank_mask:0xf bound_ctrl:1
	;;#ASMEND
	;;#ASMSTART
	v_max_f32 v9, v10, v10 row_ror:4 row_mask:0xf bank_mask:0xf bound_ctrl:1
	;;#ASMEND
	;;#ASMSTART
	v_max_f32 v10, v9, v9 row_ror:8 row_mask:0xf bank_mask:0xf bound_ctrl:1
	;;#ASMEND
	;;#ASMSTART
	v_max_f32 v9, v10, v10 row_bcast:15 row_mask:0xf bank_mask:0xf bound_ctrl:1
	;;#ASMEND
	;;#ASMSTART
	v_max_f32 v10, v9, v9 row_bcast:31 row_mask:0xf bank_mask:0xf bound_ctrl:1
	;;#ASMEND
	ds_bpermute_b32 v9, v5, v10
	s_waitcnt lgkmcnt(0)
	v_cmp_eq_f32_e32 vcc, v8, v9
	s_ff1_i32_b64 s10, vcc
	s_cmp_lg_u64 vcc, 0
	s_cselect_b32 s10, s10, 0
	s_and_b64 vcc, exec, s[8:9]
	v_readlane_b32 s10, v7, s10
	s_cbranch_vccz .LBB268_18
; %bb.24:                               ;   in Loop: Header=BB268_19 Depth=1
	s_ashr_i32 s11, s10, 31
	s_lshl_b64 s[12:13], s[10:11], 1
	s_add_u32 s12, s14, s12
	s_addc_u32 s13, s15, s13
	global_load_ushort v7, v4, s[12:13]
	s_waitcnt vmcnt(0)
	v_cvt_f32_f16_e32 v7, v7
	v_sub_f32_e32 v9, v9, v7
	s_branch .LBB268_18
.LBB268_25:
	v_mov_b32_e32 v3, 0
	v_mov_b32_e32 v2, 0
.LBB268_26:
	v_cmp_gt_i32_e32 vcc, s21, v0
	s_and_saveexec_b64 s[0:1], vcc
	s_cbranch_execz .LBB268_29
; %bb.27:
	s_load_dword s2, s[4:5], 0x34
	s_load_dwordx2 s[0:1], s[4:5], 0x20
	s_ashr_i32 s3, s6, 31
	s_load_dword s4, s[4:5], 0x44
	v_mov_b32_e32 v4, s17
	s_waitcnt lgkmcnt(0)
	v_mul_f32_e32 v1, s2, v3
	s_mul_i32 s1, s6, s1
	s_mul_hi_u32 s2, s6, s0
	s_add_i32 s1, s2, s1
	s_mul_i32 s3, s3, s0
	s_add_i32 s5, s1, s3
	s_mul_i32 s2, s6, s0
	s_and_b32 s3, s4, 0xffff
	s_mov_b64 s[0:1], 0
	v_mov_b32_e32 v3, s5
	v_mov_b32_e32 v5, s19
.LBB268_28:                             ; =>This Inner Loop Header: Depth=1
	v_ashrrev_i32_e32 v7, 31, v0
	v_add_co_u32_e32 v6, vcc, s2, v0
	v_addc_co_u32_e32 v7, vcc, v3, v7, vcc
	v_add_u32_e32 v0, s3, v0
	v_cmp_le_i32_e32 vcc, s21, v0
	v_lshlrev_b64 v[6:7], 2, v[6:7]
	s_or_b64 s[0:1], vcc, s[0:1]
	v_add_co_u32_e32 v8, vcc, s16, v6
	v_addc_co_u32_e32 v9, vcc, v4, v7, vcc
	v_add_co_u32_e32 v6, vcc, s18, v6
	v_addc_co_u32_e32 v7, vcc, v5, v7, vcc
	global_store_dword v[8:9], v1, off
	global_store_dword v[6:7], v2, off
	s_andn2_b64 exec, exec, s[0:1]
	s_cbranch_execnz .LBB268_28
.LBB268_29:
	s_endpgm
	.section	.rodata,"a",@progbits
	.p2align	6, 0x0
	.amdhsa_kernel _ZN5aiter20topk_softplus_kernelI12hip_bfloat166__halfDv4_fLb0ELi0EEEvPKT_PKT0_PfPimiiif
		.amdhsa_group_segment_fixed_size 0
		.amdhsa_private_segment_fixed_size 0
		.amdhsa_kernarg_size 312
		.amdhsa_user_sgpr_count 6
		.amdhsa_user_sgpr_private_segment_buffer 1
		.amdhsa_user_sgpr_dispatch_ptr 0
		.amdhsa_user_sgpr_queue_ptr 0
		.amdhsa_user_sgpr_kernarg_segment_ptr 1
		.amdhsa_user_sgpr_dispatch_id 0
		.amdhsa_user_sgpr_flat_scratch_init 0
		.amdhsa_user_sgpr_kernarg_preload_length 0
		.amdhsa_user_sgpr_kernarg_preload_offset 0
		.amdhsa_user_sgpr_private_segment_size 0
		.amdhsa_uses_dynamic_stack 0
		.amdhsa_system_sgpr_private_segment_wavefront_offset 0
		.amdhsa_system_sgpr_workgroup_id_x 1
		.amdhsa_system_sgpr_workgroup_id_y 0
		.amdhsa_system_sgpr_workgroup_id_z 0
		.amdhsa_system_sgpr_workgroup_info 0
		.amdhsa_system_vgpr_workitem_id 0
		.amdhsa_next_free_vgpr 26
		.amdhsa_next_free_sgpr 43
		.amdhsa_accum_offset 28
		.amdhsa_reserve_vcc 1
		.amdhsa_reserve_flat_scratch 0
		.amdhsa_float_round_mode_32 0
		.amdhsa_float_round_mode_16_64 0
		.amdhsa_float_denorm_mode_32 3
		.amdhsa_float_denorm_mode_16_64 3
		.amdhsa_dx10_clamp 1
		.amdhsa_ieee_mode 1
		.amdhsa_fp16_overflow 0
		.amdhsa_tg_split 0
		.amdhsa_exception_fp_ieee_invalid_op 0
		.amdhsa_exception_fp_denorm_src 0
		.amdhsa_exception_fp_ieee_div_zero 0
		.amdhsa_exception_fp_ieee_overflow 0
		.amdhsa_exception_fp_ieee_underflow 0
		.amdhsa_exception_fp_ieee_inexact 0
		.amdhsa_exception_int_div_zero 0
	.end_amdhsa_kernel
	.section	.text._ZN5aiter20topk_softplus_kernelI12hip_bfloat166__halfDv4_fLb0ELi0EEEvPKT_PKT0_PfPimiiif,"axG",@progbits,_ZN5aiter20topk_softplus_kernelI12hip_bfloat166__halfDv4_fLb0ELi0EEEvPKT_PKT0_PfPimiiif,comdat
.Lfunc_end268:
	.size	_ZN5aiter20topk_softplus_kernelI12hip_bfloat166__halfDv4_fLb0ELi0EEEvPKT_PKT0_PfPimiiif, .Lfunc_end268-_ZN5aiter20topk_softplus_kernelI12hip_bfloat166__halfDv4_fLb0ELi0EEEvPKT_PKT0_PfPimiiif
                                        ; -- End function
	.section	.AMDGPU.csdata,"",@progbits
; Kernel info:
; codeLenInByte = 2468
; NumSgprs: 47
; NumVgprs: 26
; NumAgprs: 0
; TotalNumVgprs: 26
; ScratchSize: 0
; MemoryBound: 0
; FloatMode: 240
; IeeeMode: 1
; LDSByteSize: 0 bytes/workgroup (compile time only)
; SGPRBlocks: 5
; VGPRBlocks: 3
; NumSGPRsForWavesPerEU: 47
; NumVGPRsForWavesPerEU: 26
; AccumOffset: 28
; Occupancy: 8
; WaveLimiterHint : 0
; COMPUTE_PGM_RSRC2:SCRATCH_EN: 0
; COMPUTE_PGM_RSRC2:USER_SGPR: 6
; COMPUTE_PGM_RSRC2:TRAP_HANDLER: 0
; COMPUTE_PGM_RSRC2:TGID_X_EN: 1
; COMPUTE_PGM_RSRC2:TGID_Y_EN: 0
; COMPUTE_PGM_RSRC2:TGID_Z_EN: 0
; COMPUTE_PGM_RSRC2:TIDIG_COMP_CNT: 0
; COMPUTE_PGM_RSRC3_GFX90A:ACCUM_OFFSET: 6
; COMPUTE_PGM_RSRC3_GFX90A:TG_SPLIT: 0
	.section	.text._ZN5aiter20topk_softplus_kernelI12hip_bfloat166__halfDv2_fLb1ELi0EEEvPKT_PKT0_PfPimiiif,"axG",@progbits,_ZN5aiter20topk_softplus_kernelI12hip_bfloat166__halfDv2_fLb1ELi0EEEvPKT_PKT0_PfPimiiif,comdat
	.protected	_ZN5aiter20topk_softplus_kernelI12hip_bfloat166__halfDv2_fLb1ELi0EEEvPKT_PKT0_PfPimiiif ; -- Begin function _ZN5aiter20topk_softplus_kernelI12hip_bfloat166__halfDv2_fLb1ELi0EEEvPKT_PKT0_PfPimiiif
	.globl	_ZN5aiter20topk_softplus_kernelI12hip_bfloat166__halfDv2_fLb1ELi0EEEvPKT_PKT0_PfPimiiif
	.p2align	8
	.type	_ZN5aiter20topk_softplus_kernelI12hip_bfloat166__halfDv2_fLb1ELi0EEEvPKT_PKT0_PfPimiiif,@function
_ZN5aiter20topk_softplus_kernelI12hip_bfloat166__halfDv2_fLb1ELi0EEEvPKT_PKT0_PfPimiiif: ; @_ZN5aiter20topk_softplus_kernelI12hip_bfloat166__halfDv2_fLb1ELi0EEEvPKT_PKT0_PfPimiiif
; %bb.0:
	s_load_dwordx2 s[20:21], s[4:5], 0x28
	s_load_dwordx8 s[12:19], s[4:5], 0x0
	v_lshl_add_u32 v6, v0, 3, 0
	s_waitcnt lgkmcnt(0)
	s_lshr_b32 s1, s20, 31
	s_mul_i32 s0, s6, s20
	s_add_i32 s1, s20, s1
	s_ashr_i32 s7, s1, 1
	s_ashr_i32 s1, s0, 31
	s_lshl_b64 s[0:1], s[0:1], 1
	s_add_u32 s24, s12, s0
	s_addc_u32 s25, s13, s1
	v_cmp_gt_i32_e64 s[0:1], s7, v0
	s_and_saveexec_b64 s[12:13], s[0:1]
	s_cbranch_execz .LBB269_7
; %bb.1:
	s_load_dword s8, s[4:5], 0x44
	s_cmp_lg_u64 s[14:15], 0
	s_cselect_b64 s[2:3], -1, 0
	v_cndmask_b32_e64 v4, 0, 1, s[2:3]
	s_mov_b64 s[22:23], 0
	s_waitcnt lgkmcnt(0)
	s_and_b32 s26, s8, 0xffff
	s_mov_b32 s8, 0
	v_lshlrev_b32_e32 v2, 2, v0
	v_mov_b32_e32 v1, 0
	s_lshl_b32 s27, s26, 2
	v_lshl_add_u32 v3, v0, 3, 0
	s_lshl_b32 s28, s26, 3
	v_mov_b32_e32 v7, s25
	s_mov_b32 s29, 0xc2fc0000
	v_mov_b32_e32 v8, 0x42800000
	v_mov_b32_e32 v9, 0x1f800000
	s_mov_b32 s30, 0x800000
	v_mov_b32_e32 v10, 0x4f800000
	;; [unrolled: 3-line block ×3, first 2 shown]
	v_cmp_ne_u32_e64 s[2:3], 1, v4
	v_mov_b32_e32 v13, s8
	v_mov_b32_e32 v14, 20
	;; [unrolled: 1-line block ×3, first 2 shown]
	s_branch .LBB269_3
.LBB269_2:                              ;   in Loop: Header=BB269_3 Depth=1
	v_add_co_u32_e32 v2, vcc, s27, v2
	v_add_u32_e32 v15, s26, v15
	v_addc_co_u32_e32 v1, vcc, v1, v13, vcc
	v_cmp_le_i32_e32 vcc, s7, v15
	ds_write_b64 v3, v[4:5]
	s_or_b64 s[22:23], vcc, s[22:23]
	v_add_u32_e32 v3, s28, v3
	s_andn2_b64 exec, exec, s[22:23]
	s_cbranch_execz .LBB269_7
.LBB269_3:                              ; =>This Inner Loop Header: Depth=1
	v_add_co_u32_e32 v4, vcc, s24, v2
	v_addc_co_u32_e32 v5, vcc, v7, v1, vcc
	global_load_dword v5, v[4:5], off
	s_waitcnt vmcnt(0)
	v_cvt_f32_u32_sdwa v4, v5 dst_sel:DWORD dst_unused:UNUSED_PAD src0_sel:WORD_0
	v_mul_f32_e32 v16, 0x3fb8aa3b, v4
	v_cmp_gt_f32_e32 vcc, s29, v16
	v_cndmask_b32_e32 v16, 0, v8, vcc
	v_fmac_f32_e32 v16, 0x3fb8aa3b, v4
	v_exp_f32_e32 v16, v16
	v_cndmask_b32_e32 v17, 1.0, v9, vcc
	v_fma_f32 v16, v16, v17, 1.0
	v_cmp_gt_f32_e32 vcc, s30, v16
	v_cndmask_b32_e32 v17, 1.0, v10, vcc
	v_mul_f32_e32 v16, v16, v17
	v_log_f32_e32 v16, v16
	v_cndmask_b32_e32 v17, 0, v11, vcc
	v_cmp_lt_u16_e32 vcc, 20, v5
	v_sub_f32_e32 v16, v16, v17
	v_mul_f32_e32 v16, 0x3f317218, v16
	v_cndmask_b32_e32 v4, v16, v4, vcc
	v_mul_f32_e32 v16, 0x4f800000, v4
	v_cmp_gt_f32_e64 s[8:9], s31, v4
	v_cndmask_b32_e64 v4, v4, v16, s[8:9]
	v_sqrt_f32_e32 v16, v4
	s_and_b64 vcc, exec, s[2:3]
	v_add_u32_e32 v17, -1, v16
	v_add_u32_e32 v18, 1, v16
	v_fma_f32 v19, -v17, v16, v4
	v_fma_f32 v20, -v18, v16, v4
	v_cmp_ge_f32_e64 s[10:11], 0, v19
	v_cndmask_b32_e64 v16, v16, v17, s[10:11]
	v_cmp_lt_f32_e64 s[10:11], 0, v20
	v_cndmask_b32_e64 v16, v16, v18, s[10:11]
	v_mul_f32_e32 v17, 0x37800000, v16
	v_cndmask_b32_e64 v16, v16, v17, s[8:9]
	v_cmp_class_f32_e64 s[8:9], v4, v12
	v_cndmask_b32_e64 v4, v16, v4, s[8:9]
	s_cbranch_vccnz .LBB269_5
; %bb.4:                                ;   in Loop: Header=BB269_3 Depth=1
	v_mov_b32_e32 v17, s15
	v_add_co_u32_e32 v16, vcc, s14, v2
	v_addc_co_u32_e32 v17, vcc, v17, v1, vcc
	global_load_ushort v16, v[16:17], off
	s_waitcnt vmcnt(0)
	v_cvt_f32_f16_e32 v16, v16
	v_add_f32_e32 v4, v4, v16
.LBB269_5:                              ;   in Loop: Header=BB269_3 Depth=1
	v_cvt_f32_u32_sdwa v16, v5 dst_sel:DWORD dst_unused:UNUSED_PAD src0_sel:WORD_1
	v_mul_f32_e32 v17, 0x3fb8aa3b, v16
	v_cmp_gt_f32_e32 vcc, s29, v17
	v_cndmask_b32_e32 v17, 0, v8, vcc
	v_fmac_f32_e32 v17, 0x3fb8aa3b, v16
	v_exp_f32_e32 v17, v17
	v_cndmask_b32_e32 v18, 1.0, v9, vcc
	v_fma_f32 v17, v17, v18, 1.0
	v_cmp_gt_f32_e32 vcc, s30, v17
	v_cndmask_b32_e32 v18, 1.0, v10, vcc
	v_mul_f32_e32 v17, v17, v18
	v_log_f32_e32 v17, v17
	v_cndmask_b32_e32 v18, 0, v11, vcc
	v_cmp_gt_u16_sdwa vcc, v5, v14 src0_sel:WORD_1 src1_sel:DWORD
	v_sub_f32_e32 v17, v17, v18
	v_mul_f32_e32 v17, 0x3f317218, v17
	v_cndmask_b32_e32 v5, v17, v16, vcc
	v_mul_f32_e32 v16, 0x4f800000, v5
	v_cmp_gt_f32_e64 s[8:9], s31, v5
	v_cndmask_b32_e64 v5, v5, v16, s[8:9]
	v_sqrt_f32_e32 v16, v5
	s_and_b64 vcc, exec, s[2:3]
	v_add_u32_e32 v17, -1, v16
	v_add_u32_e32 v18, 1, v16
	v_fma_f32 v19, -v17, v16, v5
	v_fma_f32 v20, -v18, v16, v5
	v_cmp_ge_f32_e64 s[10:11], 0, v19
	v_cndmask_b32_e64 v16, v16, v17, s[10:11]
	v_cmp_lt_f32_e64 s[10:11], 0, v20
	v_cndmask_b32_e64 v16, v16, v18, s[10:11]
	v_mul_f32_e32 v17, 0x37800000, v16
	v_cndmask_b32_e64 v16, v16, v17, s[8:9]
	v_cmp_class_f32_e64 s[8:9], v5, v12
	v_cndmask_b32_e64 v5, v16, v5, s[8:9]
	s_cbranch_vccnz .LBB269_2
; %bb.6:                                ;   in Loop: Header=BB269_3 Depth=1
	v_mov_b32_e32 v17, s15
	v_add_co_u32_e32 v16, vcc, s14, v2
	v_addc_co_u32_e32 v17, vcc, v17, v1, vcc
	global_load_ushort v16, v[16:17], off offset:2
	s_waitcnt vmcnt(0)
	v_cvt_f32_f16_e32 v16, v16
	v_add_f32_e32 v5, v5, v16
	s_branch .LBB269_2
.LBB269_7:
	s_or_b64 exec, exec, s[12:13]
	v_lshl_add_u32 v2, s7, 1, v0
	v_cmp_gt_i32_e32 vcc, s20, v2
	s_and_saveexec_b64 s[10:11], vcc
	s_cbranch_execz .LBB269_12
; %bb.8:
	s_load_dword s8, s[4:5], 0x44
	s_cmp_lg_u64 s[14:15], 0
	s_cselect_b64 s[2:3], -1, 0
	s_lshl_b32 s9, s7, 3
	v_cndmask_b32_e64 v3, 0, 1, s[2:3]
	s_waitcnt lgkmcnt(0)
	s_and_b32 s22, s8, 0xffff
	s_add_i32 s8, s9, 0
	s_mov_b64 s[12:13], 0
	v_lshl_add_u32 v1, v0, 2, s8
	s_lshl_b32 s23, s22, 2
	v_mov_b32_e32 v7, s25
	s_mov_b32 s25, 0x41a00000
	s_mov_b32 s26, 0xc2fc0000
	v_mov_b32_e32 v8, 0x42800000
	v_mov_b32_e32 v9, 0x1f800000
	s_mov_b32 s27, 0x800000
	v_mov_b32_e32 v10, 0x4f800000
	v_mov_b32_e32 v11, 0x42000000
	s_mov_b32 s28, 0xf800000
	v_mov_b32_e32 v12, 0x260
	v_cmp_ne_u32_e64 s[2:3], 1, v3
	s_branch .LBB269_10
.LBB269_9:                              ;   in Loop: Header=BB269_10 Depth=1
	v_add_u32_e32 v2, s22, v2
	v_cmp_le_i32_e32 vcc, s20, v2
	s_or_b64 s[12:13], vcc, s[12:13]
	v_add_u32_e32 v1, s23, v1
	s_andn2_b64 exec, exec, s[12:13]
	s_cbranch_execz .LBB269_12
.LBB269_10:                             ; =>This Inner Loop Header: Depth=1
	v_ashrrev_i32_e32 v3, 31, v2
	v_lshlrev_b64 v[4:5], 1, v[2:3]
	v_add_co_u32_e32 v14, vcc, s24, v4
	v_addc_co_u32_e32 v15, vcc, v7, v5, vcc
	global_load_ushort v3, v[14:15], off
	s_waitcnt vmcnt(0)
	v_lshlrev_b32_e32 v3, 16, v3
	v_mul_f32_e32 v13, 0x3fb8aa3b, v3
	v_cmp_gt_f32_e32 vcc, s26, v13
	v_cndmask_b32_e32 v13, 0, v8, vcc
	v_fmac_f32_e32 v13, 0x3fb8aa3b, v3
	v_exp_f32_e32 v13, v13
	v_cndmask_b32_e32 v14, 1.0, v9, vcc
	v_fma_f32 v13, v13, v14, 1.0
	v_cmp_gt_f32_e32 vcc, s27, v13
	v_cndmask_b32_e32 v14, 1.0, v10, vcc
	v_mul_f32_e32 v13, v13, v14
	v_log_f32_e32 v13, v13
	v_cndmask_b32_e32 v14, 0, v11, vcc
	v_cmp_lt_f32_e32 vcc, s25, v3
	v_sub_f32_e32 v13, v13, v14
	v_mul_f32_e32 v13, 0x3f317218, v13
	v_cndmask_b32_e32 v3, v13, v3, vcc
	v_mul_f32_e32 v13, 0x4f800000, v3
	v_cmp_gt_f32_e32 vcc, s28, v3
	v_cndmask_b32_e32 v3, v3, v13, vcc
	v_sqrt_f32_e32 v13, v3
	v_add_u32_e32 v14, -1, v13
	v_add_u32_e32 v15, 1, v13
	v_fma_f32 v16, -v14, v13, v3
	v_fma_f32 v17, -v15, v13, v3
	v_cmp_ge_f32_e64 s[8:9], 0, v16
	v_cndmask_b32_e64 v13, v13, v14, s[8:9]
	v_cmp_lt_f32_e64 s[8:9], 0, v17
	v_cndmask_b32_e64 v13, v13, v15, s[8:9]
	v_mul_f32_e32 v14, 0x37800000, v13
	v_cndmask_b32_e32 v13, v13, v14, vcc
	v_cmp_class_f32_e32 vcc, v3, v12
	v_cndmask_b32_e32 v3, v13, v3, vcc
	s_and_b64 vcc, exec, s[2:3]
	ds_write_b32 v1, v3
	s_cbranch_vccnz .LBB269_9
; %bb.11:                               ;   in Loop: Header=BB269_10 Depth=1
	v_mov_b32_e32 v13, s15
	v_add_co_u32_e32 v4, vcc, s14, v4
	v_addc_co_u32_e32 v5, vcc, v13, v5, vcc
	global_load_ushort v4, v[4:5], off
	s_waitcnt vmcnt(0)
	v_cvt_f32_f16_e32 v4, v4
	v_add_f32_e32 v3, v3, v4
	ds_write_b32 v1, v3
	s_branch .LBB269_9
.LBB269_12:
	s_or_b64 exec, exec, s[10:11]
	s_cmp_lt_i32 s21, 1
	v_mov_b32_e32 v2, 0
	s_waitcnt lgkmcnt(0)
	s_barrier
	s_cbranch_scc1 .LBB269_21
; %bb.13:
	s_add_u32 s2, s4, 56
	s_addc_u32 s3, s5, 0
	v_mbcnt_lo_u32_b32 v1, -1, 0
	s_cmp_lg_u64 s[14:15], 0
	v_mbcnt_hi_u32_b32 v1, -1, v1
	v_bfrev_b32_e32 v3, 0.5
	s_cselect_b64 s[8:9], -1, 0
	v_lshlrev_b32_e32 v4, 1, v0
	s_mov_b32 s20, 0
	v_mov_b32_e32 v2, 0
	v_lshl_or_b32 v5, v1, 2, v3
	v_mov_b32_e32 v7, 0
	v_mov_b32_e32 v8, 0xff800000
	;; [unrolled: 1-line block ×4, first 2 shown]
	s_branch .LBB269_15
.LBB269_14:                             ;   in Loop: Header=BB269_15 Depth=1
	s_lshl_b32 s11, s10, 2
	s_add_i32 s11, s11, 0
	v_mov_b32_e32 v9, s11
	ds_write_b32 v9, v8
	v_mov_b32_e32 v9, s10
	v_cmp_eq_u32_e32 vcc, s20, v0
	s_add_i32 s20, s20, 1
	v_cndmask_b32_e32 v1, v1, v9, vcc
	v_cndmask_b32_e32 v2, v2, v11, vcc
	s_cmp_eq_u32 s20, s21
	v_add_f32_e32 v3, v3, v11
	s_cbranch_scc1 .LBB269_22
.LBB269_15:                             ; =>This Loop Header: Depth=1
                                        ;     Child Loop BB269_17 Depth 2
	v_mov_b32_e32 v9, s20
	v_mov_b32_e32 v10, 0xff800000
	s_and_saveexec_b64 s[10:11], s[0:1]
	s_cbranch_execz .LBB269_19
; %bb.16:                               ;   in Loop: Header=BB269_15 Depth=1
	s_load_dword s22, s[2:3], 0xc
	s_mov_b64 s[12:13], 0
	v_mov_b32_e32 v9, s20
	v_mov_b32_e32 v10, 0xff800000
	;; [unrolled: 1-line block ×3, first 2 shown]
	s_waitcnt lgkmcnt(0)
	s_and_b32 s22, s22, 0xffff
	s_lshl_b32 s23, s22, 1
	s_lshl_b32 s24, s22, 3
	v_mov_b32_e32 v12, v4
	v_mov_b32_e32 v13, v0
.LBB269_17:                             ;   Parent Loop BB269_15 Depth=1
                                        ; =>  This Inner Loop Header: Depth=2
	ds_read_b64 v[14:15], v11
	v_add_u32_e32 v13, s22, v13
	v_cmp_le_i32_e32 vcc, s7, v13
	s_or_b64 s[12:13], vcc, s[12:13]
	v_add_u32_e32 v16, 1, v12
	s_waitcnt lgkmcnt(0)
	v_cmp_gt_f32_e32 vcc, v14, v10
	v_cndmask_b32_e32 v10, v10, v14, vcc
	v_cndmask_b32_e32 v9, v9, v12, vcc
	v_cmp_gt_f32_e32 vcc, v15, v10
	v_add_u32_e32 v11, s24, v11
	v_cndmask_b32_e32 v10, v10, v15, vcc
	v_add_u32_e32 v12, s23, v12
	v_cndmask_b32_e32 v9, v9, v16, vcc
	s_andn2_b64 exec, exec, s[12:13]
	s_cbranch_execnz .LBB269_17
; %bb.18:                               ;   in Loop: Header=BB269_15 Depth=1
	s_or_b64 exec, exec, s[12:13]
.LBB269_19:                             ;   in Loop: Header=BB269_15 Depth=1
	s_or_b64 exec, exec, s[10:11]
	;;#ASMSTART
	v_max_f32 v11, v10, v10 quad_perm:[1,0,3,2] row_mask:0xf bank_mask:0xf bound_ctrl:1
	;;#ASMEND
	;;#ASMSTART
	v_max_f32 v12, v11, v11 quad_perm:[2,3,0,1] row_mask:0xf bank_mask:0xf bound_ctrl:1
	;;#ASMEND
	;;#ASMSTART
	v_max_f32 v11, v12, v12 row_half_mirror row_mask:0xf bank_mask:0xf bound_ctrl:1
	;;#ASMEND
	;;#ASMSTART
	v_max_f32 v12, v11, v11 row_mirror row_mask:0xf bank_mask:0xf bound_ctrl:1
	;;#ASMEND
	;;#ASMSTART
	v_max_f32 v11, v12, v12 row_ror:4 row_mask:0xf bank_mask:0xf bound_ctrl:1
	;;#ASMEND
	;;#ASMSTART
	v_max_f32 v12, v11, v11 row_ror:8 row_mask:0xf bank_mask:0xf bound_ctrl:1
	;;#ASMEND
	;;#ASMSTART
	v_max_f32 v11, v12, v12 row_bcast:15 row_mask:0xf bank_mask:0xf bound_ctrl:1
	;;#ASMEND
	;;#ASMSTART
	v_max_f32 v12, v11, v11 row_bcast:31 row_mask:0xf bank_mask:0xf bound_ctrl:1
	;;#ASMEND
	ds_bpermute_b32 v11, v5, v12
	s_waitcnt lgkmcnt(0)
	v_cmp_eq_f32_e32 vcc, v10, v11
	s_ff1_i32_b64 s10, vcc
	s_cmp_lg_u64 vcc, 0
	s_cselect_b32 s10, s10, 0
	s_and_b64 vcc, exec, s[8:9]
	v_readlane_b32 s10, v9, s10
	s_cbranch_vccz .LBB269_14
; %bb.20:                               ;   in Loop: Header=BB269_15 Depth=1
	s_ashr_i32 s11, s10, 31
	s_lshl_b64 s[12:13], s[10:11], 1
	s_add_u32 s12, s14, s12
	s_addc_u32 s13, s15, s13
	global_load_ushort v9, v7, s[12:13]
	s_waitcnt vmcnt(0)
	v_cvt_f32_f16_e32 v9, v9
	v_sub_f32_e32 v11, v11, v9
	s_branch .LBB269_14
.LBB269_21:
	v_mov_b32_e32 v1, 0
	v_mov_b32_e32 v3, 0
.LBB269_22:
	v_cmp_gt_i32_e32 vcc, s21, v0
	s_and_saveexec_b64 s[0:1], vcc
	s_cbranch_execz .LBB269_25
; %bb.23:
	s_load_dword s2, s[4:5], 0x34
	v_max_f32_e32 v3, v3, v3
	v_max_f32_e32 v3, 0x1e3ce508, v3
	s_load_dword s3, s[4:5], 0x44
	s_waitcnt lgkmcnt(0)
	v_div_scale_f32 v4, s[0:1], v3, v3, s2
	s_load_dwordx2 s[0:1], s[4:5], 0x20
	v_rcp_f32_e32 v5, v4
	v_div_scale_f32 v6, vcc, s2, v3, s2
	s_and_b32 s3, s3, 0xffff
	v_fma_f32 v7, -v4, v5, 1.0
	v_fmac_f32_e32 v5, v7, v5
	v_mul_f32_e32 v7, v6, v5
	v_fma_f32 v8, -v4, v7, v6
	v_fmac_f32_e32 v7, v8, v5
	v_fma_f32 v4, -v4, v7, v6
	v_div_fmas_f32 v4, v4, v5, v7
	v_div_fixup_f32 v3, v4, v3, s2
	s_ashr_i32 s2, s6, 31
	s_waitcnt lgkmcnt(0)
	s_mul_i32 s1, s6, s1
	s_mul_hi_u32 s4, s6, s0
	s_add_i32 s1, s4, s1
	s_mul_i32 s2, s2, s0
	s_add_i32 s4, s1, s2
	v_mul_f32_e32 v2, v2, v3
	s_mul_i32 s2, s6, s0
	s_mov_b64 s[0:1], 0
	v_mov_b32_e32 v3, s4
	v_mov_b32_e32 v4, s17
	v_mov_b32_e32 v5, s19
.LBB269_24:                             ; =>This Inner Loop Header: Depth=1
	v_ashrrev_i32_e32 v7, 31, v0
	v_add_co_u32_e32 v6, vcc, s2, v0
	v_addc_co_u32_e32 v7, vcc, v3, v7, vcc
	v_add_u32_e32 v0, s3, v0
	v_cmp_le_i32_e32 vcc, s21, v0
	v_lshlrev_b64 v[6:7], 2, v[6:7]
	s_or_b64 s[0:1], vcc, s[0:1]
	v_add_co_u32_e32 v8, vcc, s16, v6
	v_addc_co_u32_e32 v9, vcc, v4, v7, vcc
	v_add_co_u32_e32 v6, vcc, s18, v6
	v_addc_co_u32_e32 v7, vcc, v5, v7, vcc
	global_store_dword v[8:9], v2, off
	global_store_dword v[6:7], v1, off
	s_andn2_b64 exec, exec, s[0:1]
	s_cbranch_execnz .LBB269_24
.LBB269_25:
	s_endpgm
	.section	.rodata,"a",@progbits
	.p2align	6, 0x0
	.amdhsa_kernel _ZN5aiter20topk_softplus_kernelI12hip_bfloat166__halfDv2_fLb1ELi0EEEvPKT_PKT0_PfPimiiif
		.amdhsa_group_segment_fixed_size 0
		.amdhsa_private_segment_fixed_size 0
		.amdhsa_kernarg_size 312
		.amdhsa_user_sgpr_count 6
		.amdhsa_user_sgpr_private_segment_buffer 1
		.amdhsa_user_sgpr_dispatch_ptr 0
		.amdhsa_user_sgpr_queue_ptr 0
		.amdhsa_user_sgpr_kernarg_segment_ptr 1
		.amdhsa_user_sgpr_dispatch_id 0
		.amdhsa_user_sgpr_flat_scratch_init 0
		.amdhsa_user_sgpr_kernarg_preload_length 0
		.amdhsa_user_sgpr_kernarg_preload_offset 0
		.amdhsa_user_sgpr_private_segment_size 0
		.amdhsa_uses_dynamic_stack 0
		.amdhsa_system_sgpr_private_segment_wavefront_offset 0
		.amdhsa_system_sgpr_workgroup_id_x 1
		.amdhsa_system_sgpr_workgroup_id_y 0
		.amdhsa_system_sgpr_workgroup_id_z 0
		.amdhsa_system_sgpr_workgroup_info 0
		.amdhsa_system_vgpr_workitem_id 0
		.amdhsa_next_free_vgpr 21
		.amdhsa_next_free_sgpr 32
		.amdhsa_accum_offset 24
		.amdhsa_reserve_vcc 1
		.amdhsa_reserve_flat_scratch 0
		.amdhsa_float_round_mode_32 0
		.amdhsa_float_round_mode_16_64 0
		.amdhsa_float_denorm_mode_32 3
		.amdhsa_float_denorm_mode_16_64 3
		.amdhsa_dx10_clamp 1
		.amdhsa_ieee_mode 1
		.amdhsa_fp16_overflow 0
		.amdhsa_tg_split 0
		.amdhsa_exception_fp_ieee_invalid_op 0
		.amdhsa_exception_fp_denorm_src 0
		.amdhsa_exception_fp_ieee_div_zero 0
		.amdhsa_exception_fp_ieee_overflow 0
		.amdhsa_exception_fp_ieee_underflow 0
		.amdhsa_exception_fp_ieee_inexact 0
		.amdhsa_exception_int_div_zero 0
	.end_amdhsa_kernel
	.section	.text._ZN5aiter20topk_softplus_kernelI12hip_bfloat166__halfDv2_fLb1ELi0EEEvPKT_PKT0_PfPimiiif,"axG",@progbits,_ZN5aiter20topk_softplus_kernelI12hip_bfloat166__halfDv2_fLb1ELi0EEEvPKT_PKT0_PfPimiiif,comdat
.Lfunc_end269:
	.size	_ZN5aiter20topk_softplus_kernelI12hip_bfloat166__halfDv2_fLb1ELi0EEEvPKT_PKT0_PfPimiiif, .Lfunc_end269-_ZN5aiter20topk_softplus_kernelI12hip_bfloat166__halfDv2_fLb1ELi0EEEvPKT_PKT0_PfPimiiif
                                        ; -- End function
	.section	.AMDGPU.csdata,"",@progbits
; Kernel info:
; codeLenInByte = 1984
; NumSgprs: 36
; NumVgprs: 21
; NumAgprs: 0
; TotalNumVgprs: 21
; ScratchSize: 0
; MemoryBound: 0
; FloatMode: 240
; IeeeMode: 1
; LDSByteSize: 0 bytes/workgroup (compile time only)
; SGPRBlocks: 4
; VGPRBlocks: 2
; NumSGPRsForWavesPerEU: 36
; NumVGPRsForWavesPerEU: 21
; AccumOffset: 24
; Occupancy: 8
; WaveLimiterHint : 0
; COMPUTE_PGM_RSRC2:SCRATCH_EN: 0
; COMPUTE_PGM_RSRC2:USER_SGPR: 6
; COMPUTE_PGM_RSRC2:TRAP_HANDLER: 0
; COMPUTE_PGM_RSRC2:TGID_X_EN: 1
; COMPUTE_PGM_RSRC2:TGID_Y_EN: 0
; COMPUTE_PGM_RSRC2:TGID_Z_EN: 0
; COMPUTE_PGM_RSRC2:TIDIG_COMP_CNT: 0
; COMPUTE_PGM_RSRC3_GFX90A:ACCUM_OFFSET: 5
; COMPUTE_PGM_RSRC3_GFX90A:TG_SPLIT: 0
	.section	.text._ZN5aiter20topk_softplus_kernelI12hip_bfloat166__halfDv2_fLb0ELi0EEEvPKT_PKT0_PfPimiiif,"axG",@progbits,_ZN5aiter20topk_softplus_kernelI12hip_bfloat166__halfDv2_fLb0ELi0EEEvPKT_PKT0_PfPimiiif,comdat
	.protected	_ZN5aiter20topk_softplus_kernelI12hip_bfloat166__halfDv2_fLb0ELi0EEEvPKT_PKT0_PfPimiiif ; -- Begin function _ZN5aiter20topk_softplus_kernelI12hip_bfloat166__halfDv2_fLb0ELi0EEEvPKT_PKT0_PfPimiiif
	.globl	_ZN5aiter20topk_softplus_kernelI12hip_bfloat166__halfDv2_fLb0ELi0EEEvPKT_PKT0_PfPimiiif
	.p2align	8
	.type	_ZN5aiter20topk_softplus_kernelI12hip_bfloat166__halfDv2_fLb0ELi0EEEvPKT_PKT0_PfPimiiif,@function
_ZN5aiter20topk_softplus_kernelI12hip_bfloat166__halfDv2_fLb0ELi0EEEvPKT_PKT0_PfPimiiif: ; @_ZN5aiter20topk_softplus_kernelI12hip_bfloat166__halfDv2_fLb0ELi0EEEvPKT_PKT0_PfPimiiif
; %bb.0:
	s_load_dwordx2 s[20:21], s[4:5], 0x28
	s_load_dwordx8 s[12:19], s[4:5], 0x0
	v_lshl_add_u32 v6, v0, 3, 0
	s_waitcnt lgkmcnt(0)
	s_lshr_b32 s1, s20, 31
	s_mul_i32 s0, s6, s20
	s_add_i32 s1, s20, s1
	s_ashr_i32 s7, s1, 1
	s_ashr_i32 s1, s0, 31
	s_lshl_b64 s[0:1], s[0:1], 1
	s_add_u32 s24, s12, s0
	s_addc_u32 s25, s13, s1
	v_cmp_gt_i32_e64 s[0:1], s7, v0
	s_and_saveexec_b64 s[12:13], s[0:1]
	s_cbranch_execz .LBB270_7
; %bb.1:
	s_load_dword s8, s[4:5], 0x44
	s_cmp_lg_u64 s[14:15], 0
	s_cselect_b64 s[2:3], -1, 0
	v_cndmask_b32_e64 v4, 0, 1, s[2:3]
	s_mov_b64 s[22:23], 0
	s_waitcnt lgkmcnt(0)
	s_and_b32 s26, s8, 0xffff
	s_mov_b32 s8, 0
	v_lshlrev_b32_e32 v2, 2, v0
	v_mov_b32_e32 v1, 0
	s_lshl_b32 s27, s26, 2
	v_lshl_add_u32 v3, v0, 3, 0
	s_lshl_b32 s28, s26, 3
	v_mov_b32_e32 v7, s25
	s_mov_b32 s29, 0xc2fc0000
	v_mov_b32_e32 v8, 0x42800000
	v_mov_b32_e32 v9, 0x1f800000
	s_mov_b32 s30, 0x800000
	v_mov_b32_e32 v10, 0x4f800000
	;; [unrolled: 3-line block ×3, first 2 shown]
	v_cmp_ne_u32_e64 s[2:3], 1, v4
	v_mov_b32_e32 v13, s8
	v_mov_b32_e32 v14, 20
	v_mov_b32_e32 v15, v0
	s_branch .LBB270_3
.LBB270_2:                              ;   in Loop: Header=BB270_3 Depth=1
	v_add_co_u32_e32 v2, vcc, s27, v2
	v_add_u32_e32 v15, s26, v15
	v_addc_co_u32_e32 v1, vcc, v1, v13, vcc
	v_cmp_le_i32_e32 vcc, s7, v15
	ds_write_b64 v3, v[4:5]
	s_or_b64 s[22:23], vcc, s[22:23]
	v_add_u32_e32 v3, s28, v3
	s_andn2_b64 exec, exec, s[22:23]
	s_cbranch_execz .LBB270_7
.LBB270_3:                              ; =>This Inner Loop Header: Depth=1
	v_add_co_u32_e32 v4, vcc, s24, v2
	v_addc_co_u32_e32 v5, vcc, v7, v1, vcc
	global_load_dword v5, v[4:5], off
	s_waitcnt vmcnt(0)
	v_cvt_f32_u32_sdwa v4, v5 dst_sel:DWORD dst_unused:UNUSED_PAD src0_sel:WORD_0
	v_mul_f32_e32 v16, 0x3fb8aa3b, v4
	v_cmp_gt_f32_e32 vcc, s29, v16
	v_cndmask_b32_e32 v16, 0, v8, vcc
	v_fmac_f32_e32 v16, 0x3fb8aa3b, v4
	v_exp_f32_e32 v16, v16
	v_cndmask_b32_e32 v17, 1.0, v9, vcc
	v_fma_f32 v16, v16, v17, 1.0
	v_cmp_gt_f32_e32 vcc, s30, v16
	v_cndmask_b32_e32 v17, 1.0, v10, vcc
	v_mul_f32_e32 v16, v16, v17
	v_log_f32_e32 v16, v16
	v_cndmask_b32_e32 v17, 0, v11, vcc
	v_cmp_lt_u16_e32 vcc, 20, v5
	v_sub_f32_e32 v16, v16, v17
	v_mul_f32_e32 v16, 0x3f317218, v16
	v_cndmask_b32_e32 v4, v16, v4, vcc
	v_mul_f32_e32 v16, 0x4f800000, v4
	v_cmp_gt_f32_e64 s[8:9], s31, v4
	v_cndmask_b32_e64 v4, v4, v16, s[8:9]
	v_sqrt_f32_e32 v16, v4
	s_and_b64 vcc, exec, s[2:3]
	v_add_u32_e32 v17, -1, v16
	v_add_u32_e32 v18, 1, v16
	v_fma_f32 v19, -v17, v16, v4
	v_fma_f32 v20, -v18, v16, v4
	v_cmp_ge_f32_e64 s[10:11], 0, v19
	v_cndmask_b32_e64 v16, v16, v17, s[10:11]
	v_cmp_lt_f32_e64 s[10:11], 0, v20
	v_cndmask_b32_e64 v16, v16, v18, s[10:11]
	v_mul_f32_e32 v17, 0x37800000, v16
	v_cndmask_b32_e64 v16, v16, v17, s[8:9]
	v_cmp_class_f32_e64 s[8:9], v4, v12
	v_cndmask_b32_e64 v4, v16, v4, s[8:9]
	s_cbranch_vccnz .LBB270_5
; %bb.4:                                ;   in Loop: Header=BB270_3 Depth=1
	v_mov_b32_e32 v17, s15
	v_add_co_u32_e32 v16, vcc, s14, v2
	v_addc_co_u32_e32 v17, vcc, v17, v1, vcc
	global_load_ushort v16, v[16:17], off
	s_waitcnt vmcnt(0)
	v_cvt_f32_f16_e32 v16, v16
	v_add_f32_e32 v4, v4, v16
.LBB270_5:                              ;   in Loop: Header=BB270_3 Depth=1
	v_cvt_f32_u32_sdwa v16, v5 dst_sel:DWORD dst_unused:UNUSED_PAD src0_sel:WORD_1
	v_mul_f32_e32 v17, 0x3fb8aa3b, v16
	v_cmp_gt_f32_e32 vcc, s29, v17
	v_cndmask_b32_e32 v17, 0, v8, vcc
	v_fmac_f32_e32 v17, 0x3fb8aa3b, v16
	v_exp_f32_e32 v17, v17
	v_cndmask_b32_e32 v18, 1.0, v9, vcc
	v_fma_f32 v17, v17, v18, 1.0
	v_cmp_gt_f32_e32 vcc, s30, v17
	v_cndmask_b32_e32 v18, 1.0, v10, vcc
	v_mul_f32_e32 v17, v17, v18
	v_log_f32_e32 v17, v17
	v_cndmask_b32_e32 v18, 0, v11, vcc
	v_cmp_gt_u16_sdwa vcc, v5, v14 src0_sel:WORD_1 src1_sel:DWORD
	v_sub_f32_e32 v17, v17, v18
	v_mul_f32_e32 v17, 0x3f317218, v17
	v_cndmask_b32_e32 v5, v17, v16, vcc
	v_mul_f32_e32 v16, 0x4f800000, v5
	v_cmp_gt_f32_e64 s[8:9], s31, v5
	v_cndmask_b32_e64 v5, v5, v16, s[8:9]
	v_sqrt_f32_e32 v16, v5
	s_and_b64 vcc, exec, s[2:3]
	v_add_u32_e32 v17, -1, v16
	v_add_u32_e32 v18, 1, v16
	v_fma_f32 v19, -v17, v16, v5
	v_fma_f32 v20, -v18, v16, v5
	v_cmp_ge_f32_e64 s[10:11], 0, v19
	v_cndmask_b32_e64 v16, v16, v17, s[10:11]
	v_cmp_lt_f32_e64 s[10:11], 0, v20
	v_cndmask_b32_e64 v16, v16, v18, s[10:11]
	v_mul_f32_e32 v17, 0x37800000, v16
	v_cndmask_b32_e64 v16, v16, v17, s[8:9]
	v_cmp_class_f32_e64 s[8:9], v5, v12
	v_cndmask_b32_e64 v5, v16, v5, s[8:9]
	s_cbranch_vccnz .LBB270_2
; %bb.6:                                ;   in Loop: Header=BB270_3 Depth=1
	v_mov_b32_e32 v17, s15
	v_add_co_u32_e32 v16, vcc, s14, v2
	v_addc_co_u32_e32 v17, vcc, v17, v1, vcc
	global_load_ushort v16, v[16:17], off offset:2
	s_waitcnt vmcnt(0)
	v_cvt_f32_f16_e32 v16, v16
	v_add_f32_e32 v5, v5, v16
	s_branch .LBB270_2
.LBB270_7:
	s_or_b64 exec, exec, s[12:13]
	v_lshl_add_u32 v2, s7, 1, v0
	v_cmp_gt_i32_e32 vcc, s20, v2
	s_and_saveexec_b64 s[10:11], vcc
	s_cbranch_execz .LBB270_12
; %bb.8:
	s_load_dword s8, s[4:5], 0x44
	s_cmp_lg_u64 s[14:15], 0
	s_cselect_b64 s[2:3], -1, 0
	s_lshl_b32 s9, s7, 3
	v_cndmask_b32_e64 v3, 0, 1, s[2:3]
	s_waitcnt lgkmcnt(0)
	s_and_b32 s22, s8, 0xffff
	s_add_i32 s8, s9, 0
	s_mov_b64 s[12:13], 0
	v_lshl_add_u32 v1, v0, 2, s8
	s_lshl_b32 s23, s22, 2
	v_mov_b32_e32 v7, s25
	s_mov_b32 s25, 0x41a00000
	s_mov_b32 s26, 0xc2fc0000
	v_mov_b32_e32 v8, 0x42800000
	v_mov_b32_e32 v9, 0x1f800000
	s_mov_b32 s27, 0x800000
	v_mov_b32_e32 v10, 0x4f800000
	v_mov_b32_e32 v11, 0x42000000
	s_mov_b32 s28, 0xf800000
	v_mov_b32_e32 v12, 0x260
	v_cmp_ne_u32_e64 s[2:3], 1, v3
	s_branch .LBB270_10
.LBB270_9:                              ;   in Loop: Header=BB270_10 Depth=1
	v_add_u32_e32 v2, s22, v2
	v_cmp_le_i32_e32 vcc, s20, v2
	s_or_b64 s[12:13], vcc, s[12:13]
	v_add_u32_e32 v1, s23, v1
	s_andn2_b64 exec, exec, s[12:13]
	s_cbranch_execz .LBB270_12
.LBB270_10:                             ; =>This Inner Loop Header: Depth=1
	v_ashrrev_i32_e32 v3, 31, v2
	v_lshlrev_b64 v[4:5], 1, v[2:3]
	v_add_co_u32_e32 v14, vcc, s24, v4
	v_addc_co_u32_e32 v15, vcc, v7, v5, vcc
	global_load_ushort v3, v[14:15], off
	s_waitcnt vmcnt(0)
	v_lshlrev_b32_e32 v3, 16, v3
	v_mul_f32_e32 v13, 0x3fb8aa3b, v3
	v_cmp_gt_f32_e32 vcc, s26, v13
	v_cndmask_b32_e32 v13, 0, v8, vcc
	v_fmac_f32_e32 v13, 0x3fb8aa3b, v3
	v_exp_f32_e32 v13, v13
	v_cndmask_b32_e32 v14, 1.0, v9, vcc
	v_fma_f32 v13, v13, v14, 1.0
	v_cmp_gt_f32_e32 vcc, s27, v13
	v_cndmask_b32_e32 v14, 1.0, v10, vcc
	v_mul_f32_e32 v13, v13, v14
	v_log_f32_e32 v13, v13
	v_cndmask_b32_e32 v14, 0, v11, vcc
	v_cmp_lt_f32_e32 vcc, s25, v3
	v_sub_f32_e32 v13, v13, v14
	v_mul_f32_e32 v13, 0x3f317218, v13
	v_cndmask_b32_e32 v3, v13, v3, vcc
	v_mul_f32_e32 v13, 0x4f800000, v3
	v_cmp_gt_f32_e32 vcc, s28, v3
	v_cndmask_b32_e32 v3, v3, v13, vcc
	v_sqrt_f32_e32 v13, v3
	v_add_u32_e32 v14, -1, v13
	v_add_u32_e32 v15, 1, v13
	v_fma_f32 v16, -v14, v13, v3
	v_fma_f32 v17, -v15, v13, v3
	v_cmp_ge_f32_e64 s[8:9], 0, v16
	v_cndmask_b32_e64 v13, v13, v14, s[8:9]
	v_cmp_lt_f32_e64 s[8:9], 0, v17
	v_cndmask_b32_e64 v13, v13, v15, s[8:9]
	v_mul_f32_e32 v14, 0x37800000, v13
	v_cndmask_b32_e32 v13, v13, v14, vcc
	v_cmp_class_f32_e32 vcc, v3, v12
	v_cndmask_b32_e32 v3, v13, v3, vcc
	s_and_b64 vcc, exec, s[2:3]
	ds_write_b32 v1, v3
	s_cbranch_vccnz .LBB270_9
; %bb.11:                               ;   in Loop: Header=BB270_10 Depth=1
	v_mov_b32_e32 v13, s15
	v_add_co_u32_e32 v4, vcc, s14, v4
	v_addc_co_u32_e32 v5, vcc, v13, v5, vcc
	global_load_ushort v4, v[4:5], off
	s_waitcnt vmcnt(0)
	v_cvt_f32_f16_e32 v4, v4
	v_add_f32_e32 v3, v3, v4
	ds_write_b32 v1, v3
	s_branch .LBB270_9
.LBB270_12:
	s_or_b64 exec, exec, s[10:11]
	s_cmp_lt_i32 s21, 1
	s_waitcnt lgkmcnt(0)
	s_barrier
	s_cbranch_scc1 .LBB270_21
; %bb.13:
	s_add_u32 s2, s4, 56
	s_addc_u32 s3, s5, 0
	v_mbcnt_lo_u32_b32 v2, -1, 0
	s_cmp_lg_u64 s[14:15], 0
	v_mbcnt_hi_u32_b32 v2, -1, v2
	v_bfrev_b32_e32 v5, 0.5
	s_cselect_b64 s[8:9], -1, 0
	v_lshlrev_b32_e32 v3, 1, v0
	s_mov_b32 s20, 0
	v_mov_b32_e32 v1, 0
	v_mov_b32_e32 v4, 0
	v_lshl_or_b32 v5, v2, 2, v5
	v_mov_b32_e32 v7, 0xff800000
	v_mov_b32_e32 v2, 0
	s_branch .LBB270_15
.LBB270_14:                             ;   in Loop: Header=BB270_15 Depth=1
	s_lshl_b32 s11, s10, 2
	s_add_i32 s11, s11, 0
	v_mov_b32_e32 v8, s11
	ds_write_b32 v8, v7
	v_mov_b32_e32 v8, s10
	v_cmp_eq_u32_e32 vcc, s20, v0
	s_add_i32 s20, s20, 1
	v_cndmask_b32_e32 v1, v1, v8, vcc
	s_cmp_eq_u32 s20, s21
	v_cndmask_b32_e32 v2, v2, v10, vcc
	s_cbranch_scc1 .LBB270_22
.LBB270_15:                             ; =>This Loop Header: Depth=1
                                        ;     Child Loop BB270_17 Depth 2
	v_mov_b32_e32 v8, s20
	v_mov_b32_e32 v9, 0xff800000
	s_and_saveexec_b64 s[10:11], s[0:1]
	s_cbranch_execz .LBB270_19
; %bb.16:                               ;   in Loop: Header=BB270_15 Depth=1
	s_load_dword s22, s[2:3], 0xc
	s_mov_b64 s[12:13], 0
	v_mov_b32_e32 v8, s20
	v_mov_b32_e32 v9, 0xff800000
	;; [unrolled: 1-line block ×3, first 2 shown]
	s_waitcnt lgkmcnt(0)
	s_and_b32 s22, s22, 0xffff
	s_lshl_b32 s23, s22, 1
	s_lshl_b32 s24, s22, 3
	v_mov_b32_e32 v11, v3
	v_mov_b32_e32 v12, v0
.LBB270_17:                             ;   Parent Loop BB270_15 Depth=1
                                        ; =>  This Inner Loop Header: Depth=2
	ds_read_b64 v[14:15], v10
	v_add_u32_e32 v12, s22, v12
	v_cmp_le_i32_e32 vcc, s7, v12
	s_or_b64 s[12:13], vcc, s[12:13]
	v_add_u32_e32 v13, 1, v11
	s_waitcnt lgkmcnt(0)
	v_cmp_gt_f32_e32 vcc, v14, v9
	v_cndmask_b32_e32 v9, v9, v14, vcc
	v_cndmask_b32_e32 v8, v8, v11, vcc
	v_cmp_gt_f32_e32 vcc, v15, v9
	v_add_u32_e32 v10, s24, v10
	v_cndmask_b32_e32 v9, v9, v15, vcc
	v_add_u32_e32 v11, s23, v11
	v_cndmask_b32_e32 v8, v8, v13, vcc
	s_andn2_b64 exec, exec, s[12:13]
	s_cbranch_execnz .LBB270_17
; %bb.18:                               ;   in Loop: Header=BB270_15 Depth=1
	s_or_b64 exec, exec, s[12:13]
.LBB270_19:                             ;   in Loop: Header=BB270_15 Depth=1
	s_or_b64 exec, exec, s[10:11]
	;;#ASMSTART
	v_max_f32 v10, v9, v9 quad_perm:[1,0,3,2] row_mask:0xf bank_mask:0xf bound_ctrl:1
	;;#ASMEND
	;;#ASMSTART
	v_max_f32 v11, v10, v10 quad_perm:[2,3,0,1] row_mask:0xf bank_mask:0xf bound_ctrl:1
	;;#ASMEND
	;;#ASMSTART
	v_max_f32 v10, v11, v11 row_half_mirror row_mask:0xf bank_mask:0xf bound_ctrl:1
	;;#ASMEND
	;;#ASMSTART
	v_max_f32 v11, v10, v10 row_mirror row_mask:0xf bank_mask:0xf bound_ctrl:1
	;;#ASMEND
	;;#ASMSTART
	v_max_f32 v10, v11, v11 row_ror:4 row_mask:0xf bank_mask:0xf bound_ctrl:1
	;;#ASMEND
	;;#ASMSTART
	v_max_f32 v11, v10, v10 row_ror:8 row_mask:0xf bank_mask:0xf bound_ctrl:1
	;;#ASMEND
	;;#ASMSTART
	v_max_f32 v10, v11, v11 row_bcast:15 row_mask:0xf bank_mask:0xf bound_ctrl:1
	;;#ASMEND
	;;#ASMSTART
	v_max_f32 v11, v10, v10 row_bcast:31 row_mask:0xf bank_mask:0xf bound_ctrl:1
	;;#ASMEND
	ds_bpermute_b32 v10, v5, v11
	s_waitcnt lgkmcnt(0)
	v_cmp_eq_f32_e32 vcc, v9, v10
	s_ff1_i32_b64 s10, vcc
	s_cmp_lg_u64 vcc, 0
	s_cselect_b32 s10, s10, 0
	s_and_b64 vcc, exec, s[8:9]
	v_readlane_b32 s10, v8, s10
	s_cbranch_vccz .LBB270_14
; %bb.20:                               ;   in Loop: Header=BB270_15 Depth=1
	s_ashr_i32 s11, s10, 31
	s_lshl_b64 s[12:13], s[10:11], 1
	s_add_u32 s12, s14, s12
	s_addc_u32 s13, s15, s13
	global_load_ushort v8, v4, s[12:13]
	s_waitcnt vmcnt(0)
	v_cvt_f32_f16_e32 v8, v8
	v_sub_f32_e32 v10, v10, v8
	s_branch .LBB270_14
.LBB270_21:
	v_mov_b32_e32 v2, 0
	v_mov_b32_e32 v1, 0
.LBB270_22:
	v_cmp_gt_i32_e32 vcc, s21, v0
	s_and_saveexec_b64 s[0:1], vcc
	s_cbranch_execz .LBB270_25
; %bb.23:
	s_load_dword s2, s[4:5], 0x34
	s_load_dwordx2 s[0:1], s[4:5], 0x20
	s_ashr_i32 s3, s6, 31
	s_load_dword s4, s[4:5], 0x44
	v_mov_b32_e32 v4, s17
	s_waitcnt lgkmcnt(0)
	v_mul_f32_e32 v2, s2, v2
	s_mul_i32 s1, s6, s1
	s_mul_hi_u32 s2, s6, s0
	s_add_i32 s1, s2, s1
	s_mul_i32 s3, s3, s0
	s_add_i32 s5, s1, s3
	s_mul_i32 s2, s6, s0
	s_and_b32 s3, s4, 0xffff
	s_mov_b64 s[0:1], 0
	v_mov_b32_e32 v3, s5
	v_mov_b32_e32 v5, s19
.LBB270_24:                             ; =>This Inner Loop Header: Depth=1
	v_ashrrev_i32_e32 v7, 31, v0
	v_add_co_u32_e32 v6, vcc, s2, v0
	v_addc_co_u32_e32 v7, vcc, v3, v7, vcc
	v_add_u32_e32 v0, s3, v0
	v_cmp_le_i32_e32 vcc, s21, v0
	v_lshlrev_b64 v[6:7], 2, v[6:7]
	s_or_b64 s[0:1], vcc, s[0:1]
	v_add_co_u32_e32 v8, vcc, s16, v6
	v_addc_co_u32_e32 v9, vcc, v4, v7, vcc
	v_add_co_u32_e32 v6, vcc, s18, v6
	v_addc_co_u32_e32 v7, vcc, v5, v7, vcc
	global_store_dword v[8:9], v2, off
	global_store_dword v[6:7], v1, off
	s_andn2_b64 exec, exec, s[0:1]
	s_cbranch_execnz .LBB270_24
.LBB270_25:
	s_endpgm
	.section	.rodata,"a",@progbits
	.p2align	6, 0x0
	.amdhsa_kernel _ZN5aiter20topk_softplus_kernelI12hip_bfloat166__halfDv2_fLb0ELi0EEEvPKT_PKT0_PfPimiiif
		.amdhsa_group_segment_fixed_size 0
		.amdhsa_private_segment_fixed_size 0
		.amdhsa_kernarg_size 312
		.amdhsa_user_sgpr_count 6
		.amdhsa_user_sgpr_private_segment_buffer 1
		.amdhsa_user_sgpr_dispatch_ptr 0
		.amdhsa_user_sgpr_queue_ptr 0
		.amdhsa_user_sgpr_kernarg_segment_ptr 1
		.amdhsa_user_sgpr_dispatch_id 0
		.amdhsa_user_sgpr_flat_scratch_init 0
		.amdhsa_user_sgpr_kernarg_preload_length 0
		.amdhsa_user_sgpr_kernarg_preload_offset 0
		.amdhsa_user_sgpr_private_segment_size 0
		.amdhsa_uses_dynamic_stack 0
		.amdhsa_system_sgpr_private_segment_wavefront_offset 0
		.amdhsa_system_sgpr_workgroup_id_x 1
		.amdhsa_system_sgpr_workgroup_id_y 0
		.amdhsa_system_sgpr_workgroup_id_z 0
		.amdhsa_system_sgpr_workgroup_info 0
		.amdhsa_system_vgpr_workitem_id 0
		.amdhsa_next_free_vgpr 21
		.amdhsa_next_free_sgpr 32
		.amdhsa_accum_offset 24
		.amdhsa_reserve_vcc 1
		.amdhsa_reserve_flat_scratch 0
		.amdhsa_float_round_mode_32 0
		.amdhsa_float_round_mode_16_64 0
		.amdhsa_float_denorm_mode_32 3
		.amdhsa_float_denorm_mode_16_64 3
		.amdhsa_dx10_clamp 1
		.amdhsa_ieee_mode 1
		.amdhsa_fp16_overflow 0
		.amdhsa_tg_split 0
		.amdhsa_exception_fp_ieee_invalid_op 0
		.amdhsa_exception_fp_denorm_src 0
		.amdhsa_exception_fp_ieee_div_zero 0
		.amdhsa_exception_fp_ieee_overflow 0
		.amdhsa_exception_fp_ieee_underflow 0
		.amdhsa_exception_fp_ieee_inexact 0
		.amdhsa_exception_int_div_zero 0
	.end_amdhsa_kernel
	.section	.text._ZN5aiter20topk_softplus_kernelI12hip_bfloat166__halfDv2_fLb0ELi0EEEvPKT_PKT0_PfPimiiif,"axG",@progbits,_ZN5aiter20topk_softplus_kernelI12hip_bfloat166__halfDv2_fLb0ELi0EEEvPKT_PKT0_PfPimiiif,comdat
.Lfunc_end270:
	.size	_ZN5aiter20topk_softplus_kernelI12hip_bfloat166__halfDv2_fLb0ELi0EEEvPKT_PKT0_PfPimiiif, .Lfunc_end270-_ZN5aiter20topk_softplus_kernelI12hip_bfloat166__halfDv2_fLb0ELi0EEEvPKT_PKT0_PfPimiiif
                                        ; -- End function
	.section	.AMDGPU.csdata,"",@progbits
; Kernel info:
; codeLenInByte = 1884
; NumSgprs: 36
; NumVgprs: 21
; NumAgprs: 0
; TotalNumVgprs: 21
; ScratchSize: 0
; MemoryBound: 0
; FloatMode: 240
; IeeeMode: 1
; LDSByteSize: 0 bytes/workgroup (compile time only)
; SGPRBlocks: 4
; VGPRBlocks: 2
; NumSGPRsForWavesPerEU: 36
; NumVGPRsForWavesPerEU: 21
; AccumOffset: 24
; Occupancy: 8
; WaveLimiterHint : 0
; COMPUTE_PGM_RSRC2:SCRATCH_EN: 0
; COMPUTE_PGM_RSRC2:USER_SGPR: 6
; COMPUTE_PGM_RSRC2:TRAP_HANDLER: 0
; COMPUTE_PGM_RSRC2:TGID_X_EN: 1
; COMPUTE_PGM_RSRC2:TGID_Y_EN: 0
; COMPUTE_PGM_RSRC2:TGID_Z_EN: 0
; COMPUTE_PGM_RSRC2:TIDIG_COMP_CNT: 0
; COMPUTE_PGM_RSRC3_GFX90A:ACCUM_OFFSET: 5
; COMPUTE_PGM_RSRC3_GFX90A:TG_SPLIT: 0
	.section	.text._ZN5aiter20topk_softplus_kernelI12hip_bfloat166__halfDv1_fLb1ELi0EEEvPKT_PKT0_PfPimiiif,"axG",@progbits,_ZN5aiter20topk_softplus_kernelI12hip_bfloat166__halfDv1_fLb1ELi0EEEvPKT_PKT0_PfPimiiif,comdat
	.protected	_ZN5aiter20topk_softplus_kernelI12hip_bfloat166__halfDv1_fLb1ELi0EEEvPKT_PKT0_PfPimiiif ; -- Begin function _ZN5aiter20topk_softplus_kernelI12hip_bfloat166__halfDv1_fLb1ELi0EEEvPKT_PKT0_PfPimiiif
	.globl	_ZN5aiter20topk_softplus_kernelI12hip_bfloat166__halfDv1_fLb1ELi0EEEvPKT_PKT0_PfPimiiif
	.p2align	8
	.type	_ZN5aiter20topk_softplus_kernelI12hip_bfloat166__halfDv1_fLb1ELi0EEEvPKT_PKT0_PfPimiiif,@function
_ZN5aiter20topk_softplus_kernelI12hip_bfloat166__halfDv1_fLb1ELi0EEEvPKT_PKT0_PfPimiiif: ; @_ZN5aiter20topk_softplus_kernelI12hip_bfloat166__halfDv1_fLb1ELi0EEEvPKT_PKT0_PfPimiiif
; %bb.0:
	s_load_dwordx2 s[20:21], s[4:5], 0x28
	s_load_dwordx8 s[12:19], s[4:5], 0x0
	v_lshl_add_u32 v1, v0, 2, 0
	s_waitcnt lgkmcnt(0)
	s_mul_i32 s2, s6, s20
	s_ashr_i32 s3, s2, 31
	s_lshl_b64 s[2:3], s[2:3], 1
	s_add_u32 s7, s12, s2
	v_cmp_gt_i32_e64 s[0:1], s20, v0
	s_addc_u32 s24, s13, s3
	s_and_saveexec_b64 s[12:13], s[0:1]
	s_cbranch_execz .LBB271_5
; %bb.1:
	s_load_dword s8, s[4:5], 0x44
	s_cmp_lg_u64 s[14:15], 0
	s_cselect_b64 s[2:3], -1, 0
	v_cndmask_b32_e64 v2, 0, 1, s[2:3]
	s_mov_b64 s[22:23], 0
	s_waitcnt lgkmcnt(0)
	s_and_b32 s25, s8, 0xffff
	v_lshl_add_u32 v6, v0, 2, 0
	s_lshl_b32 s26, s25, 2
	v_mov_b32_e32 v7, s24
	s_mov_b32 s27, 0xc2fc0000
	v_mov_b32_e32 v8, 0x42800000
	v_mov_b32_e32 v9, 0x1f800000
	s_mov_b32 s28, 0x800000
	v_mov_b32_e32 v10, 0x4f800000
	;; [unrolled: 3-line block ×3, first 2 shown]
	v_cmp_ne_u32_e64 s[2:3], 1, v2
	v_mov_b32_e32 v2, v0
	s_branch .LBB271_3
.LBB271_2:                              ;   in Loop: Header=BB271_3 Depth=1
	v_add_u32_e32 v2, s25, v2
	v_cmp_le_i32_e32 vcc, s20, v2
	ds_write_b32 v6, v3
	s_or_b64 s[22:23], vcc, s[22:23]
	v_add_u32_e32 v6, s26, v6
	s_andn2_b64 exec, exec, s[22:23]
	s_cbranch_execz .LBB271_5
.LBB271_3:                              ; =>This Inner Loop Header: Depth=1
	v_ashrrev_i32_e32 v3, 31, v2
	v_lshlrev_b64 v[4:5], 1, v[2:3]
	v_add_co_u32_e32 v14, vcc, s7, v4
	v_addc_co_u32_e32 v15, vcc, v7, v5, vcc
	global_load_ushort v3, v[14:15], off
	s_waitcnt vmcnt(0)
	v_cvt_f32_u32_e32 v13, v3
	v_mul_f32_e32 v14, 0x3fb8aa3b, v13
	v_cmp_gt_f32_e32 vcc, s27, v14
	v_cndmask_b32_e32 v14, 0, v8, vcc
	v_fmac_f32_e32 v14, 0x3fb8aa3b, v13
	v_exp_f32_e32 v14, v14
	v_cndmask_b32_e32 v15, 1.0, v9, vcc
	v_fma_f32 v14, v14, v15, 1.0
	v_cmp_gt_f32_e32 vcc, s28, v14
	v_cndmask_b32_e32 v15, 1.0, v10, vcc
	v_mul_f32_e32 v14, v14, v15
	v_log_f32_e32 v14, v14
	v_cndmask_b32_e32 v15, 0, v11, vcc
	v_cmp_lt_u32_e32 vcc, 20, v3
	v_sub_f32_e32 v14, v14, v15
	v_mul_f32_e32 v14, 0x3f317218, v14
	v_cndmask_b32_e32 v3, v14, v13, vcc
	v_mul_f32_e32 v13, 0x4f800000, v3
	v_cmp_gt_f32_e64 s[8:9], s29, v3
	v_cndmask_b32_e64 v3, v3, v13, s[8:9]
	v_sqrt_f32_e32 v13, v3
	s_and_b64 vcc, exec, s[2:3]
	v_add_u32_e32 v14, -1, v13
	v_add_u32_e32 v15, 1, v13
	v_fma_f32 v16, -v14, v13, v3
	v_fma_f32 v17, -v15, v13, v3
	v_cmp_ge_f32_e64 s[10:11], 0, v16
	v_cndmask_b32_e64 v13, v13, v14, s[10:11]
	v_cmp_lt_f32_e64 s[10:11], 0, v17
	v_cndmask_b32_e64 v13, v13, v15, s[10:11]
	v_mul_f32_e32 v14, 0x37800000, v13
	v_cndmask_b32_e64 v13, v13, v14, s[8:9]
	v_cmp_class_f32_e64 s[8:9], v3, v12
	v_cndmask_b32_e64 v3, v13, v3, s[8:9]
	s_cbranch_vccnz .LBB271_2
; %bb.4:                                ;   in Loop: Header=BB271_3 Depth=1
	v_mov_b32_e32 v13, s15
	v_add_co_u32_e32 v4, vcc, s14, v4
	v_addc_co_u32_e32 v5, vcc, v13, v5, vcc
	global_load_ushort v4, v[4:5], off
	s_waitcnt vmcnt(0)
	v_cvt_f32_f16_e32 v4, v4
	v_add_f32_e32 v3, v3, v4
	s_branch .LBB271_2
.LBB271_5:
	s_or_b64 exec, exec, s[12:13]
	v_add_u32_e32 v2, s20, v0
	v_cmp_gt_i32_e32 vcc, s20, v2
	s_and_saveexec_b64 s[10:11], vcc
	s_cbranch_execz .LBB271_10
; %bb.6:
	s_load_dword s8, s[4:5], 0x44
	s_cmp_lg_u64 s[14:15], 0
	s_cselect_b64 s[2:3], -1, 0
	v_cndmask_b32_e64 v3, 0, 1, s[2:3]
	s_mov_b64 s[12:13], 0
	s_waitcnt lgkmcnt(0)
	s_and_b32 s22, s8, 0xffff
	v_lshl_add_u32 v6, v2, 2, 0
	s_lshl_b32 s23, s22, 2
	v_mov_b32_e32 v7, s24
	s_mov_b32 s24, 0x41a00000
	s_mov_b32 s25, 0xc2fc0000
	v_mov_b32_e32 v8, 0x42800000
	v_mov_b32_e32 v9, 0x1f800000
	s_mov_b32 s26, 0x800000
	v_mov_b32_e32 v10, 0x4f800000
	v_mov_b32_e32 v11, 0x42000000
	s_mov_b32 s27, 0xf800000
	v_mov_b32_e32 v12, 0x260
	v_cmp_ne_u32_e64 s[2:3], 1, v3
	s_branch .LBB271_8
.LBB271_7:                              ;   in Loop: Header=BB271_8 Depth=1
	v_add_u32_e32 v2, s22, v2
	v_cmp_le_i32_e32 vcc, s20, v2
	s_or_b64 s[12:13], vcc, s[12:13]
	v_add_u32_e32 v6, s23, v6
	s_andn2_b64 exec, exec, s[12:13]
	s_cbranch_execz .LBB271_10
.LBB271_8:                              ; =>This Inner Loop Header: Depth=1
	v_ashrrev_i32_e32 v3, 31, v2
	v_lshlrev_b64 v[4:5], 1, v[2:3]
	v_add_co_u32_e32 v14, vcc, s7, v4
	v_addc_co_u32_e32 v15, vcc, v7, v5, vcc
	global_load_ushort v3, v[14:15], off
	s_waitcnt vmcnt(0)
	v_lshlrev_b32_e32 v3, 16, v3
	v_mul_f32_e32 v13, 0x3fb8aa3b, v3
	v_cmp_gt_f32_e32 vcc, s25, v13
	v_cndmask_b32_e32 v13, 0, v8, vcc
	v_fmac_f32_e32 v13, 0x3fb8aa3b, v3
	v_exp_f32_e32 v13, v13
	v_cndmask_b32_e32 v14, 1.0, v9, vcc
	v_fma_f32 v13, v13, v14, 1.0
	v_cmp_gt_f32_e32 vcc, s26, v13
	v_cndmask_b32_e32 v14, 1.0, v10, vcc
	v_mul_f32_e32 v13, v13, v14
	v_log_f32_e32 v13, v13
	v_cndmask_b32_e32 v14, 0, v11, vcc
	v_cmp_lt_f32_e32 vcc, s24, v3
	v_sub_f32_e32 v13, v13, v14
	v_mul_f32_e32 v13, 0x3f317218, v13
	v_cndmask_b32_e32 v3, v13, v3, vcc
	v_mul_f32_e32 v13, 0x4f800000, v3
	v_cmp_gt_f32_e32 vcc, s27, v3
	v_cndmask_b32_e32 v3, v3, v13, vcc
	v_sqrt_f32_e32 v13, v3
	v_add_u32_e32 v14, -1, v13
	v_add_u32_e32 v15, 1, v13
	v_fma_f32 v16, -v14, v13, v3
	v_fma_f32 v17, -v15, v13, v3
	v_cmp_ge_f32_e64 s[8:9], 0, v16
	v_cndmask_b32_e64 v13, v13, v14, s[8:9]
	v_cmp_lt_f32_e64 s[8:9], 0, v17
	v_cndmask_b32_e64 v13, v13, v15, s[8:9]
	v_mul_f32_e32 v14, 0x37800000, v13
	v_cndmask_b32_e32 v13, v13, v14, vcc
	v_cmp_class_f32_e32 vcc, v3, v12
	v_cndmask_b32_e32 v3, v13, v3, vcc
	s_and_b64 vcc, exec, s[2:3]
	ds_write_b32 v6, v3
	s_cbranch_vccnz .LBB271_7
; %bb.9:                                ;   in Loop: Header=BB271_8 Depth=1
	v_mov_b32_e32 v13, s15
	v_add_co_u32_e32 v4, vcc, s14, v4
	v_addc_co_u32_e32 v5, vcc, v13, v5, vcc
	global_load_ushort v4, v[4:5], off
	s_waitcnt vmcnt(0)
	v_cvt_f32_f16_e32 v4, v4
	v_add_f32_e32 v3, v3, v4
	ds_write_b32 v6, v3
	s_branch .LBB271_7
.LBB271_10:
	s_or_b64 exec, exec, s[10:11]
	s_cmp_lt_i32 s21, 1
	v_mov_b32_e32 v3, 0
	s_waitcnt lgkmcnt(0)
	s_barrier
	s_cbranch_scc1 .LBB271_19
; %bb.11:
	s_add_u32 s2, s4, 56
	s_addc_u32 s3, s5, 0
	v_mbcnt_lo_u32_b32 v2, -1, 0
	s_cmp_lg_u64 s[14:15], 0
	v_mbcnt_hi_u32_b32 v2, -1, v2
	v_bfrev_b32_e32 v4, 0.5
	s_cselect_b64 s[8:9], -1, 0
	s_mov_b32 s7, 0
	v_mov_b32_e32 v3, 0
	v_lshl_or_b32 v5, v2, 2, v4
	v_mov_b32_e32 v6, 0
	v_mov_b32_e32 v7, 0xff800000
	;; [unrolled: 1-line block ×4, first 2 shown]
	s_branch .LBB271_13
.LBB271_12:                             ;   in Loop: Header=BB271_13 Depth=1
	s_lshl_b32 s11, s10, 2
	s_add_i32 s11, s11, 0
	v_mov_b32_e32 v8, s11
	ds_write_b32 v8, v7
	v_mov_b32_e32 v8, s10
	v_cmp_eq_u32_e32 vcc, s7, v0
	s_add_i32 s7, s7, 1
	v_cndmask_b32_e32 v2, v2, v8, vcc
	v_cndmask_b32_e32 v3, v3, v10, vcc
	s_cmp_eq_u32 s7, s21
	v_add_f32_e32 v4, v4, v10
	s_cbranch_scc1 .LBB271_20
.LBB271_13:                             ; =>This Loop Header: Depth=1
                                        ;     Child Loop BB271_15 Depth 2
	v_mov_b32_e32 v8, s7
	v_mov_b32_e32 v9, 0xff800000
	s_and_saveexec_b64 s[10:11], s[0:1]
	s_cbranch_execz .LBB271_17
; %bb.14:                               ;   in Loop: Header=BB271_13 Depth=1
	s_load_dword s22, s[2:3], 0xc
	s_mov_b64 s[12:13], 0
	v_mov_b32_e32 v8, s7
	v_mov_b32_e32 v9, 0xff800000
	;; [unrolled: 1-line block ×3, first 2 shown]
	s_waitcnt lgkmcnt(0)
	s_and_b32 s22, s22, 0xffff
	s_lshl_b32 s23, s22, 2
	v_mov_b32_e32 v11, v0
.LBB271_15:                             ;   Parent Loop BB271_13 Depth=1
                                        ; =>  This Inner Loop Header: Depth=2
	ds_read_b32 v12, v10
	v_add_u32_e32 v10, s23, v10
	s_waitcnt lgkmcnt(0)
	v_cmp_gt_f32_e32 vcc, v12, v9
	v_cndmask_b32_e32 v8, v8, v11, vcc
	v_add_u32_e32 v11, s22, v11
	v_cndmask_b32_e32 v9, v9, v12, vcc
	v_cmp_le_i32_e32 vcc, s20, v11
	s_or_b64 s[12:13], vcc, s[12:13]
	s_andn2_b64 exec, exec, s[12:13]
	s_cbranch_execnz .LBB271_15
; %bb.16:                               ;   in Loop: Header=BB271_13 Depth=1
	s_or_b64 exec, exec, s[12:13]
.LBB271_17:                             ;   in Loop: Header=BB271_13 Depth=1
	s_or_b64 exec, exec, s[10:11]
	;;#ASMSTART
	v_max_f32 v10, v9, v9 quad_perm:[1,0,3,2] row_mask:0xf bank_mask:0xf bound_ctrl:1
	;;#ASMEND
	;;#ASMSTART
	v_max_f32 v11, v10, v10 quad_perm:[2,3,0,1] row_mask:0xf bank_mask:0xf bound_ctrl:1
	;;#ASMEND
	;;#ASMSTART
	v_max_f32 v10, v11, v11 row_half_mirror row_mask:0xf bank_mask:0xf bound_ctrl:1
	;;#ASMEND
	;;#ASMSTART
	v_max_f32 v11, v10, v10 row_mirror row_mask:0xf bank_mask:0xf bound_ctrl:1
	;;#ASMEND
	;;#ASMSTART
	v_max_f32 v10, v11, v11 row_ror:4 row_mask:0xf bank_mask:0xf bound_ctrl:1
	;;#ASMEND
	;;#ASMSTART
	v_max_f32 v11, v10, v10 row_ror:8 row_mask:0xf bank_mask:0xf bound_ctrl:1
	;;#ASMEND
	;;#ASMSTART
	v_max_f32 v10, v11, v11 row_bcast:15 row_mask:0xf bank_mask:0xf bound_ctrl:1
	;;#ASMEND
	;;#ASMSTART
	v_max_f32 v11, v10, v10 row_bcast:31 row_mask:0xf bank_mask:0xf bound_ctrl:1
	;;#ASMEND
	ds_bpermute_b32 v10, v5, v11
	s_waitcnt lgkmcnt(0)
	v_cmp_eq_f32_e32 vcc, v9, v10
	s_ff1_i32_b64 s10, vcc
	s_cmp_lg_u64 vcc, 0
	s_cselect_b32 s10, s10, 0
	s_and_b64 vcc, exec, s[8:9]
	v_readlane_b32 s10, v8, s10
	s_cbranch_vccz .LBB271_12
; %bb.18:                               ;   in Loop: Header=BB271_13 Depth=1
	s_ashr_i32 s11, s10, 31
	s_lshl_b64 s[12:13], s[10:11], 1
	s_add_u32 s12, s14, s12
	s_addc_u32 s13, s15, s13
	global_load_ushort v8, v6, s[12:13]
	s_waitcnt vmcnt(0)
	v_cvt_f32_f16_e32 v8, v8
	v_sub_f32_e32 v10, v10, v8
	s_branch .LBB271_12
.LBB271_19:
	v_mov_b32_e32 v2, 0
	v_mov_b32_e32 v4, 0
.LBB271_20:
	v_cmp_gt_i32_e32 vcc, s21, v0
	s_and_saveexec_b64 s[0:1], vcc
	s_cbranch_execz .LBB271_23
; %bb.21:
	s_load_dword s2, s[4:5], 0x34
	v_max_f32_e32 v1, v4, v4
	v_max_f32_e32 v1, 0x1e3ce508, v1
	s_load_dword s3, s[4:5], 0x44
	s_waitcnt lgkmcnt(0)
	v_div_scale_f32 v4, s[0:1], v1, v1, s2
	s_load_dwordx2 s[0:1], s[4:5], 0x20
	v_rcp_f32_e32 v5, v4
	v_div_scale_f32 v6, vcc, s2, v1, s2
	s_and_b32 s3, s3, 0xffff
	v_fma_f32 v7, -v4, v5, 1.0
	v_fmac_f32_e32 v5, v7, v5
	v_mul_f32_e32 v7, v6, v5
	v_fma_f32 v8, -v4, v7, v6
	v_fmac_f32_e32 v7, v8, v5
	v_fma_f32 v4, -v4, v7, v6
	v_div_fmas_f32 v4, v4, v5, v7
	v_div_fixup_f32 v1, v4, v1, s2
	s_ashr_i32 s2, s6, 31
	s_waitcnt lgkmcnt(0)
	s_mul_i32 s1, s6, s1
	s_mul_hi_u32 s4, s6, s0
	s_add_i32 s1, s4, s1
	s_mul_i32 s2, s2, s0
	s_add_i32 s4, s1, s2
	v_mul_f32_e32 v1, v3, v1
	s_mul_i32 s2, s6, s0
	s_mov_b64 s[0:1], 0
	v_mov_b32_e32 v3, s4
	v_mov_b32_e32 v4, s17
	;; [unrolled: 1-line block ×3, first 2 shown]
.LBB271_22:                             ; =>This Inner Loop Header: Depth=1
	v_ashrrev_i32_e32 v7, 31, v0
	v_add_co_u32_e32 v6, vcc, s2, v0
	v_addc_co_u32_e32 v7, vcc, v3, v7, vcc
	v_add_u32_e32 v0, s3, v0
	v_cmp_le_i32_e32 vcc, s21, v0
	v_lshlrev_b64 v[6:7], 2, v[6:7]
	s_or_b64 s[0:1], vcc, s[0:1]
	v_add_co_u32_e32 v8, vcc, s16, v6
	v_addc_co_u32_e32 v9, vcc, v4, v7, vcc
	v_add_co_u32_e32 v6, vcc, s18, v6
	v_addc_co_u32_e32 v7, vcc, v5, v7, vcc
	global_store_dword v[8:9], v1, off
	global_store_dword v[6:7], v2, off
	s_andn2_b64 exec, exec, s[0:1]
	s_cbranch_execnz .LBB271_22
.LBB271_23:
	s_endpgm
	.section	.rodata,"a",@progbits
	.p2align	6, 0x0
	.amdhsa_kernel _ZN5aiter20topk_softplus_kernelI12hip_bfloat166__halfDv1_fLb1ELi0EEEvPKT_PKT0_PfPimiiif
		.amdhsa_group_segment_fixed_size 0
		.amdhsa_private_segment_fixed_size 0
		.amdhsa_kernarg_size 312
		.amdhsa_user_sgpr_count 6
		.amdhsa_user_sgpr_private_segment_buffer 1
		.amdhsa_user_sgpr_dispatch_ptr 0
		.amdhsa_user_sgpr_queue_ptr 0
		.amdhsa_user_sgpr_kernarg_segment_ptr 1
		.amdhsa_user_sgpr_dispatch_id 0
		.amdhsa_user_sgpr_flat_scratch_init 0
		.amdhsa_user_sgpr_kernarg_preload_length 0
		.amdhsa_user_sgpr_kernarg_preload_offset 0
		.amdhsa_user_sgpr_private_segment_size 0
		.amdhsa_uses_dynamic_stack 0
		.amdhsa_system_sgpr_private_segment_wavefront_offset 0
		.amdhsa_system_sgpr_workgroup_id_x 1
		.amdhsa_system_sgpr_workgroup_id_y 0
		.amdhsa_system_sgpr_workgroup_id_z 0
		.amdhsa_system_sgpr_workgroup_info 0
		.amdhsa_system_vgpr_workitem_id 0
		.amdhsa_next_free_vgpr 18
		.amdhsa_next_free_sgpr 30
		.amdhsa_accum_offset 20
		.amdhsa_reserve_vcc 1
		.amdhsa_reserve_flat_scratch 0
		.amdhsa_float_round_mode_32 0
		.amdhsa_float_round_mode_16_64 0
		.amdhsa_float_denorm_mode_32 3
		.amdhsa_float_denorm_mode_16_64 3
		.amdhsa_dx10_clamp 1
		.amdhsa_ieee_mode 1
		.amdhsa_fp16_overflow 0
		.amdhsa_tg_split 0
		.amdhsa_exception_fp_ieee_invalid_op 0
		.amdhsa_exception_fp_denorm_src 0
		.amdhsa_exception_fp_ieee_div_zero 0
		.amdhsa_exception_fp_ieee_overflow 0
		.amdhsa_exception_fp_ieee_underflow 0
		.amdhsa_exception_fp_ieee_inexact 0
		.amdhsa_exception_int_div_zero 0
	.end_amdhsa_kernel
	.section	.text._ZN5aiter20topk_softplus_kernelI12hip_bfloat166__halfDv1_fLb1ELi0EEEvPKT_PKT0_PfPimiiif,"axG",@progbits,_ZN5aiter20topk_softplus_kernelI12hip_bfloat166__halfDv1_fLb1ELi0EEEvPKT_PKT0_PfPimiiif,comdat
.Lfunc_end271:
	.size	_ZN5aiter20topk_softplus_kernelI12hip_bfloat166__halfDv1_fLb1ELi0EEEvPKT_PKT0_PfPimiiif, .Lfunc_end271-_ZN5aiter20topk_softplus_kernelI12hip_bfloat166__halfDv1_fLb1ELi0EEEvPKT_PKT0_PfPimiiif
                                        ; -- End function
	.section	.AMDGPU.csdata,"",@progbits
; Kernel info:
; codeLenInByte = 1656
; NumSgprs: 34
; NumVgprs: 18
; NumAgprs: 0
; TotalNumVgprs: 18
; ScratchSize: 0
; MemoryBound: 0
; FloatMode: 240
; IeeeMode: 1
; LDSByteSize: 0 bytes/workgroup (compile time only)
; SGPRBlocks: 4
; VGPRBlocks: 2
; NumSGPRsForWavesPerEU: 34
; NumVGPRsForWavesPerEU: 18
; AccumOffset: 20
; Occupancy: 8
; WaveLimiterHint : 0
; COMPUTE_PGM_RSRC2:SCRATCH_EN: 0
; COMPUTE_PGM_RSRC2:USER_SGPR: 6
; COMPUTE_PGM_RSRC2:TRAP_HANDLER: 0
; COMPUTE_PGM_RSRC2:TGID_X_EN: 1
; COMPUTE_PGM_RSRC2:TGID_Y_EN: 0
; COMPUTE_PGM_RSRC2:TGID_Z_EN: 0
; COMPUTE_PGM_RSRC2:TIDIG_COMP_CNT: 0
; COMPUTE_PGM_RSRC3_GFX90A:ACCUM_OFFSET: 4
; COMPUTE_PGM_RSRC3_GFX90A:TG_SPLIT: 0
	.section	.text._ZN5aiter20topk_softplus_kernelI12hip_bfloat166__halfDv1_fLb0ELi0EEEvPKT_PKT0_PfPimiiif,"axG",@progbits,_ZN5aiter20topk_softplus_kernelI12hip_bfloat166__halfDv1_fLb0ELi0EEEvPKT_PKT0_PfPimiiif,comdat
	.protected	_ZN5aiter20topk_softplus_kernelI12hip_bfloat166__halfDv1_fLb0ELi0EEEvPKT_PKT0_PfPimiiif ; -- Begin function _ZN5aiter20topk_softplus_kernelI12hip_bfloat166__halfDv1_fLb0ELi0EEEvPKT_PKT0_PfPimiiif
	.globl	_ZN5aiter20topk_softplus_kernelI12hip_bfloat166__halfDv1_fLb0ELi0EEEvPKT_PKT0_PfPimiiif
	.p2align	8
	.type	_ZN5aiter20topk_softplus_kernelI12hip_bfloat166__halfDv1_fLb0ELi0EEEvPKT_PKT0_PfPimiiif,@function
_ZN5aiter20topk_softplus_kernelI12hip_bfloat166__halfDv1_fLb0ELi0EEEvPKT_PKT0_PfPimiiif: ; @_ZN5aiter20topk_softplus_kernelI12hip_bfloat166__halfDv1_fLb0ELi0EEEvPKT_PKT0_PfPimiiif
; %bb.0:
	s_load_dwordx2 s[20:21], s[4:5], 0x28
	s_load_dwordx8 s[12:19], s[4:5], 0x0
	v_lshl_add_u32 v1, v0, 2, 0
	s_waitcnt lgkmcnt(0)
	s_mul_i32 s2, s6, s20
	s_ashr_i32 s3, s2, 31
	s_lshl_b64 s[2:3], s[2:3], 1
	s_add_u32 s7, s12, s2
	v_cmp_gt_i32_e64 s[0:1], s20, v0
	s_addc_u32 s24, s13, s3
	s_and_saveexec_b64 s[12:13], s[0:1]
	s_cbranch_execz .LBB272_5
; %bb.1:
	s_load_dword s8, s[4:5], 0x44
	s_cmp_lg_u64 s[14:15], 0
	s_cselect_b64 s[2:3], -1, 0
	v_cndmask_b32_e64 v2, 0, 1, s[2:3]
	s_mov_b64 s[22:23], 0
	s_waitcnt lgkmcnt(0)
	s_and_b32 s25, s8, 0xffff
	v_lshl_add_u32 v6, v0, 2, 0
	s_lshl_b32 s26, s25, 2
	v_mov_b32_e32 v7, s24
	s_mov_b32 s27, 0xc2fc0000
	v_mov_b32_e32 v8, 0x42800000
	v_mov_b32_e32 v9, 0x1f800000
	s_mov_b32 s28, 0x800000
	v_mov_b32_e32 v10, 0x4f800000
	;; [unrolled: 3-line block ×3, first 2 shown]
	v_cmp_ne_u32_e64 s[2:3], 1, v2
	v_mov_b32_e32 v2, v0
	s_branch .LBB272_3
.LBB272_2:                              ;   in Loop: Header=BB272_3 Depth=1
	v_add_u32_e32 v2, s25, v2
	v_cmp_le_i32_e32 vcc, s20, v2
	ds_write_b32 v6, v3
	s_or_b64 s[22:23], vcc, s[22:23]
	v_add_u32_e32 v6, s26, v6
	s_andn2_b64 exec, exec, s[22:23]
	s_cbranch_execz .LBB272_5
.LBB272_3:                              ; =>This Inner Loop Header: Depth=1
	v_ashrrev_i32_e32 v3, 31, v2
	v_lshlrev_b64 v[4:5], 1, v[2:3]
	v_add_co_u32_e32 v14, vcc, s7, v4
	v_addc_co_u32_e32 v15, vcc, v7, v5, vcc
	global_load_ushort v3, v[14:15], off
	s_waitcnt vmcnt(0)
	v_cvt_f32_u32_e32 v13, v3
	v_mul_f32_e32 v14, 0x3fb8aa3b, v13
	v_cmp_gt_f32_e32 vcc, s27, v14
	v_cndmask_b32_e32 v14, 0, v8, vcc
	v_fmac_f32_e32 v14, 0x3fb8aa3b, v13
	v_exp_f32_e32 v14, v14
	v_cndmask_b32_e32 v15, 1.0, v9, vcc
	v_fma_f32 v14, v14, v15, 1.0
	v_cmp_gt_f32_e32 vcc, s28, v14
	v_cndmask_b32_e32 v15, 1.0, v10, vcc
	v_mul_f32_e32 v14, v14, v15
	v_log_f32_e32 v14, v14
	v_cndmask_b32_e32 v15, 0, v11, vcc
	v_cmp_lt_u32_e32 vcc, 20, v3
	v_sub_f32_e32 v14, v14, v15
	v_mul_f32_e32 v14, 0x3f317218, v14
	v_cndmask_b32_e32 v3, v14, v13, vcc
	v_mul_f32_e32 v13, 0x4f800000, v3
	v_cmp_gt_f32_e64 s[8:9], s29, v3
	v_cndmask_b32_e64 v3, v3, v13, s[8:9]
	v_sqrt_f32_e32 v13, v3
	s_and_b64 vcc, exec, s[2:3]
	v_add_u32_e32 v14, -1, v13
	v_add_u32_e32 v15, 1, v13
	v_fma_f32 v16, -v14, v13, v3
	v_fma_f32 v17, -v15, v13, v3
	v_cmp_ge_f32_e64 s[10:11], 0, v16
	v_cndmask_b32_e64 v13, v13, v14, s[10:11]
	v_cmp_lt_f32_e64 s[10:11], 0, v17
	v_cndmask_b32_e64 v13, v13, v15, s[10:11]
	v_mul_f32_e32 v14, 0x37800000, v13
	v_cndmask_b32_e64 v13, v13, v14, s[8:9]
	v_cmp_class_f32_e64 s[8:9], v3, v12
	v_cndmask_b32_e64 v3, v13, v3, s[8:9]
	s_cbranch_vccnz .LBB272_2
; %bb.4:                                ;   in Loop: Header=BB272_3 Depth=1
	v_mov_b32_e32 v13, s15
	v_add_co_u32_e32 v4, vcc, s14, v4
	v_addc_co_u32_e32 v5, vcc, v13, v5, vcc
	global_load_ushort v4, v[4:5], off
	s_waitcnt vmcnt(0)
	v_cvt_f32_f16_e32 v4, v4
	v_add_f32_e32 v3, v3, v4
	s_branch .LBB272_2
.LBB272_5:
	s_or_b64 exec, exec, s[12:13]
	v_add_u32_e32 v2, s20, v0
	v_cmp_gt_i32_e32 vcc, s20, v2
	s_and_saveexec_b64 s[10:11], vcc
	s_cbranch_execz .LBB272_10
; %bb.6:
	s_load_dword s8, s[4:5], 0x44
	s_cmp_lg_u64 s[14:15], 0
	s_cselect_b64 s[2:3], -1, 0
	v_cndmask_b32_e64 v3, 0, 1, s[2:3]
	s_mov_b64 s[12:13], 0
	s_waitcnt lgkmcnt(0)
	s_and_b32 s22, s8, 0xffff
	v_lshl_add_u32 v6, v2, 2, 0
	s_lshl_b32 s23, s22, 2
	v_mov_b32_e32 v7, s24
	s_mov_b32 s24, 0x41a00000
	s_mov_b32 s25, 0xc2fc0000
	v_mov_b32_e32 v8, 0x42800000
	v_mov_b32_e32 v9, 0x1f800000
	s_mov_b32 s26, 0x800000
	v_mov_b32_e32 v10, 0x4f800000
	v_mov_b32_e32 v11, 0x42000000
	s_mov_b32 s27, 0xf800000
	v_mov_b32_e32 v12, 0x260
	v_cmp_ne_u32_e64 s[2:3], 1, v3
	s_branch .LBB272_8
.LBB272_7:                              ;   in Loop: Header=BB272_8 Depth=1
	v_add_u32_e32 v2, s22, v2
	v_cmp_le_i32_e32 vcc, s20, v2
	s_or_b64 s[12:13], vcc, s[12:13]
	v_add_u32_e32 v6, s23, v6
	s_andn2_b64 exec, exec, s[12:13]
	s_cbranch_execz .LBB272_10
.LBB272_8:                              ; =>This Inner Loop Header: Depth=1
	v_ashrrev_i32_e32 v3, 31, v2
	v_lshlrev_b64 v[4:5], 1, v[2:3]
	v_add_co_u32_e32 v14, vcc, s7, v4
	v_addc_co_u32_e32 v15, vcc, v7, v5, vcc
	global_load_ushort v3, v[14:15], off
	s_waitcnt vmcnt(0)
	v_lshlrev_b32_e32 v3, 16, v3
	v_mul_f32_e32 v13, 0x3fb8aa3b, v3
	v_cmp_gt_f32_e32 vcc, s25, v13
	v_cndmask_b32_e32 v13, 0, v8, vcc
	v_fmac_f32_e32 v13, 0x3fb8aa3b, v3
	v_exp_f32_e32 v13, v13
	v_cndmask_b32_e32 v14, 1.0, v9, vcc
	v_fma_f32 v13, v13, v14, 1.0
	v_cmp_gt_f32_e32 vcc, s26, v13
	v_cndmask_b32_e32 v14, 1.0, v10, vcc
	v_mul_f32_e32 v13, v13, v14
	v_log_f32_e32 v13, v13
	v_cndmask_b32_e32 v14, 0, v11, vcc
	v_cmp_lt_f32_e32 vcc, s24, v3
	v_sub_f32_e32 v13, v13, v14
	v_mul_f32_e32 v13, 0x3f317218, v13
	v_cndmask_b32_e32 v3, v13, v3, vcc
	v_mul_f32_e32 v13, 0x4f800000, v3
	v_cmp_gt_f32_e32 vcc, s27, v3
	v_cndmask_b32_e32 v3, v3, v13, vcc
	v_sqrt_f32_e32 v13, v3
	v_add_u32_e32 v14, -1, v13
	v_add_u32_e32 v15, 1, v13
	v_fma_f32 v16, -v14, v13, v3
	v_fma_f32 v17, -v15, v13, v3
	v_cmp_ge_f32_e64 s[8:9], 0, v16
	v_cndmask_b32_e64 v13, v13, v14, s[8:9]
	v_cmp_lt_f32_e64 s[8:9], 0, v17
	v_cndmask_b32_e64 v13, v13, v15, s[8:9]
	v_mul_f32_e32 v14, 0x37800000, v13
	v_cndmask_b32_e32 v13, v13, v14, vcc
	v_cmp_class_f32_e32 vcc, v3, v12
	v_cndmask_b32_e32 v3, v13, v3, vcc
	s_and_b64 vcc, exec, s[2:3]
	ds_write_b32 v6, v3
	s_cbranch_vccnz .LBB272_7
; %bb.9:                                ;   in Loop: Header=BB272_8 Depth=1
	v_mov_b32_e32 v13, s15
	v_add_co_u32_e32 v4, vcc, s14, v4
	v_addc_co_u32_e32 v5, vcc, v13, v5, vcc
	global_load_ushort v4, v[4:5], off
	s_waitcnt vmcnt(0)
	v_cvt_f32_f16_e32 v4, v4
	v_add_f32_e32 v3, v3, v4
	ds_write_b32 v6, v3
	s_branch .LBB272_7
.LBB272_10:
	s_or_b64 exec, exec, s[10:11]
	s_cmp_lt_i32 s21, 1
	s_waitcnt lgkmcnt(0)
	s_barrier
	s_cbranch_scc1 .LBB272_19
; %bb.11:
	s_add_u32 s2, s4, 56
	s_addc_u32 s3, s5, 0
	v_mbcnt_lo_u32_b32 v3, -1, 0
	s_cmp_lg_u64 s[14:15], 0
	v_mbcnt_hi_u32_b32 v3, -1, v3
	v_bfrev_b32_e32 v5, 0.5
	s_cselect_b64 s[8:9], -1, 0
	s_mov_b32 s7, 0
	v_mov_b32_e32 v2, 0
	v_mov_b32_e32 v4, 0
	v_lshl_or_b32 v5, v3, 2, v5
	v_mov_b32_e32 v6, 0xff800000
	v_mov_b32_e32 v3, 0
	s_branch .LBB272_13
.LBB272_12:                             ;   in Loop: Header=BB272_13 Depth=1
	s_lshl_b32 s11, s10, 2
	s_add_i32 s11, s11, 0
	v_mov_b32_e32 v7, s11
	ds_write_b32 v7, v6
	v_mov_b32_e32 v7, s10
	v_cmp_eq_u32_e32 vcc, s7, v0
	s_add_i32 s7, s7, 1
	v_cndmask_b32_e32 v2, v2, v7, vcc
	s_cmp_eq_u32 s7, s21
	v_cndmask_b32_e32 v3, v3, v9, vcc
	s_cbranch_scc1 .LBB272_20
.LBB272_13:                             ; =>This Loop Header: Depth=1
                                        ;     Child Loop BB272_15 Depth 2
	v_mov_b32_e32 v7, s7
	v_mov_b32_e32 v8, 0xff800000
	s_and_saveexec_b64 s[10:11], s[0:1]
	s_cbranch_execz .LBB272_17
; %bb.14:                               ;   in Loop: Header=BB272_13 Depth=1
	s_load_dword s22, s[2:3], 0xc
	s_mov_b64 s[12:13], 0
	v_mov_b32_e32 v7, s7
	v_mov_b32_e32 v8, 0xff800000
	;; [unrolled: 1-line block ×3, first 2 shown]
	s_waitcnt lgkmcnt(0)
	s_and_b32 s22, s22, 0xffff
	s_lshl_b32 s23, s22, 2
	v_mov_b32_e32 v10, v0
.LBB272_15:                             ;   Parent Loop BB272_13 Depth=1
                                        ; =>  This Inner Loop Header: Depth=2
	ds_read_b32 v11, v9
	v_add_u32_e32 v9, s23, v9
	s_waitcnt lgkmcnt(0)
	v_cmp_gt_f32_e32 vcc, v11, v8
	v_cndmask_b32_e32 v7, v7, v10, vcc
	v_add_u32_e32 v10, s22, v10
	v_cndmask_b32_e32 v8, v8, v11, vcc
	v_cmp_le_i32_e32 vcc, s20, v10
	s_or_b64 s[12:13], vcc, s[12:13]
	s_andn2_b64 exec, exec, s[12:13]
	s_cbranch_execnz .LBB272_15
; %bb.16:                               ;   in Loop: Header=BB272_13 Depth=1
	s_or_b64 exec, exec, s[12:13]
.LBB272_17:                             ;   in Loop: Header=BB272_13 Depth=1
	s_or_b64 exec, exec, s[10:11]
	;;#ASMSTART
	v_max_f32 v9, v8, v8 quad_perm:[1,0,3,2] row_mask:0xf bank_mask:0xf bound_ctrl:1
	;;#ASMEND
	;;#ASMSTART
	v_max_f32 v10, v9, v9 quad_perm:[2,3,0,1] row_mask:0xf bank_mask:0xf bound_ctrl:1
	;;#ASMEND
	;;#ASMSTART
	v_max_f32 v9, v10, v10 row_half_mirror row_mask:0xf bank_mask:0xf bound_ctrl:1
	;;#ASMEND
	;;#ASMSTART
	v_max_f32 v10, v9, v9 row_mirror row_mask:0xf bank_mask:0xf bound_ctrl:1
	;;#ASMEND
	;;#ASMSTART
	v_max_f32 v9, v10, v10 row_ror:4 row_mask:0xf bank_mask:0xf bound_ctrl:1
	;;#ASMEND
	;;#ASMSTART
	v_max_f32 v10, v9, v9 row_ror:8 row_mask:0xf bank_mask:0xf bound_ctrl:1
	;;#ASMEND
	;;#ASMSTART
	v_max_f32 v9, v10, v10 row_bcast:15 row_mask:0xf bank_mask:0xf bound_ctrl:1
	;;#ASMEND
	;;#ASMSTART
	v_max_f32 v10, v9, v9 row_bcast:31 row_mask:0xf bank_mask:0xf bound_ctrl:1
	;;#ASMEND
	ds_bpermute_b32 v9, v5, v10
	s_waitcnt lgkmcnt(0)
	v_cmp_eq_f32_e32 vcc, v8, v9
	s_ff1_i32_b64 s10, vcc
	s_cmp_lg_u64 vcc, 0
	s_cselect_b32 s10, s10, 0
	s_and_b64 vcc, exec, s[8:9]
	v_readlane_b32 s10, v7, s10
	s_cbranch_vccz .LBB272_12
; %bb.18:                               ;   in Loop: Header=BB272_13 Depth=1
	s_ashr_i32 s11, s10, 31
	s_lshl_b64 s[12:13], s[10:11], 1
	s_add_u32 s12, s14, s12
	s_addc_u32 s13, s15, s13
	global_load_ushort v7, v4, s[12:13]
	s_waitcnt vmcnt(0)
	v_cvt_f32_f16_e32 v7, v7
	v_sub_f32_e32 v9, v9, v7
	s_branch .LBB272_12
.LBB272_19:
	v_mov_b32_e32 v3, 0
	v_mov_b32_e32 v2, 0
.LBB272_20:
	v_cmp_gt_i32_e32 vcc, s21, v0
	s_and_saveexec_b64 s[0:1], vcc
	s_cbranch_execz .LBB272_23
; %bb.21:
	s_load_dword s2, s[4:5], 0x34
	s_load_dwordx2 s[0:1], s[4:5], 0x20
	s_ashr_i32 s3, s6, 31
	s_load_dword s4, s[4:5], 0x44
	v_mov_b32_e32 v4, s17
	s_waitcnt lgkmcnt(0)
	v_mul_f32_e32 v1, s2, v3
	s_mul_i32 s1, s6, s1
	s_mul_hi_u32 s2, s6, s0
	s_add_i32 s1, s2, s1
	s_mul_i32 s3, s3, s0
	s_add_i32 s5, s1, s3
	s_mul_i32 s2, s6, s0
	s_and_b32 s3, s4, 0xffff
	s_mov_b64 s[0:1], 0
	v_mov_b32_e32 v3, s5
	v_mov_b32_e32 v5, s19
.LBB272_22:                             ; =>This Inner Loop Header: Depth=1
	v_ashrrev_i32_e32 v7, 31, v0
	v_add_co_u32_e32 v6, vcc, s2, v0
	v_addc_co_u32_e32 v7, vcc, v3, v7, vcc
	v_add_u32_e32 v0, s3, v0
	v_cmp_le_i32_e32 vcc, s21, v0
	v_lshlrev_b64 v[6:7], 2, v[6:7]
	s_or_b64 s[0:1], vcc, s[0:1]
	v_add_co_u32_e32 v8, vcc, s16, v6
	v_addc_co_u32_e32 v9, vcc, v4, v7, vcc
	v_add_co_u32_e32 v6, vcc, s18, v6
	v_addc_co_u32_e32 v7, vcc, v5, v7, vcc
	global_store_dword v[8:9], v1, off
	global_store_dword v[6:7], v2, off
	s_andn2_b64 exec, exec, s[0:1]
	s_cbranch_execnz .LBB272_22
.LBB272_23:
	s_endpgm
	.section	.rodata,"a",@progbits
	.p2align	6, 0x0
	.amdhsa_kernel _ZN5aiter20topk_softplus_kernelI12hip_bfloat166__halfDv1_fLb0ELi0EEEvPKT_PKT0_PfPimiiif
		.amdhsa_group_segment_fixed_size 0
		.amdhsa_private_segment_fixed_size 0
		.amdhsa_kernarg_size 312
		.amdhsa_user_sgpr_count 6
		.amdhsa_user_sgpr_private_segment_buffer 1
		.amdhsa_user_sgpr_dispatch_ptr 0
		.amdhsa_user_sgpr_queue_ptr 0
		.amdhsa_user_sgpr_kernarg_segment_ptr 1
		.amdhsa_user_sgpr_dispatch_id 0
		.amdhsa_user_sgpr_flat_scratch_init 0
		.amdhsa_user_sgpr_kernarg_preload_length 0
		.amdhsa_user_sgpr_kernarg_preload_offset 0
		.amdhsa_user_sgpr_private_segment_size 0
		.amdhsa_uses_dynamic_stack 0
		.amdhsa_system_sgpr_private_segment_wavefront_offset 0
		.amdhsa_system_sgpr_workgroup_id_x 1
		.amdhsa_system_sgpr_workgroup_id_y 0
		.amdhsa_system_sgpr_workgroup_id_z 0
		.amdhsa_system_sgpr_workgroup_info 0
		.amdhsa_system_vgpr_workitem_id 0
		.amdhsa_next_free_vgpr 18
		.amdhsa_next_free_sgpr 30
		.amdhsa_accum_offset 20
		.amdhsa_reserve_vcc 1
		.amdhsa_reserve_flat_scratch 0
		.amdhsa_float_round_mode_32 0
		.amdhsa_float_round_mode_16_64 0
		.amdhsa_float_denorm_mode_32 3
		.amdhsa_float_denorm_mode_16_64 3
		.amdhsa_dx10_clamp 1
		.amdhsa_ieee_mode 1
		.amdhsa_fp16_overflow 0
		.amdhsa_tg_split 0
		.amdhsa_exception_fp_ieee_invalid_op 0
		.amdhsa_exception_fp_denorm_src 0
		.amdhsa_exception_fp_ieee_div_zero 0
		.amdhsa_exception_fp_ieee_overflow 0
		.amdhsa_exception_fp_ieee_underflow 0
		.amdhsa_exception_fp_ieee_inexact 0
		.amdhsa_exception_int_div_zero 0
	.end_amdhsa_kernel
	.section	.text._ZN5aiter20topk_softplus_kernelI12hip_bfloat166__halfDv1_fLb0ELi0EEEvPKT_PKT0_PfPimiiif,"axG",@progbits,_ZN5aiter20topk_softplus_kernelI12hip_bfloat166__halfDv1_fLb0ELi0EEEvPKT_PKT0_PfPimiiif,comdat
.Lfunc_end272:
	.size	_ZN5aiter20topk_softplus_kernelI12hip_bfloat166__halfDv1_fLb0ELi0EEEvPKT_PKT0_PfPimiiif, .Lfunc_end272-_ZN5aiter20topk_softplus_kernelI12hip_bfloat166__halfDv1_fLb0ELi0EEEvPKT_PKT0_PfPimiiif
                                        ; -- End function
	.section	.AMDGPU.csdata,"",@progbits
; Kernel info:
; codeLenInByte = 1556
; NumSgprs: 34
; NumVgprs: 18
; NumAgprs: 0
; TotalNumVgprs: 18
; ScratchSize: 0
; MemoryBound: 0
; FloatMode: 240
; IeeeMode: 1
; LDSByteSize: 0 bytes/workgroup (compile time only)
; SGPRBlocks: 4
; VGPRBlocks: 2
; NumSGPRsForWavesPerEU: 34
; NumVGPRsForWavesPerEU: 18
; AccumOffset: 20
; Occupancy: 8
; WaveLimiterHint : 0
; COMPUTE_PGM_RSRC2:SCRATCH_EN: 0
; COMPUTE_PGM_RSRC2:USER_SGPR: 6
; COMPUTE_PGM_RSRC2:TRAP_HANDLER: 0
; COMPUTE_PGM_RSRC2:TGID_X_EN: 1
; COMPUTE_PGM_RSRC2:TGID_Y_EN: 0
; COMPUTE_PGM_RSRC2:TGID_Z_EN: 0
; COMPUTE_PGM_RSRC2:TIDIG_COMP_CNT: 0
; COMPUTE_PGM_RSRC3_GFX90A:ACCUM_OFFSET: 4
; COMPUTE_PGM_RSRC3_GFX90A:TG_SPLIT: 0
	.section	.text._ZN5aiter24topk_softplus_kernel_optI12hip_bfloat16S1_Li64ELb1ELi1EEEvPKT_PKT0_PfPimiif,"axG",@progbits,_ZN5aiter24topk_softplus_kernel_optI12hip_bfloat16S1_Li64ELb1ELi1EEEvPKT_PKT0_PfPimiif,comdat
	.protected	_ZN5aiter24topk_softplus_kernel_optI12hip_bfloat16S1_Li64ELb1ELi1EEEvPKT_PKT0_PfPimiif ; -- Begin function _ZN5aiter24topk_softplus_kernel_optI12hip_bfloat16S1_Li64ELb1ELi1EEEvPKT_PKT0_PfPimiif
	.globl	_ZN5aiter24topk_softplus_kernel_optI12hip_bfloat16S1_Li64ELb1ELi1EEEvPKT_PKT0_PfPimiif
	.p2align	8
	.type	_ZN5aiter24topk_softplus_kernel_optI12hip_bfloat16S1_Li64ELb1ELi1EEEvPKT_PKT0_PfPimiif,@function
_ZN5aiter24topk_softplus_kernel_optI12hip_bfloat16S1_Li64ELb1ELi1EEEvPKT_PKT0_PfPimiif: ; @_ZN5aiter24topk_softplus_kernel_optI12hip_bfloat16S1_Li64ELb1ELi1EEEvPKT_PKT0_PfPimiif
; %bb.0:
	s_load_dwordx4 s[0:3], s[4:5], 0x0
	s_lshl_b32 s8, s6, 6
	s_ashr_i32 s9, s8, 31
	s_lshl_b64 s[8:9], s[8:9], 1
	v_lshlrev_b32_e32 v2, 1, v0
	s_waitcnt lgkmcnt(0)
	s_add_u32 s0, s0, s8
	s_addc_u32 s1, s1, s9
	global_load_ushort v1, v2, s[0:1]
	s_mov_b32 s0, 0xc2fc0000
	v_mov_b32_e32 v3, 0x42800000
	s_cmp_eq_u64 s[2:3], 0
	s_waitcnt vmcnt(0)
	v_lshlrev_b32_e32 v1, 16, v1
	v_mul_f32_e32 v4, 0xbfb8aa3b, v1
	v_cmp_gt_f32_e32 vcc, s0, v4
	v_cndmask_b32_e32 v3, 0, v3, vcc
	v_fmac_f32_e32 v3, 0xbfb8aa3b, v1
	v_exp_f32_e32 v1, v3
	v_mov_b32_e32 v3, 0x1f800000
	v_cndmask_b32_e32 v3, 1.0, v3, vcc
	v_fma_f32 v1, v1, v3, 1.0
	v_rcp_f32_e32 v3, v1
	v_mov_b32_e32 v1, 0
	v_mov_b32_e32 v4, v3
	s_cbranch_scc1 .LBB273_2
; %bb.1:
	global_load_ushort v2, v2, s[2:3]
	s_waitcnt vmcnt(0)
	v_lshlrev_b32_e32 v2, 16, v2
	v_add_f32_e32 v4, v3, v2
.LBB273_2:
	s_load_dword s2, s[4:5], 0x28
	s_load_dwordx4 s[8:11], s[4:5], 0x10
	s_mov_b32 s3, 0
	v_mov_b32_e32 v5, 0
	v_mov_b32_e32 v2, 0
	s_waitcnt lgkmcnt(0)
	s_cmp_lt_i32 s2, 1
	s_cbranch_scc1 .LBB273_5
; %bb.3:
	v_mbcnt_lo_u32_b32 v1, -1, 0
	v_mbcnt_hi_u32_b32 v1, -1, v1
	v_bfrev_b32_e32 v2, 0.5
	v_mov_b32_e32 v6, 0
	v_mov_b32_e32 v7, 0xff800000
	v_lshl_or_b32 v8, v1, 2, v2
	v_mov_b32_e32 v5, 0
	v_mov_b32_e32 v1, 0
	;; [unrolled: 1-line block ×3, first 2 shown]
.LBB273_4:                              ; =>This Inner Loop Header: Depth=1
	v_cmp_eq_u32_e32 vcc, 0, v6
	v_cndmask_b32_e32 v9, v7, v4, vcc
	;;#ASMSTART
	v_max_f32 v11, v9, v9 quad_perm:[1,0,3,2] row_mask:0xf bank_mask:0xf bound_ctrl:1
	;;#ASMEND
	;;#ASMSTART
	v_max_f32 v12, v11, v11 quad_perm:[2,3,0,1] row_mask:0xf bank_mask:0xf bound_ctrl:1
	;;#ASMEND
	;;#ASMSTART
	v_max_f32 v11, v12, v12 row_half_mirror row_mask:0xf bank_mask:0xf bound_ctrl:1
	;;#ASMEND
	;;#ASMSTART
	v_max_f32 v12, v11, v11 row_mirror row_mask:0xf bank_mask:0xf bound_ctrl:1
	;;#ASMEND
	;;#ASMSTART
	v_max_f32 v11, v12, v12 row_ror:4 row_mask:0xf bank_mask:0xf bound_ctrl:1
	;;#ASMEND
	;;#ASMSTART
	v_max_f32 v12, v11, v11 row_ror:8 row_mask:0xf bank_mask:0xf bound_ctrl:1
	;;#ASMEND
	;;#ASMSTART
	v_max_f32 v11, v12, v12 row_bcast:15 row_mask:0xf bank_mask:0xf bound_ctrl:1
	;;#ASMEND
	;;#ASMSTART
	v_max_f32 v12, v11, v11 row_bcast:31 row_mask:0xf bank_mask:0xf bound_ctrl:1
	;;#ASMEND
	ds_bpermute_b32 v11, v8, v12
	v_cndmask_b32_e32 v10, 0, v0, vcc
	s_waitcnt lgkmcnt(0)
	v_cmp_eq_f32_e64 s[0:1], v9, v11
	s_ff1_i32_b64 s7, s[0:1]
	s_cmp_lg_u64 s[0:1], 0
	s_cselect_b32 s0, s7, 0
	s_nop 0
	v_readlane_b32 s7, v10, s0
	v_cmp_eq_u32_e64 s[0:1], s7, v0
	s_and_b64 vcc, vcc, s[0:1]
	s_and_b32 s12, s7, 63
	v_cndmask_b32_e32 v10, 0, v3, vcc
	v_addc_co_u32_e32 v6, vcc, 0, v6, vcc
	v_readlane_b32 s0, v10, s12
	v_mov_b32_e32 v9, s7
	v_mov_b32_e32 v10, s0
	v_cmp_eq_u32_e32 vcc, s3, v0
	s_add_i32 s3, s3, 1
	v_add_f32_e32 v5, s0, v5
	v_cndmask_b32_e32 v2, v2, v10, vcc
	s_cmp_eq_u32 s2, s3
	v_cndmask_b32_e32 v1, v1, v9, vcc
	s_cbranch_scc0 .LBB273_4
.LBB273_5:
	v_cmp_gt_i32_e32 vcc, s2, v0
	s_and_saveexec_b64 s[0:1], vcc
	s_cbranch_execz .LBB273_7
; %bb.6:
	s_load_dword s2, s[4:5], 0x30
	v_max_f32_e32 v3, v5, v5
	v_max_f32_e32 v3, 0x1e3ce508, v3
	v_lshlrev_b32_e32 v0, 2, v0
	s_waitcnt lgkmcnt(0)
	v_div_scale_f32 v4, s[0:1], v3, v3, s2
	v_rcp_f32_e32 v5, v4
	v_div_scale_f32 v6, vcc, s2, v3, s2
	s_load_dwordx2 s[0:1], s[4:5], 0x20
	v_fma_f32 v7, -v4, v5, 1.0
	v_fmac_f32_e32 v5, v7, v5
	v_mul_f32_e32 v7, v6, v5
	v_fma_f32 v8, -v4, v7, v6
	v_fmac_f32_e32 v7, v8, v5
	v_fma_f32 v4, -v4, v7, v6
	v_div_fmas_f32 v4, v4, v5, v7
	v_div_fixup_f32 v3, v4, v3, s2
	s_ashr_i32 s2, s6, 31
	s_waitcnt lgkmcnt(0)
	s_mul_i32 s1, s6, s1
	s_mul_hi_u32 s3, s6, s0
	s_add_i32 s1, s3, s1
	s_mul_i32 s2, s2, s0
	s_add_i32 s1, s1, s2
	s_mul_i32 s0, s6, s0
	s_lshl_b64 s[0:1], s[0:1], 2
	s_add_u32 s2, s8, s0
	s_addc_u32 s3, s9, s1
	s_add_u32 s0, s10, s0
	v_mul_f32_e32 v2, v2, v3
	s_addc_u32 s1, s11, s1
	global_store_dword v0, v2, s[2:3]
	global_store_dword v0, v1, s[0:1]
.LBB273_7:
	s_endpgm
	.section	.rodata,"a",@progbits
	.p2align	6, 0x0
	.amdhsa_kernel _ZN5aiter24topk_softplus_kernel_optI12hip_bfloat16S1_Li64ELb1ELi1EEEvPKT_PKT0_PfPimiif
		.amdhsa_group_segment_fixed_size 0
		.amdhsa_private_segment_fixed_size 0
		.amdhsa_kernarg_size 52
		.amdhsa_user_sgpr_count 6
		.amdhsa_user_sgpr_private_segment_buffer 1
		.amdhsa_user_sgpr_dispatch_ptr 0
		.amdhsa_user_sgpr_queue_ptr 0
		.amdhsa_user_sgpr_kernarg_segment_ptr 1
		.amdhsa_user_sgpr_dispatch_id 0
		.amdhsa_user_sgpr_flat_scratch_init 0
		.amdhsa_user_sgpr_kernarg_preload_length 0
		.amdhsa_user_sgpr_kernarg_preload_offset 0
		.amdhsa_user_sgpr_private_segment_size 0
		.amdhsa_uses_dynamic_stack 0
		.amdhsa_system_sgpr_private_segment_wavefront_offset 0
		.amdhsa_system_sgpr_workgroup_id_x 1
		.amdhsa_system_sgpr_workgroup_id_y 0
		.amdhsa_system_sgpr_workgroup_id_z 0
		.amdhsa_system_sgpr_workgroup_info 0
		.amdhsa_system_vgpr_workitem_id 0
		.amdhsa_next_free_vgpr 13
		.amdhsa_next_free_sgpr 13
		.amdhsa_accum_offset 16
		.amdhsa_reserve_vcc 1
		.amdhsa_reserve_flat_scratch 0
		.amdhsa_float_round_mode_32 0
		.amdhsa_float_round_mode_16_64 0
		.amdhsa_float_denorm_mode_32 3
		.amdhsa_float_denorm_mode_16_64 3
		.amdhsa_dx10_clamp 1
		.amdhsa_ieee_mode 1
		.amdhsa_fp16_overflow 0
		.amdhsa_tg_split 0
		.amdhsa_exception_fp_ieee_invalid_op 0
		.amdhsa_exception_fp_denorm_src 0
		.amdhsa_exception_fp_ieee_div_zero 0
		.amdhsa_exception_fp_ieee_overflow 0
		.amdhsa_exception_fp_ieee_underflow 0
		.amdhsa_exception_fp_ieee_inexact 0
		.amdhsa_exception_int_div_zero 0
	.end_amdhsa_kernel
	.section	.text._ZN5aiter24topk_softplus_kernel_optI12hip_bfloat16S1_Li64ELb1ELi1EEEvPKT_PKT0_PfPimiif,"axG",@progbits,_ZN5aiter24topk_softplus_kernel_optI12hip_bfloat16S1_Li64ELb1ELi1EEEvPKT_PKT0_PfPimiif,comdat
.Lfunc_end273:
	.size	_ZN5aiter24topk_softplus_kernel_optI12hip_bfloat16S1_Li64ELb1ELi1EEEvPKT_PKT0_PfPimiif, .Lfunc_end273-_ZN5aiter24topk_softplus_kernel_optI12hip_bfloat16S1_Li64ELb1ELi1EEEvPKT_PKT0_PfPimiif
                                        ; -- End function
	.section	.AMDGPU.csdata,"",@progbits
; Kernel info:
; codeLenInByte = 632
; NumSgprs: 17
; NumVgprs: 13
; NumAgprs: 0
; TotalNumVgprs: 13
; ScratchSize: 0
; MemoryBound: 0
; FloatMode: 240
; IeeeMode: 1
; LDSByteSize: 0 bytes/workgroup (compile time only)
; SGPRBlocks: 2
; VGPRBlocks: 1
; NumSGPRsForWavesPerEU: 17
; NumVGPRsForWavesPerEU: 13
; AccumOffset: 16
; Occupancy: 8
; WaveLimiterHint : 0
; COMPUTE_PGM_RSRC2:SCRATCH_EN: 0
; COMPUTE_PGM_RSRC2:USER_SGPR: 6
; COMPUTE_PGM_RSRC2:TRAP_HANDLER: 0
; COMPUTE_PGM_RSRC2:TGID_X_EN: 1
; COMPUTE_PGM_RSRC2:TGID_Y_EN: 0
; COMPUTE_PGM_RSRC2:TGID_Z_EN: 0
; COMPUTE_PGM_RSRC2:TIDIG_COMP_CNT: 0
; COMPUTE_PGM_RSRC3_GFX90A:ACCUM_OFFSET: 3
; COMPUTE_PGM_RSRC3_GFX90A:TG_SPLIT: 0
	.section	.text._ZN5aiter24topk_softplus_kernel_optI12hip_bfloat16S1_Li64ELb0ELi1EEEvPKT_PKT0_PfPimiif,"axG",@progbits,_ZN5aiter24topk_softplus_kernel_optI12hip_bfloat16S1_Li64ELb0ELi1EEEvPKT_PKT0_PfPimiif,comdat
	.protected	_ZN5aiter24topk_softplus_kernel_optI12hip_bfloat16S1_Li64ELb0ELi1EEEvPKT_PKT0_PfPimiif ; -- Begin function _ZN5aiter24topk_softplus_kernel_optI12hip_bfloat16S1_Li64ELb0ELi1EEEvPKT_PKT0_PfPimiif
	.globl	_ZN5aiter24topk_softplus_kernel_optI12hip_bfloat16S1_Li64ELb0ELi1EEEvPKT_PKT0_PfPimiif
	.p2align	8
	.type	_ZN5aiter24topk_softplus_kernel_optI12hip_bfloat16S1_Li64ELb0ELi1EEEvPKT_PKT0_PfPimiif,@function
_ZN5aiter24topk_softplus_kernel_optI12hip_bfloat16S1_Li64ELb0ELi1EEEvPKT_PKT0_PfPimiif: ; @_ZN5aiter24topk_softplus_kernel_optI12hip_bfloat16S1_Li64ELb0ELi1EEEvPKT_PKT0_PfPimiif
; %bb.0:
	s_load_dwordx4 s[0:3], s[4:5], 0x0
	s_lshl_b32 s8, s6, 6
	s_ashr_i32 s9, s8, 31
	s_lshl_b64 s[8:9], s[8:9], 1
	v_lshlrev_b32_e32 v2, 1, v0
	s_waitcnt lgkmcnt(0)
	s_add_u32 s0, s0, s8
	s_addc_u32 s1, s1, s9
	global_load_ushort v1, v2, s[0:1]
	s_mov_b32 s0, 0xc2fc0000
	v_mov_b32_e32 v3, 0x42800000
	s_cmp_eq_u64 s[2:3], 0
	s_waitcnt vmcnt(0)
	v_lshlrev_b32_e32 v1, 16, v1
	v_mul_f32_e32 v4, 0xbfb8aa3b, v1
	v_cmp_gt_f32_e32 vcc, s0, v4
	v_cndmask_b32_e32 v3, 0, v3, vcc
	v_fmac_f32_e32 v3, 0xbfb8aa3b, v1
	v_exp_f32_e32 v1, v3
	v_mov_b32_e32 v3, 0x1f800000
	v_cndmask_b32_e32 v3, 1.0, v3, vcc
	v_fma_f32 v1, v1, v3, 1.0
	v_rcp_f32_e32 v3, v1
	v_mov_b32_e32 v1, 0
	v_mov_b32_e32 v4, v3
	s_cbranch_scc1 .LBB274_2
; %bb.1:
	global_load_ushort v2, v2, s[2:3]
	s_waitcnt vmcnt(0)
	v_lshlrev_b32_e32 v2, 16, v2
	v_add_f32_e32 v4, v3, v2
.LBB274_2:
	s_load_dword s2, s[4:5], 0x28
	s_load_dwordx4 s[8:11], s[4:5], 0x10
	s_waitcnt lgkmcnt(0)
	s_cmp_lt_i32 s2, 1
	s_cbranch_scc1 .LBB274_8
; %bb.3:
	v_mbcnt_lo_u32_b32 v1, -1, 0
	v_mbcnt_hi_u32_b32 v1, -1, v1
	v_bfrev_b32_e32 v7, 0.5
	s_mov_b32 s3, 0
	v_mov_b32_e32 v5, 0
	v_mov_b32_e32 v2, 0
	;; [unrolled: 1-line block ×3, first 2 shown]
	v_lshl_or_b32 v7, v1, 2, v7
	v_mov_b32_e32 v1, 0
.LBB274_4:                              ; =>This Inner Loop Header: Depth=1
	v_cmp_eq_u32_e32 vcc, 0, v5
	v_cndmask_b32_e32 v8, v6, v4, vcc
	;;#ASMSTART
	v_max_f32 v10, v8, v8 quad_perm:[1,0,3,2] row_mask:0xf bank_mask:0xf bound_ctrl:1
	;;#ASMEND
	;;#ASMSTART
	v_max_f32 v11, v10, v10 quad_perm:[2,3,0,1] row_mask:0xf bank_mask:0xf bound_ctrl:1
	;;#ASMEND
	;;#ASMSTART
	v_max_f32 v10, v11, v11 row_half_mirror row_mask:0xf bank_mask:0xf bound_ctrl:1
	;;#ASMEND
	;;#ASMSTART
	v_max_f32 v11, v10, v10 row_mirror row_mask:0xf bank_mask:0xf bound_ctrl:1
	;;#ASMEND
	;;#ASMSTART
	v_max_f32 v10, v11, v11 row_ror:4 row_mask:0xf bank_mask:0xf bound_ctrl:1
	;;#ASMEND
	;;#ASMSTART
	v_max_f32 v11, v10, v10 row_ror:8 row_mask:0xf bank_mask:0xf bound_ctrl:1
	;;#ASMEND
	;;#ASMSTART
	v_max_f32 v10, v11, v11 row_bcast:15 row_mask:0xf bank_mask:0xf bound_ctrl:1
	;;#ASMEND
	;;#ASMSTART
	v_max_f32 v11, v10, v10 row_bcast:31 row_mask:0xf bank_mask:0xf bound_ctrl:1
	;;#ASMEND
	ds_bpermute_b32 v10, v7, v11
	v_cndmask_b32_e32 v9, 0, v0, vcc
	s_waitcnt lgkmcnt(0)
	v_cmp_eq_f32_e64 s[0:1], v8, v10
	s_ff1_i32_b64 s7, s[0:1]
	s_cmp_lg_u64 s[0:1], 0
	s_cselect_b32 s0, s7, 0
	s_nop 0
	v_readlane_b32 s7, v9, s0
	v_cmp_eq_u32_e64 s[0:1], s7, v0
	s_and_b64 vcc, vcc, s[0:1]
	s_and_b32 s12, s7, 63
	v_cndmask_b32_e32 v9, 0, v3, vcc
	v_addc_co_u32_e32 v5, vcc, 0, v5, vcc
	v_readlane_b32 s0, v9, s12
	v_mov_b32_e32 v8, s7
	v_mov_b32_e32 v9, s0
	v_cmp_eq_u32_e32 vcc, s3, v0
	s_add_i32 s3, s3, 1
	v_cndmask_b32_e32 v2, v2, v9, vcc
	s_cmp_eq_u32 s2, s3
	v_cndmask_b32_e32 v1, v1, v8, vcc
	s_cbranch_scc0 .LBB274_4
; %bb.5:
	v_cmp_gt_i32_e32 vcc, s2, v0
	s_and_saveexec_b64 s[0:1], vcc
	s_cbranch_execz .LBB274_7
.LBB274_6:
	s_load_dword s2, s[4:5], 0x30
	s_load_dwordx2 s[0:1], s[4:5], 0x20
	s_ashr_i32 s3, s6, 31
	v_lshlrev_b32_e32 v0, 2, v0
	s_waitcnt lgkmcnt(0)
	v_mul_f32_e32 v2, s2, v2
	s_mul_i32 s1, s6, s1
	s_mul_hi_u32 s2, s6, s0
	s_add_i32 s1, s2, s1
	s_mul_i32 s3, s3, s0
	s_add_i32 s1, s1, s3
	s_mul_i32 s0, s6, s0
	s_lshl_b64 s[0:1], s[0:1], 2
	s_add_u32 s2, s8, s0
	s_addc_u32 s3, s9, s1
	s_add_u32 s0, s10, s0
	s_addc_u32 s1, s11, s1
	global_store_dword v0, v2, s[2:3]
	global_store_dword v0, v1, s[0:1]
.LBB274_7:
	s_endpgm
.LBB274_8:
	v_mov_b32_e32 v2, 0
	v_cmp_gt_i32_e32 vcc, s2, v0
	s_and_saveexec_b64 s[0:1], vcc
	s_cbranch_execnz .LBB274_6
	s_branch .LBB274_7
	.section	.rodata,"a",@progbits
	.p2align	6, 0x0
	.amdhsa_kernel _ZN5aiter24topk_softplus_kernel_optI12hip_bfloat16S1_Li64ELb0ELi1EEEvPKT_PKT0_PfPimiif
		.amdhsa_group_segment_fixed_size 0
		.amdhsa_private_segment_fixed_size 0
		.amdhsa_kernarg_size 52
		.amdhsa_user_sgpr_count 6
		.amdhsa_user_sgpr_private_segment_buffer 1
		.amdhsa_user_sgpr_dispatch_ptr 0
		.amdhsa_user_sgpr_queue_ptr 0
		.amdhsa_user_sgpr_kernarg_segment_ptr 1
		.amdhsa_user_sgpr_dispatch_id 0
		.amdhsa_user_sgpr_flat_scratch_init 0
		.amdhsa_user_sgpr_kernarg_preload_length 0
		.amdhsa_user_sgpr_kernarg_preload_offset 0
		.amdhsa_user_sgpr_private_segment_size 0
		.amdhsa_uses_dynamic_stack 0
		.amdhsa_system_sgpr_private_segment_wavefront_offset 0
		.amdhsa_system_sgpr_workgroup_id_x 1
		.amdhsa_system_sgpr_workgroup_id_y 0
		.amdhsa_system_sgpr_workgroup_id_z 0
		.amdhsa_system_sgpr_workgroup_info 0
		.amdhsa_system_vgpr_workitem_id 0
		.amdhsa_next_free_vgpr 12
		.amdhsa_next_free_sgpr 13
		.amdhsa_accum_offset 12
		.amdhsa_reserve_vcc 1
		.amdhsa_reserve_flat_scratch 0
		.amdhsa_float_round_mode_32 0
		.amdhsa_float_round_mode_16_64 0
		.amdhsa_float_denorm_mode_32 3
		.amdhsa_float_denorm_mode_16_64 3
		.amdhsa_dx10_clamp 1
		.amdhsa_ieee_mode 1
		.amdhsa_fp16_overflow 0
		.amdhsa_tg_split 0
		.amdhsa_exception_fp_ieee_invalid_op 0
		.amdhsa_exception_fp_denorm_src 0
		.amdhsa_exception_fp_ieee_div_zero 0
		.amdhsa_exception_fp_ieee_overflow 0
		.amdhsa_exception_fp_ieee_underflow 0
		.amdhsa_exception_fp_ieee_inexact 0
		.amdhsa_exception_int_div_zero 0
	.end_amdhsa_kernel
	.section	.text._ZN5aiter24topk_softplus_kernel_optI12hip_bfloat16S1_Li64ELb0ELi1EEEvPKT_PKT0_PfPimiif,"axG",@progbits,_ZN5aiter24topk_softplus_kernel_optI12hip_bfloat16S1_Li64ELb0ELi1EEEvPKT_PKT0_PfPimiif,comdat
.Lfunc_end274:
	.size	_ZN5aiter24topk_softplus_kernel_optI12hip_bfloat16S1_Li64ELb0ELi1EEEvPKT_PKT0_PfPimiif, .Lfunc_end274-_ZN5aiter24topk_softplus_kernel_optI12hip_bfloat16S1_Li64ELb0ELi1EEEvPKT_PKT0_PfPimiif
                                        ; -- End function
	.section	.AMDGPU.csdata,"",@progbits
; Kernel info:
; codeLenInByte = 548
; NumSgprs: 17
; NumVgprs: 12
; NumAgprs: 0
; TotalNumVgprs: 12
; ScratchSize: 0
; MemoryBound: 0
; FloatMode: 240
; IeeeMode: 1
; LDSByteSize: 0 bytes/workgroup (compile time only)
; SGPRBlocks: 2
; VGPRBlocks: 1
; NumSGPRsForWavesPerEU: 17
; NumVGPRsForWavesPerEU: 12
; AccumOffset: 12
; Occupancy: 8
; WaveLimiterHint : 0
; COMPUTE_PGM_RSRC2:SCRATCH_EN: 0
; COMPUTE_PGM_RSRC2:USER_SGPR: 6
; COMPUTE_PGM_RSRC2:TRAP_HANDLER: 0
; COMPUTE_PGM_RSRC2:TGID_X_EN: 1
; COMPUTE_PGM_RSRC2:TGID_Y_EN: 0
; COMPUTE_PGM_RSRC2:TGID_Z_EN: 0
; COMPUTE_PGM_RSRC2:TIDIG_COMP_CNT: 0
; COMPUTE_PGM_RSRC3_GFX90A:ACCUM_OFFSET: 2
; COMPUTE_PGM_RSRC3_GFX90A:TG_SPLIT: 0
	.section	.text._ZN5aiter24topk_softplus_kernel_optI12hip_bfloat16S1_Li128ELb1ELi1EEEvPKT_PKT0_PfPimiif,"axG",@progbits,_ZN5aiter24topk_softplus_kernel_optI12hip_bfloat16S1_Li128ELb1ELi1EEEvPKT_PKT0_PfPimiif,comdat
	.protected	_ZN5aiter24topk_softplus_kernel_optI12hip_bfloat16S1_Li128ELb1ELi1EEEvPKT_PKT0_PfPimiif ; -- Begin function _ZN5aiter24topk_softplus_kernel_optI12hip_bfloat16S1_Li128ELb1ELi1EEEvPKT_PKT0_PfPimiif
	.globl	_ZN5aiter24topk_softplus_kernel_optI12hip_bfloat16S1_Li128ELb1ELi1EEEvPKT_PKT0_PfPimiif
	.p2align	8
	.type	_ZN5aiter24topk_softplus_kernel_optI12hip_bfloat16S1_Li128ELb1ELi1EEEvPKT_PKT0_PfPimiif,@function
_ZN5aiter24topk_softplus_kernel_optI12hip_bfloat16S1_Li128ELb1ELi1EEEvPKT_PKT0_PfPimiif: ; @_ZN5aiter24topk_softplus_kernel_optI12hip_bfloat16S1_Li128ELb1ELi1EEEvPKT_PKT0_PfPimiif
; %bb.0:
	s_load_dwordx4 s[0:3], s[4:5], 0x0
	s_lshl_b32 s8, s6, 7
	s_ashr_i32 s9, s8, 31
	s_lshl_b64 s[8:9], s[8:9], 1
	v_lshlrev_b32_e32 v1, 1, v0
	s_waitcnt lgkmcnt(0)
	s_add_u32 s8, s0, s8
	s_addc_u32 s9, s1, s9
	global_load_ushort v2, v1, s[8:9]
	s_mov_b32 s7, 0xc2fc0000
	v_mov_b32_e32 v5, 0x42800000
	v_mov_b32_e32 v7, 0x1f800000
	s_cmp_lg_u64 s[2:3], 0
	s_cselect_b64 s[0:1], -1, 0
	s_waitcnt vmcnt(0)
	v_lshlrev_b32_e32 v2, 16, v2
	v_mul_f32_e32 v3, 0xbfb8aa3b, v2
	v_cmp_gt_f32_e32 vcc, s7, v3
	v_cndmask_b32_e32 v3, 0, v5, vcc
	v_fmac_f32_e32 v3, 0xbfb8aa3b, v2
	v_exp_f32_e32 v2, v3
	v_cndmask_b32_e32 v4, 1.0, v7, vcc
	v_mov_b32_e32 v3, s9
	v_fma_f32 v2, v2, v4, 1.0
	v_rcp_f32_e32 v6, v2
	v_add_co_u32_e32 v2, vcc, s8, v1
	v_addc_co_u32_e32 v3, vcc, 0, v3, vcc
	s_and_b64 vcc, exec, s[0:1]
	v_mov_b32_e32 v4, v6
	s_cbranch_vccz .LBB275_2
; %bb.1:
	global_load_ushort v4, v1, s[2:3]
	s_waitcnt vmcnt(0)
	v_lshlrev_b32_e32 v4, 16, v4
	v_add_f32_e32 v4, v6, v4
.LBB275_2:
	global_load_ushort v2, v[2:3], off offset:128
	s_waitcnt vmcnt(0)
	v_lshlrev_b32_e32 v2, 16, v2
	v_mul_f32_e32 v3, 0xbfb8aa3b, v2
	v_cmp_gt_f32_e32 vcc, s7, v3
	v_cndmask_b32_e32 v3, 0, v5, vcc
	v_fmac_f32_e32 v3, 0xbfb8aa3b, v2
	v_exp_f32_e32 v2, v3
	v_cndmask_b32_e32 v3, 1.0, v7, vcc
	s_andn2_b64 vcc, exec, s[0:1]
	v_fma_f32 v2, v2, v3, 1.0
	v_rcp_f32_e32 v10, v2
	v_mov_b32_e32 v5, v10
	s_cbranch_vccnz .LBB275_4
; %bb.3:
	global_load_ushort v1, v1, s[2:3] offset:128
	s_waitcnt vmcnt(0)
	v_lshlrev_b32_e32 v1, 16, v1
	v_add_f32_e32 v5, v10, v1
.LBB275_4:
	s_load_dword s2, s[4:5], 0x28
	s_load_dwordx4 s[8:11], s[4:5], 0x10
	v_mov_b32_e32 v9, 0
	v_mov_b32_e32 v7, 0
	;; [unrolled: 1-line block ×3, first 2 shown]
	s_waitcnt lgkmcnt(0)
	s_cmp_gt_i32 s2, 0
	s_cbranch_scc0 .LBB275_7
; %bb.5:
	v_mbcnt_lo_u32_b32 v7, -1, 0
	v_add_u32_e32 v2, 64, v0
	v_cmp_lt_f32_e32 vcc, v4, v5
	v_mbcnt_hi_u32_b32 v7, -1, v7
	v_bfrev_b32_e32 v8, 0.5
	v_cndmask_b32_e32 v1, v2, v0, vcc
	v_cndmask_b32_e32 v2, v0, v2, vcc
	;; [unrolled: 1-line block ×6, first 2 shown]
	v_mov_b32_e32 v9, 0
	v_mov_b32_e32 v10, 0
	;; [unrolled: 1-line block ×3, first 2 shown]
	v_lshl_or_b32 v12, v7, 2, v8
	v_mov_b32_e32 v13, v0
	s_mov_b32 s3, s2
	v_mov_b32_e32 v7, 0
	v_mov_b32_e32 v8, 0
.LBB275_6:                              ; =>This Inner Loop Header: Depth=1
	v_cmp_eq_u32_e32 vcc, 1, v10
	v_cndmask_b32_e32 v14, v4, v3, vcc
	v_cmp_gt_u32_e64 s[0:1], 2, v10
	v_cndmask_b32_e64 v14, v11, v14, s[0:1]
	;;#ASMSTART
	v_max_f32 v18, v14, v14 quad_perm:[1,0,3,2] row_mask:0xf bank_mask:0xf bound_ctrl:1
	;;#ASMEND
	;;#ASMSTART
	v_max_f32 v19, v18, v18 quad_perm:[2,3,0,1] row_mask:0xf bank_mask:0xf bound_ctrl:1
	;;#ASMEND
	;;#ASMSTART
	v_max_f32 v18, v19, v19 row_half_mirror row_mask:0xf bank_mask:0xf bound_ctrl:1
	;;#ASMEND
	;;#ASMSTART
	v_max_f32 v19, v18, v18 row_mirror row_mask:0xf bank_mask:0xf bound_ctrl:1
	;;#ASMEND
	;;#ASMSTART
	v_max_f32 v18, v19, v19 row_ror:4 row_mask:0xf bank_mask:0xf bound_ctrl:1
	;;#ASMEND
	;;#ASMSTART
	v_max_f32 v19, v18, v18 row_ror:8 row_mask:0xf bank_mask:0xf bound_ctrl:1
	;;#ASMEND
	;;#ASMSTART
	v_max_f32 v18, v19, v19 row_bcast:15 row_mask:0xf bank_mask:0xf bound_ctrl:1
	;;#ASMEND
	;;#ASMSTART
	v_max_f32 v19, v18, v18 row_bcast:31 row_mask:0xf bank_mask:0xf bound_ctrl:1
	;;#ASMEND
	ds_bpermute_b32 v18, v12, v19
	v_cndmask_b32_e32 v15, v2, v1, vcc
	v_cndmask_b32_e32 v16, v6, v5, vcc
	v_cndmask_b32_e64 v17, 0, v15, s[0:1]
	s_waitcnt lgkmcnt(0)
	v_cmp_eq_f32_e32 vcc, v14, v18
	s_ff1_i32_b64 s7, vcc
	s_cmp_lg_u64 vcc, 0
	s_cselect_b32 s7, s7, 0
	v_readlane_b32 s7, v17, s7
	v_cmp_eq_u32_e32 vcc, s7, v15
	s_and_b64 vcc, s[0:1], vcc
	s_and_b32 s12, s7, 63
	v_cndmask_b32_e32 v15, 0, v16, vcc
	v_addc_co_u32_e32 v10, vcc, 0, v10, vcc
	v_readlane_b32 s0, v15, s12
	s_add_i32 s3, s3, -1
	v_mov_b32_e32 v14, s7
	v_mov_b32_e32 v15, s0
	v_cmp_eq_u32_e32 vcc, 0, v13
	s_cmp_eq_u32 s3, 0
	v_add_f32_e32 v9, s0, v9
	v_add_u32_e32 v13, -1, v13
	v_cndmask_b32_e32 v8, v8, v15, vcc
	v_cndmask_b32_e32 v7, v7, v14, vcc
	s_cbranch_scc0 .LBB275_6
.LBB275_7:
	v_cmp_gt_i32_e32 vcc, s2, v0
	s_and_saveexec_b64 s[0:1], vcc
	s_cbranch_execz .LBB275_9
; %bb.8:
	s_load_dword s2, s[4:5], 0x30
	v_max_f32_e32 v1, v9, v9
	v_max_f32_e32 v1, 0x1e3ce508, v1
	v_lshlrev_b32_e32 v0, 2, v0
	s_waitcnt lgkmcnt(0)
	v_div_scale_f32 v2, s[0:1], v1, v1, s2
	v_rcp_f32_e32 v3, v2
	v_div_scale_f32 v4, vcc, s2, v1, s2
	s_load_dwordx2 s[0:1], s[4:5], 0x20
	v_fma_f32 v5, -v2, v3, 1.0
	v_fmac_f32_e32 v3, v5, v3
	v_mul_f32_e32 v5, v4, v3
	v_fma_f32 v6, -v2, v5, v4
	v_fmac_f32_e32 v5, v6, v3
	v_fma_f32 v2, -v2, v5, v4
	v_div_fmas_f32 v2, v2, v3, v5
	v_div_fixup_f32 v1, v2, v1, s2
	s_ashr_i32 s2, s6, 31
	s_waitcnt lgkmcnt(0)
	s_mul_i32 s1, s6, s1
	s_mul_hi_u32 s3, s6, s0
	s_add_i32 s1, s3, s1
	s_mul_i32 s2, s2, s0
	s_add_i32 s1, s1, s2
	s_mul_i32 s0, s6, s0
	s_lshl_b64 s[0:1], s[0:1], 2
	s_add_u32 s2, s8, s0
	s_addc_u32 s3, s9, s1
	s_add_u32 s0, s10, s0
	v_mul_f32_e32 v1, v8, v1
	s_addc_u32 s1, s11, s1
	global_store_dword v0, v1, s[2:3]
	global_store_dword v0, v7, s[0:1]
.LBB275_9:
	s_endpgm
	.section	.rodata,"a",@progbits
	.p2align	6, 0x0
	.amdhsa_kernel _ZN5aiter24topk_softplus_kernel_optI12hip_bfloat16S1_Li128ELb1ELi1EEEvPKT_PKT0_PfPimiif
		.amdhsa_group_segment_fixed_size 0
		.amdhsa_private_segment_fixed_size 0
		.amdhsa_kernarg_size 52
		.amdhsa_user_sgpr_count 6
		.amdhsa_user_sgpr_private_segment_buffer 1
		.amdhsa_user_sgpr_dispatch_ptr 0
		.amdhsa_user_sgpr_queue_ptr 0
		.amdhsa_user_sgpr_kernarg_segment_ptr 1
		.amdhsa_user_sgpr_dispatch_id 0
		.amdhsa_user_sgpr_flat_scratch_init 0
		.amdhsa_user_sgpr_kernarg_preload_length 0
		.amdhsa_user_sgpr_kernarg_preload_offset 0
		.amdhsa_user_sgpr_private_segment_size 0
		.amdhsa_uses_dynamic_stack 0
		.amdhsa_system_sgpr_private_segment_wavefront_offset 0
		.amdhsa_system_sgpr_workgroup_id_x 1
		.amdhsa_system_sgpr_workgroup_id_y 0
		.amdhsa_system_sgpr_workgroup_id_z 0
		.amdhsa_system_sgpr_workgroup_info 0
		.amdhsa_system_vgpr_workitem_id 0
		.amdhsa_next_free_vgpr 20
		.amdhsa_next_free_sgpr 13
		.amdhsa_accum_offset 20
		.amdhsa_reserve_vcc 1
		.amdhsa_reserve_flat_scratch 0
		.amdhsa_float_round_mode_32 0
		.amdhsa_float_round_mode_16_64 0
		.amdhsa_float_denorm_mode_32 3
		.amdhsa_float_denorm_mode_16_64 3
		.amdhsa_dx10_clamp 1
		.amdhsa_ieee_mode 1
		.amdhsa_fp16_overflow 0
		.amdhsa_tg_split 0
		.amdhsa_exception_fp_ieee_invalid_op 0
		.amdhsa_exception_fp_denorm_src 0
		.amdhsa_exception_fp_ieee_div_zero 0
		.amdhsa_exception_fp_ieee_overflow 0
		.amdhsa_exception_fp_ieee_underflow 0
		.amdhsa_exception_fp_ieee_inexact 0
		.amdhsa_exception_int_div_zero 0
	.end_amdhsa_kernel
	.section	.text._ZN5aiter24topk_softplus_kernel_optI12hip_bfloat16S1_Li128ELb1ELi1EEEvPKT_PKT0_PfPimiif,"axG",@progbits,_ZN5aiter24topk_softplus_kernel_optI12hip_bfloat16S1_Li128ELb1ELi1EEEvPKT_PKT0_PfPimiif,comdat
.Lfunc_end275:
	.size	_ZN5aiter24topk_softplus_kernel_optI12hip_bfloat16S1_Li128ELb1ELi1EEEvPKT_PKT0_PfPimiif, .Lfunc_end275-_ZN5aiter24topk_softplus_kernel_optI12hip_bfloat16S1_Li128ELb1ELi1EEEvPKT_PKT0_PfPimiif
                                        ; -- End function
	.section	.AMDGPU.csdata,"",@progbits
; Kernel info:
; codeLenInByte = 800
; NumSgprs: 17
; NumVgprs: 20
; NumAgprs: 0
; TotalNumVgprs: 20
; ScratchSize: 0
; MemoryBound: 0
; FloatMode: 240
; IeeeMode: 1
; LDSByteSize: 0 bytes/workgroup (compile time only)
; SGPRBlocks: 2
; VGPRBlocks: 2
; NumSGPRsForWavesPerEU: 17
; NumVGPRsForWavesPerEU: 20
; AccumOffset: 20
; Occupancy: 8
; WaveLimiterHint : 0
; COMPUTE_PGM_RSRC2:SCRATCH_EN: 0
; COMPUTE_PGM_RSRC2:USER_SGPR: 6
; COMPUTE_PGM_RSRC2:TRAP_HANDLER: 0
; COMPUTE_PGM_RSRC2:TGID_X_EN: 1
; COMPUTE_PGM_RSRC2:TGID_Y_EN: 0
; COMPUTE_PGM_RSRC2:TGID_Z_EN: 0
; COMPUTE_PGM_RSRC2:TIDIG_COMP_CNT: 0
; COMPUTE_PGM_RSRC3_GFX90A:ACCUM_OFFSET: 4
; COMPUTE_PGM_RSRC3_GFX90A:TG_SPLIT: 0
	.section	.text._ZN5aiter24topk_softplus_kernel_optI12hip_bfloat16S1_Li128ELb0ELi1EEEvPKT_PKT0_PfPimiif,"axG",@progbits,_ZN5aiter24topk_softplus_kernel_optI12hip_bfloat16S1_Li128ELb0ELi1EEEvPKT_PKT0_PfPimiif,comdat
	.protected	_ZN5aiter24topk_softplus_kernel_optI12hip_bfloat16S1_Li128ELb0ELi1EEEvPKT_PKT0_PfPimiif ; -- Begin function _ZN5aiter24topk_softplus_kernel_optI12hip_bfloat16S1_Li128ELb0ELi1EEEvPKT_PKT0_PfPimiif
	.globl	_ZN5aiter24topk_softplus_kernel_optI12hip_bfloat16S1_Li128ELb0ELi1EEEvPKT_PKT0_PfPimiif
	.p2align	8
	.type	_ZN5aiter24topk_softplus_kernel_optI12hip_bfloat16S1_Li128ELb0ELi1EEEvPKT_PKT0_PfPimiif,@function
_ZN5aiter24topk_softplus_kernel_optI12hip_bfloat16S1_Li128ELb0ELi1EEEvPKT_PKT0_PfPimiif: ; @_ZN5aiter24topk_softplus_kernel_optI12hip_bfloat16S1_Li128ELb0ELi1EEEvPKT_PKT0_PfPimiif
; %bb.0:
	s_load_dwordx4 s[0:3], s[4:5], 0x0
	s_lshl_b32 s8, s6, 7
	s_ashr_i32 s9, s8, 31
	s_lshl_b64 s[8:9], s[8:9], 1
	v_lshlrev_b32_e32 v1, 1, v0
	s_waitcnt lgkmcnt(0)
	s_add_u32 s8, s0, s8
	s_addc_u32 s9, s1, s9
	global_load_ushort v2, v1, s[8:9]
	s_mov_b32 s7, 0xc2fc0000
	v_mov_b32_e32 v5, 0x42800000
	v_mov_b32_e32 v7, 0x1f800000
	s_cmp_lg_u64 s[2:3], 0
	s_cselect_b64 s[0:1], -1, 0
	s_waitcnt vmcnt(0)
	v_lshlrev_b32_e32 v2, 16, v2
	v_mul_f32_e32 v3, 0xbfb8aa3b, v2
	v_cmp_gt_f32_e32 vcc, s7, v3
	v_cndmask_b32_e32 v3, 0, v5, vcc
	v_fmac_f32_e32 v3, 0xbfb8aa3b, v2
	v_exp_f32_e32 v2, v3
	v_cndmask_b32_e32 v4, 1.0, v7, vcc
	v_mov_b32_e32 v3, s9
	v_fma_f32 v2, v2, v4, 1.0
	v_rcp_f32_e32 v6, v2
	v_add_co_u32_e32 v2, vcc, s8, v1
	v_addc_co_u32_e32 v3, vcc, 0, v3, vcc
	s_and_b64 vcc, exec, s[0:1]
	v_mov_b32_e32 v4, v6
	s_cbranch_vccz .LBB276_2
; %bb.1:
	global_load_ushort v4, v1, s[2:3]
	s_waitcnt vmcnt(0)
	v_lshlrev_b32_e32 v4, 16, v4
	v_add_f32_e32 v4, v6, v4
.LBB276_2:
	global_load_ushort v2, v[2:3], off offset:128
	s_waitcnt vmcnt(0)
	v_lshlrev_b32_e32 v2, 16, v2
	v_mul_f32_e32 v3, 0xbfb8aa3b, v2
	v_cmp_gt_f32_e32 vcc, s7, v3
	v_cndmask_b32_e32 v3, 0, v5, vcc
	v_fmac_f32_e32 v3, 0xbfb8aa3b, v2
	v_exp_f32_e32 v2, v3
	v_cndmask_b32_e32 v3, 1.0, v7, vcc
	s_andn2_b64 vcc, exec, s[0:1]
	v_fma_f32 v2, v2, v3, 1.0
	v_rcp_f32_e32 v8, v2
	v_mov_b32_e32 v5, v8
	s_cbranch_vccnz .LBB276_4
; %bb.3:
	global_load_ushort v1, v1, s[2:3] offset:128
	s_waitcnt vmcnt(0)
	v_lshlrev_b32_e32 v1, 16, v1
	v_add_f32_e32 v5, v8, v1
.LBB276_4:
	s_load_dword s2, s[4:5], 0x28
	s_load_dwordx4 s[8:11], s[4:5], 0x10
	v_mov_b32_e32 v7, 0
	s_waitcnt lgkmcnt(0)
	s_cmp_gt_i32 s2, 0
	s_cbranch_scc0 .LBB276_10
; %bb.5:
	v_mbcnt_lo_u32_b32 v7, -1, 0
	v_add_u32_e32 v2, 64, v0
	v_cmp_lt_f32_e32 vcc, v4, v5
	v_mbcnt_hi_u32_b32 v7, -1, v7
	v_bfrev_b32_e32 v11, 0.5
	v_cndmask_b32_e32 v1, v2, v0, vcc
	v_cndmask_b32_e32 v2, v0, v2, vcc
	;; [unrolled: 1-line block ×6, first 2 shown]
	v_mov_b32_e32 v9, 0
	v_mov_b32_e32 v8, 0
	v_mov_b32_e32 v10, 0xff800000
	v_lshl_or_b32 v11, v7, 2, v11
	v_mov_b32_e32 v12, v0
	s_mov_b32 s3, s2
	v_mov_b32_e32 v7, 0
.LBB276_6:                              ; =>This Inner Loop Header: Depth=1
	v_cmp_eq_u32_e32 vcc, 1, v9
	v_cndmask_b32_e32 v13, v4, v3, vcc
	v_cmp_gt_u32_e64 s[0:1], 2, v9
	v_cndmask_b32_e64 v13, v10, v13, s[0:1]
	;;#ASMSTART
	v_max_f32 v17, v13, v13 quad_perm:[1,0,3,2] row_mask:0xf bank_mask:0xf bound_ctrl:1
	;;#ASMEND
	;;#ASMSTART
	v_max_f32 v18, v17, v17 quad_perm:[2,3,0,1] row_mask:0xf bank_mask:0xf bound_ctrl:1
	;;#ASMEND
	;;#ASMSTART
	v_max_f32 v17, v18, v18 row_half_mirror row_mask:0xf bank_mask:0xf bound_ctrl:1
	;;#ASMEND
	;;#ASMSTART
	v_max_f32 v18, v17, v17 row_mirror row_mask:0xf bank_mask:0xf bound_ctrl:1
	;;#ASMEND
	;;#ASMSTART
	v_max_f32 v17, v18, v18 row_ror:4 row_mask:0xf bank_mask:0xf bound_ctrl:1
	;;#ASMEND
	;;#ASMSTART
	v_max_f32 v18, v17, v17 row_ror:8 row_mask:0xf bank_mask:0xf bound_ctrl:1
	;;#ASMEND
	;;#ASMSTART
	v_max_f32 v17, v18, v18 row_bcast:15 row_mask:0xf bank_mask:0xf bound_ctrl:1
	;;#ASMEND
	;;#ASMSTART
	v_max_f32 v18, v17, v17 row_bcast:31 row_mask:0xf bank_mask:0xf bound_ctrl:1
	;;#ASMEND
	ds_bpermute_b32 v17, v11, v18
	v_cndmask_b32_e32 v14, v2, v1, vcc
	v_cndmask_b32_e32 v15, v6, v5, vcc
	v_cndmask_b32_e64 v16, 0, v14, s[0:1]
	s_waitcnt lgkmcnt(0)
	v_cmp_eq_f32_e32 vcc, v13, v17
	s_ff1_i32_b64 s7, vcc
	s_cmp_lg_u64 vcc, 0
	s_cselect_b32 s7, s7, 0
	v_readlane_b32 s7, v16, s7
	v_cmp_eq_u32_e32 vcc, s7, v14
	s_and_b64 vcc, s[0:1], vcc
	s_and_b32 s12, s7, 63
	v_cndmask_b32_e32 v14, 0, v15, vcc
	v_addc_co_u32_e32 v9, vcc, 0, v9, vcc
	v_readlane_b32 s0, v14, s12
	s_add_i32 s3, s3, -1
	v_mov_b32_e32 v13, s7
	v_mov_b32_e32 v14, s0
	v_cmp_eq_u32_e32 vcc, 0, v12
	s_cmp_eq_u32 s3, 0
	v_add_u32_e32 v12, -1, v12
	v_cndmask_b32_e32 v8, v8, v14, vcc
	v_cndmask_b32_e32 v7, v7, v13, vcc
	s_cbranch_scc0 .LBB276_6
; %bb.7:
	v_cmp_gt_i32_e32 vcc, s2, v0
	s_and_saveexec_b64 s[0:1], vcc
	s_cbranch_execz .LBB276_9
.LBB276_8:
	s_load_dword s2, s[4:5], 0x30
	s_load_dwordx2 s[0:1], s[4:5], 0x20
	s_ashr_i32 s3, s6, 31
	v_lshlrev_b32_e32 v0, 2, v0
	s_waitcnt lgkmcnt(0)
	v_mul_f32_e32 v1, s2, v8
	s_mul_i32 s1, s6, s1
	s_mul_hi_u32 s2, s6, s0
	s_add_i32 s1, s2, s1
	s_mul_i32 s3, s3, s0
	s_add_i32 s1, s1, s3
	s_mul_i32 s0, s6, s0
	s_lshl_b64 s[0:1], s[0:1], 2
	s_add_u32 s2, s8, s0
	s_addc_u32 s3, s9, s1
	s_add_u32 s0, s10, s0
	s_addc_u32 s1, s11, s1
	global_store_dword v0, v1, s[2:3]
	global_store_dword v0, v7, s[0:1]
.LBB276_9:
	s_endpgm
.LBB276_10:
	v_mov_b32_e32 v8, 0
	v_cmp_gt_i32_e32 vcc, s2, v0
	s_and_saveexec_b64 s[0:1], vcc
	s_cbranch_execnz .LBB276_8
	s_branch .LBB276_9
	.section	.rodata,"a",@progbits
	.p2align	6, 0x0
	.amdhsa_kernel _ZN5aiter24topk_softplus_kernel_optI12hip_bfloat16S1_Li128ELb0ELi1EEEvPKT_PKT0_PfPimiif
		.amdhsa_group_segment_fixed_size 0
		.amdhsa_private_segment_fixed_size 0
		.amdhsa_kernarg_size 52
		.amdhsa_user_sgpr_count 6
		.amdhsa_user_sgpr_private_segment_buffer 1
		.amdhsa_user_sgpr_dispatch_ptr 0
		.amdhsa_user_sgpr_queue_ptr 0
		.amdhsa_user_sgpr_kernarg_segment_ptr 1
		.amdhsa_user_sgpr_dispatch_id 0
		.amdhsa_user_sgpr_flat_scratch_init 0
		.amdhsa_user_sgpr_kernarg_preload_length 0
		.amdhsa_user_sgpr_kernarg_preload_offset 0
		.amdhsa_user_sgpr_private_segment_size 0
		.amdhsa_uses_dynamic_stack 0
		.amdhsa_system_sgpr_private_segment_wavefront_offset 0
		.amdhsa_system_sgpr_workgroup_id_x 1
		.amdhsa_system_sgpr_workgroup_id_y 0
		.amdhsa_system_sgpr_workgroup_id_z 0
		.amdhsa_system_sgpr_workgroup_info 0
		.amdhsa_system_vgpr_workitem_id 0
		.amdhsa_next_free_vgpr 19
		.amdhsa_next_free_sgpr 13
		.amdhsa_accum_offset 20
		.amdhsa_reserve_vcc 1
		.amdhsa_reserve_flat_scratch 0
		.amdhsa_float_round_mode_32 0
		.amdhsa_float_round_mode_16_64 0
		.amdhsa_float_denorm_mode_32 3
		.amdhsa_float_denorm_mode_16_64 3
		.amdhsa_dx10_clamp 1
		.amdhsa_ieee_mode 1
		.amdhsa_fp16_overflow 0
		.amdhsa_tg_split 0
		.amdhsa_exception_fp_ieee_invalid_op 0
		.amdhsa_exception_fp_denorm_src 0
		.amdhsa_exception_fp_ieee_div_zero 0
		.amdhsa_exception_fp_ieee_overflow 0
		.amdhsa_exception_fp_ieee_underflow 0
		.amdhsa_exception_fp_ieee_inexact 0
		.amdhsa_exception_int_div_zero 0
	.end_amdhsa_kernel
	.section	.text._ZN5aiter24topk_softplus_kernel_optI12hip_bfloat16S1_Li128ELb0ELi1EEEvPKT_PKT0_PfPimiif,"axG",@progbits,_ZN5aiter24topk_softplus_kernel_optI12hip_bfloat16S1_Li128ELb0ELi1EEEvPKT_PKT0_PfPimiif,comdat
.Lfunc_end276:
	.size	_ZN5aiter24topk_softplus_kernel_optI12hip_bfloat16S1_Li128ELb0ELi1EEEvPKT_PKT0_PfPimiif, .Lfunc_end276-_ZN5aiter24topk_softplus_kernel_optI12hip_bfloat16S1_Li128ELb0ELi1EEEvPKT_PKT0_PfPimiif
                                        ; -- End function
	.section	.AMDGPU.csdata,"",@progbits
; Kernel info:
; codeLenInByte = 716
; NumSgprs: 17
; NumVgprs: 19
; NumAgprs: 0
; TotalNumVgprs: 19
; ScratchSize: 0
; MemoryBound: 0
; FloatMode: 240
; IeeeMode: 1
; LDSByteSize: 0 bytes/workgroup (compile time only)
; SGPRBlocks: 2
; VGPRBlocks: 2
; NumSGPRsForWavesPerEU: 17
; NumVGPRsForWavesPerEU: 19
; AccumOffset: 20
; Occupancy: 8
; WaveLimiterHint : 0
; COMPUTE_PGM_RSRC2:SCRATCH_EN: 0
; COMPUTE_PGM_RSRC2:USER_SGPR: 6
; COMPUTE_PGM_RSRC2:TRAP_HANDLER: 0
; COMPUTE_PGM_RSRC2:TGID_X_EN: 1
; COMPUTE_PGM_RSRC2:TGID_Y_EN: 0
; COMPUTE_PGM_RSRC2:TGID_Z_EN: 0
; COMPUTE_PGM_RSRC2:TIDIG_COMP_CNT: 0
; COMPUTE_PGM_RSRC3_GFX90A:ACCUM_OFFSET: 4
; COMPUTE_PGM_RSRC3_GFX90A:TG_SPLIT: 0
	.section	.text._ZN5aiter24topk_softplus_kernel_optI12hip_bfloat16S1_Li256ELb1ELi1EEEvPKT_PKT0_PfPimiif,"axG",@progbits,_ZN5aiter24topk_softplus_kernel_optI12hip_bfloat16S1_Li256ELb1ELi1EEEvPKT_PKT0_PfPimiif,comdat
	.protected	_ZN5aiter24topk_softplus_kernel_optI12hip_bfloat16S1_Li256ELb1ELi1EEEvPKT_PKT0_PfPimiif ; -- Begin function _ZN5aiter24topk_softplus_kernel_optI12hip_bfloat16S1_Li256ELb1ELi1EEEvPKT_PKT0_PfPimiif
	.globl	_ZN5aiter24topk_softplus_kernel_optI12hip_bfloat16S1_Li256ELb1ELi1EEEvPKT_PKT0_PfPimiif
	.p2align	8
	.type	_ZN5aiter24topk_softplus_kernel_optI12hip_bfloat16S1_Li256ELb1ELi1EEEvPKT_PKT0_PfPimiif,@function
_ZN5aiter24topk_softplus_kernel_optI12hip_bfloat16S1_Li256ELb1ELi1EEEvPKT_PKT0_PfPimiif: ; @_ZN5aiter24topk_softplus_kernel_optI12hip_bfloat16S1_Li256ELb1ELi1EEEvPKT_PKT0_PfPimiif
; %bb.0:
	s_load_dwordx4 s[0:3], s[4:5], 0x0
	s_lshl_b32 s8, s6, 8
	s_ashr_i32 s9, s8, 31
	s_lshl_b64 s[8:9], s[8:9], 1
	v_lshlrev_b32_e32 v1, 1, v0
	s_waitcnt lgkmcnt(0)
	s_add_u32 s10, s0, s8
	s_addc_u32 s11, s1, s9
	global_load_ushort v2, v1, s[10:11]
	s_mov_b32 s0, 0xc2fc0000
	v_mov_b32_e32 v3, 0x42800000
	v_mov_b32_e32 v6, 0x1f800000
	s_cmp_lg_u64 s[2:3], 0
	v_mov_b32_e32 v5, s11
	s_cselect_b64 s[8:9], -1, 0
	s_waitcnt vmcnt(0)
	v_lshlrev_b32_e32 v2, 16, v2
	v_mul_f32_e32 v4, 0xbfb8aa3b, v2
	v_cmp_gt_f32_e32 vcc, s0, v4
	v_cndmask_b32_e32 v4, 0, v3, vcc
	v_fmac_f32_e32 v4, 0xbfb8aa3b, v2
	v_exp_f32_e32 v2, v4
	v_cndmask_b32_e32 v4, 1.0, v6, vcc
	v_fma_f32 v2, v2, v4, 1.0
	v_rcp_f32_e32 v2, v2
	v_add_co_u32_e32 v4, vcc, s10, v1
	v_addc_co_u32_e32 v5, vcc, 0, v5, vcc
	s_and_b64 vcc, exec, s[8:9]
	v_mov_b32_e32 v10, v2
	s_cbranch_vccz .LBB277_2
; %bb.1:
	global_load_ushort v7, v1, s[2:3]
	s_waitcnt vmcnt(0)
	v_lshlrev_b32_e32 v7, 16, v7
	v_add_f32_e32 v10, v2, v7
.LBB277_2:
	global_load_ushort v7, v[4:5], off offset:128
	s_waitcnt vmcnt(0)
	v_lshlrev_b32_e32 v7, 16, v7
	v_mul_f32_e32 v8, 0xbfb8aa3b, v7
	v_cmp_gt_f32_e32 vcc, s0, v8
	v_cndmask_b32_e32 v3, 0, v3, vcc
	v_fmac_f32_e32 v3, 0xbfb8aa3b, v7
	v_exp_f32_e32 v3, v3
	v_cndmask_b32_e32 v6, 1.0, v6, vcc
	s_andn2_b64 vcc, exec, s[8:9]
	v_fma_f32 v3, v3, v6, 1.0
	v_rcp_f32_e32 v9, v3
	v_cndmask_b32_e64 v3, 0, 1, s[8:9]
	v_cmp_ne_u32_e64 s[0:1], 1, v3
	v_mov_b32_e32 v12, v9
	s_cbranch_vccnz .LBB277_4
; %bb.3:
	global_load_ushort v3, v1, s[2:3] offset:128
	s_waitcnt vmcnt(0)
	v_lshlrev_b32_e32 v3, 16, v3
	v_add_f32_e32 v12, v9, v3
.LBB277_4:
	global_load_ushort v6, v[4:5], off offset:256
	s_mov_b32 s7, 0xc2fc0000
	v_mov_b32_e32 v3, 0x42800000
	s_waitcnt vmcnt(0)
	v_lshlrev_b32_e32 v6, 16, v6
	v_mul_f32_e32 v7, 0xbfb8aa3b, v6
	v_cmp_gt_f32_e32 vcc, s7, v7
	v_cndmask_b32_e32 v7, 0, v3, vcc
	v_fmac_f32_e32 v7, 0xbfb8aa3b, v6
	v_exp_f32_e32 v6, v7
	v_mov_b32_e32 v7, 0x1f800000
	v_cndmask_b32_e32 v8, 1.0, v7, vcc
	s_and_b64 vcc, exec, s[0:1]
	v_fma_f32 v6, v6, v8, 1.0
	v_rcp_f32_e32 v8, v6
	v_mov_b32_e32 v6, v8
	s_cbranch_vccnz .LBB277_6
; %bb.5:
	global_load_ushort v6, v1, s[2:3] offset:256
	s_waitcnt vmcnt(0)
	v_lshlrev_b32_e32 v6, 16, v6
	v_add_f32_e32 v6, v8, v6
.LBB277_6:
	global_load_ushort v4, v[4:5], off offset:384
	s_waitcnt vmcnt(0)
	v_lshlrev_b32_e32 v4, 16, v4
	v_mul_f32_e32 v5, 0xbfb8aa3b, v4
	v_cmp_gt_f32_e32 vcc, s7, v5
	v_cndmask_b32_e32 v3, 0, v3, vcc
	v_fmac_f32_e32 v3, 0xbfb8aa3b, v4
	v_exp_f32_e32 v3, v3
	v_cndmask_b32_e32 v4, 1.0, v7, vcc
	s_and_b64 vcc, exec, s[0:1]
	v_fma_f32 v3, v3, v4, 1.0
	v_rcp_f32_e32 v3, v3
	v_mov_b32_e32 v5, v3
	s_cbranch_vccnz .LBB277_8
; %bb.7:
	global_load_ushort v1, v1, s[2:3] offset:384
	s_waitcnt vmcnt(0)
	v_lshlrev_b32_e32 v1, 16, v1
	v_add_f32_e32 v5, v3, v1
.LBB277_8:
	v_add_u32_e32 v4, 64, v0
	v_cmp_lt_f32_e32 vcc, v10, v12
	v_add_u32_e32 v15, 0x80, v0
	v_add_u32_e32 v7, 0xc0, v0
	v_cndmask_b32_e32 v11, v9, v2, vcc
	v_cndmask_b32_e32 v2, v2, v9, vcc
	v_cndmask_b32_e32 v1, v4, v0, vcc
	v_cndmask_b32_e32 v4, v0, v4, vcc
	v_cndmask_b32_e32 v9, v12, v10, vcc
	v_cndmask_b32_e32 v14, v10, v12, vcc
	v_cmp_lt_f32_e32 vcc, v6, v5
	v_mov_b32_e32 v12, v6
	s_and_saveexec_b64 s[0:1], vcc
	s_xor_b64 s[0:1], exec, s[0:1]
; %bb.9:
	v_mov_b32_e32 v12, v15
	v_mov_b32_e32 v13, v6
	;; [unrolled: 1-line block ×4, first 2 shown]
	v_swap_b32 v8, v3
	v_swap_b32 v15, v7
	v_mov_b32_e32 v12, v5
	v_mov_b32_e32 v5, v13
; %bb.10:
	s_or_b64 exec, exec, s[0:1]
	v_cmp_lt_f32_e32 vcc, v14, v6
	v_cndmask_b32_e32 v13, v8, v2, vcc
	v_cndmask_b32_e32 v2, v2, v8, vcc
	v_cndmask_b32_e32 v10, v15, v4, vcc
	v_cndmask_b32_e32 v4, v4, v15, vcc
	v_cndmask_b32_e32 v12, v12, v14, vcc
	v_cndmask_b32_e32 v6, v14, v6, vcc
	v_cmp_lt_f32_e32 vcc, v9, v5
	v_mov_b32_e32 v14, v9
	s_and_saveexec_b64 s[0:1], vcc
; %bb.11:
	v_mov_b32_e32 v14, v1
	v_mov_b32_e32 v15, v9
	;; [unrolled: 1-line block ×4, first 2 shown]
	v_swap_b32 v11, v3
	v_swap_b32 v1, v7
	v_mov_b32_e32 v14, v5
	v_mov_b32_e32 v5, v15
; %bb.12:
	s_or_b64 exec, exec, s[0:1]
	s_load_dword s2, s[4:5], 0x28
	s_load_dwordx4 s[8:11], s[4:5], 0x10
	v_mov_b32_e32 v15, 0
	s_waitcnt lgkmcnt(0)
	s_cmp_lt_i32 s2, 1
	s_cbranch_scc1 .LBB277_18
; %bb.13:
	v_cmp_lt_f32_e32 vcc, v9, v12
	v_cndmask_b32_e32 v8, v10, v1, vcc
	v_cndmask_b32_e32 v1, v1, v10, vcc
	;; [unrolled: 1-line block ×6, first 2 shown]
	v_mbcnt_lo_u32_b32 v13, -1, 0
	v_mbcnt_hi_u32_b32 v13, -1, v13
	v_bfrev_b32_e32 v14, 0.5
	v_mov_b32_e32 v15, 0
	v_mov_b32_e32 v16, 0
	;; [unrolled: 1-line block ×3, first 2 shown]
	v_lshl_or_b32 v18, v13, 2, v14
	v_mov_b32_e32 v19, v0
	s_mov_b32 s3, s2
	v_mov_b32_e32 v13, 0
	v_mov_b32_e32 v14, 0
.LBB277_14:                             ; =>This Inner Loop Header: Depth=1
	v_cmp_eq_u32_e32 vcc, 1, v16
	v_cndmask_b32_e32 v20, v6, v9, vcc
	v_cmp_eq_u32_e64 s[0:1], 2, v16
	v_cndmask_b32_e64 v20, v20, v10, s[0:1]
	v_cndmask_b32_e32 v21, v4, v1, vcc
	v_cndmask_b32_e32 v22, v2, v11, vcc
	v_cmp_eq_u32_e32 vcc, 3, v16
	v_cndmask_b32_e32 v20, v20, v5, vcc
	v_cndmask_b32_e64 v21, v21, v8, s[0:1]
	v_cndmask_b32_e64 v22, v22, v12, s[0:1]
	v_cmp_gt_u32_e64 s[0:1], 4, v16
	v_cndmask_b32_e64 v20, v17, v20, s[0:1]
	;;#ASMSTART
	v_max_f32 v24, v20, v20 quad_perm:[1,0,3,2] row_mask:0xf bank_mask:0xf bound_ctrl:1
	;;#ASMEND
	;;#ASMSTART
	v_max_f32 v25, v24, v24 quad_perm:[2,3,0,1] row_mask:0xf bank_mask:0xf bound_ctrl:1
	;;#ASMEND
	;;#ASMSTART
	v_max_f32 v24, v25, v25 row_half_mirror row_mask:0xf bank_mask:0xf bound_ctrl:1
	;;#ASMEND
	;;#ASMSTART
	v_max_f32 v25, v24, v24 row_mirror row_mask:0xf bank_mask:0xf bound_ctrl:1
	;;#ASMEND
	;;#ASMSTART
	v_max_f32 v24, v25, v25 row_ror:4 row_mask:0xf bank_mask:0xf bound_ctrl:1
	;;#ASMEND
	;;#ASMSTART
	v_max_f32 v25, v24, v24 row_ror:8 row_mask:0xf bank_mask:0xf bound_ctrl:1
	;;#ASMEND
	;;#ASMSTART
	v_max_f32 v24, v25, v25 row_bcast:15 row_mask:0xf bank_mask:0xf bound_ctrl:1
	;;#ASMEND
	;;#ASMSTART
	v_max_f32 v25, v24, v24 row_bcast:31 row_mask:0xf bank_mask:0xf bound_ctrl:1
	;;#ASMEND
	ds_bpermute_b32 v24, v18, v25
	v_cndmask_b32_e32 v21, v21, v7, vcc
	v_cndmask_b32_e32 v22, v22, v3, vcc
	v_cndmask_b32_e64 v23, 0, v21, s[0:1]
	s_waitcnt lgkmcnt(0)
	v_cmp_eq_f32_e32 vcc, v20, v24
	s_ff1_i32_b64 s7, vcc
	s_cmp_lg_u64 vcc, 0
	s_cselect_b32 s7, s7, 0
	v_readlane_b32 s7, v23, s7
	v_cmp_eq_u32_e32 vcc, s7, v21
	s_and_b64 vcc, s[0:1], vcc
	s_and_b32 s12, s7, 63
	v_cndmask_b32_e32 v21, 0, v22, vcc
	v_addc_co_u32_e32 v16, vcc, 0, v16, vcc
	v_readlane_b32 s0, v21, s12
	s_add_i32 s3, s3, -1
	v_mov_b32_e32 v20, s7
	v_mov_b32_e32 v21, s0
	v_cmp_eq_u32_e32 vcc, 0, v19
	s_cmp_eq_u32 s3, 0
	v_add_f32_e32 v15, s0, v15
	v_add_u32_e32 v19, -1, v19
	v_cndmask_b32_e32 v14, v14, v21, vcc
	v_cndmask_b32_e32 v13, v13, v20, vcc
	s_cbranch_scc0 .LBB277_14
; %bb.15:
	v_cmp_gt_i32_e32 vcc, s2, v0
	s_and_saveexec_b64 s[0:1], vcc
	s_cbranch_execz .LBB277_17
.LBB277_16:
	s_load_dword s2, s[4:5], 0x30
	v_max_f32_e32 v1, v15, v15
	v_max_f32_e32 v1, 0x1e3ce508, v1
	v_lshlrev_b32_e32 v0, 2, v0
	s_waitcnt lgkmcnt(0)
	v_div_scale_f32 v2, s[0:1], v1, v1, s2
	v_rcp_f32_e32 v3, v2
	v_div_scale_f32 v4, vcc, s2, v1, s2
	s_load_dwordx2 s[0:1], s[4:5], 0x20
	v_fma_f32 v5, -v2, v3, 1.0
	v_fmac_f32_e32 v3, v5, v3
	v_mul_f32_e32 v5, v4, v3
	v_fma_f32 v6, -v2, v5, v4
	v_fmac_f32_e32 v5, v6, v3
	v_fma_f32 v2, -v2, v5, v4
	v_div_fmas_f32 v2, v2, v3, v5
	v_div_fixup_f32 v1, v2, v1, s2
	s_ashr_i32 s2, s6, 31
	s_waitcnt lgkmcnt(0)
	s_mul_i32 s1, s6, s1
	s_mul_hi_u32 s3, s6, s0
	s_add_i32 s1, s3, s1
	s_mul_i32 s2, s2, s0
	s_add_i32 s1, s1, s2
	s_mul_i32 s0, s6, s0
	s_lshl_b64 s[0:1], s[0:1], 2
	s_add_u32 s2, s8, s0
	s_addc_u32 s3, s9, s1
	s_add_u32 s0, s10, s0
	v_mul_f32_e32 v1, v14, v1
	s_addc_u32 s1, s11, s1
	global_store_dword v0, v1, s[2:3]
	global_store_dword v0, v13, s[0:1]
.LBB277_17:
	s_endpgm
.LBB277_18:
	v_mov_b32_e32 v13, 0
	v_mov_b32_e32 v14, 0
	v_cmp_gt_i32_e32 vcc, s2, v0
	s_and_saveexec_b64 s[0:1], vcc
	s_cbranch_execnz .LBB277_16
	s_branch .LBB277_17
	.section	.rodata,"a",@progbits
	.p2align	6, 0x0
	.amdhsa_kernel _ZN5aiter24topk_softplus_kernel_optI12hip_bfloat16S1_Li256ELb1ELi1EEEvPKT_PKT0_PfPimiif
		.amdhsa_group_segment_fixed_size 0
		.amdhsa_private_segment_fixed_size 0
		.amdhsa_kernarg_size 52
		.amdhsa_user_sgpr_count 6
		.amdhsa_user_sgpr_private_segment_buffer 1
		.amdhsa_user_sgpr_dispatch_ptr 0
		.amdhsa_user_sgpr_queue_ptr 0
		.amdhsa_user_sgpr_kernarg_segment_ptr 1
		.amdhsa_user_sgpr_dispatch_id 0
		.amdhsa_user_sgpr_flat_scratch_init 0
		.amdhsa_user_sgpr_kernarg_preload_length 0
		.amdhsa_user_sgpr_kernarg_preload_offset 0
		.amdhsa_user_sgpr_private_segment_size 0
		.amdhsa_uses_dynamic_stack 0
		.amdhsa_system_sgpr_private_segment_wavefront_offset 0
		.amdhsa_system_sgpr_workgroup_id_x 1
		.amdhsa_system_sgpr_workgroup_id_y 0
		.amdhsa_system_sgpr_workgroup_id_z 0
		.amdhsa_system_sgpr_workgroup_info 0
		.amdhsa_system_vgpr_workitem_id 0
		.amdhsa_next_free_vgpr 26
		.amdhsa_next_free_sgpr 13
		.amdhsa_accum_offset 28
		.amdhsa_reserve_vcc 1
		.amdhsa_reserve_flat_scratch 0
		.amdhsa_float_round_mode_32 0
		.amdhsa_float_round_mode_16_64 0
		.amdhsa_float_denorm_mode_32 3
		.amdhsa_float_denorm_mode_16_64 3
		.amdhsa_dx10_clamp 1
		.amdhsa_ieee_mode 1
		.amdhsa_fp16_overflow 0
		.amdhsa_tg_split 0
		.amdhsa_exception_fp_ieee_invalid_op 0
		.amdhsa_exception_fp_denorm_src 0
		.amdhsa_exception_fp_ieee_div_zero 0
		.amdhsa_exception_fp_ieee_overflow 0
		.amdhsa_exception_fp_ieee_underflow 0
		.amdhsa_exception_fp_ieee_inexact 0
		.amdhsa_exception_int_div_zero 0
	.end_amdhsa_kernel
	.section	.text._ZN5aiter24topk_softplus_kernel_optI12hip_bfloat16S1_Li256ELb1ELi1EEEvPKT_PKT0_PfPimiif,"axG",@progbits,_ZN5aiter24topk_softplus_kernel_optI12hip_bfloat16S1_Li256ELb1ELi1EEEvPKT_PKT0_PfPimiif,comdat
.Lfunc_end277:
	.size	_ZN5aiter24topk_softplus_kernel_optI12hip_bfloat16S1_Li256ELb1ELi1EEEvPKT_PKT0_PfPimiif, .Lfunc_end277-_ZN5aiter24topk_softplus_kernel_optI12hip_bfloat16S1_Li256ELb1ELi1EEEvPKT_PKT0_PfPimiif
                                        ; -- End function
	.section	.AMDGPU.csdata,"",@progbits
; Kernel info:
; codeLenInByte = 1260
; NumSgprs: 17
; NumVgprs: 26
; NumAgprs: 0
; TotalNumVgprs: 26
; ScratchSize: 0
; MemoryBound: 0
; FloatMode: 240
; IeeeMode: 1
; LDSByteSize: 0 bytes/workgroup (compile time only)
; SGPRBlocks: 2
; VGPRBlocks: 3
; NumSGPRsForWavesPerEU: 17
; NumVGPRsForWavesPerEU: 26
; AccumOffset: 28
; Occupancy: 8
; WaveLimiterHint : 0
; COMPUTE_PGM_RSRC2:SCRATCH_EN: 0
; COMPUTE_PGM_RSRC2:USER_SGPR: 6
; COMPUTE_PGM_RSRC2:TRAP_HANDLER: 0
; COMPUTE_PGM_RSRC2:TGID_X_EN: 1
; COMPUTE_PGM_RSRC2:TGID_Y_EN: 0
; COMPUTE_PGM_RSRC2:TGID_Z_EN: 0
; COMPUTE_PGM_RSRC2:TIDIG_COMP_CNT: 0
; COMPUTE_PGM_RSRC3_GFX90A:ACCUM_OFFSET: 6
; COMPUTE_PGM_RSRC3_GFX90A:TG_SPLIT: 0
	.section	.text._ZN5aiter24topk_softplus_kernel_optI12hip_bfloat16S1_Li256ELb0ELi1EEEvPKT_PKT0_PfPimiif,"axG",@progbits,_ZN5aiter24topk_softplus_kernel_optI12hip_bfloat16S1_Li256ELb0ELi1EEEvPKT_PKT0_PfPimiif,comdat
	.protected	_ZN5aiter24topk_softplus_kernel_optI12hip_bfloat16S1_Li256ELb0ELi1EEEvPKT_PKT0_PfPimiif ; -- Begin function _ZN5aiter24topk_softplus_kernel_optI12hip_bfloat16S1_Li256ELb0ELi1EEEvPKT_PKT0_PfPimiif
	.globl	_ZN5aiter24topk_softplus_kernel_optI12hip_bfloat16S1_Li256ELb0ELi1EEEvPKT_PKT0_PfPimiif
	.p2align	8
	.type	_ZN5aiter24topk_softplus_kernel_optI12hip_bfloat16S1_Li256ELb0ELi1EEEvPKT_PKT0_PfPimiif,@function
_ZN5aiter24topk_softplus_kernel_optI12hip_bfloat16S1_Li256ELb0ELi1EEEvPKT_PKT0_PfPimiif: ; @_ZN5aiter24topk_softplus_kernel_optI12hip_bfloat16S1_Li256ELb0ELi1EEEvPKT_PKT0_PfPimiif
; %bb.0:
	s_load_dwordx4 s[0:3], s[4:5], 0x0
	s_lshl_b32 s8, s6, 8
	s_ashr_i32 s9, s8, 31
	s_lshl_b64 s[8:9], s[8:9], 1
	v_lshlrev_b32_e32 v1, 1, v0
	s_waitcnt lgkmcnt(0)
	s_add_u32 s10, s0, s8
	s_addc_u32 s11, s1, s9
	global_load_ushort v2, v1, s[10:11]
	s_mov_b32 s0, 0xc2fc0000
	v_mov_b32_e32 v3, 0x42800000
	v_mov_b32_e32 v6, 0x1f800000
	s_cmp_lg_u64 s[2:3], 0
	v_mov_b32_e32 v5, s11
	s_cselect_b64 s[8:9], -1, 0
	s_waitcnt vmcnt(0)
	v_lshlrev_b32_e32 v2, 16, v2
	v_mul_f32_e32 v4, 0xbfb8aa3b, v2
	v_cmp_gt_f32_e32 vcc, s0, v4
	v_cndmask_b32_e32 v4, 0, v3, vcc
	v_fmac_f32_e32 v4, 0xbfb8aa3b, v2
	v_exp_f32_e32 v2, v4
	v_cndmask_b32_e32 v4, 1.0, v6, vcc
	v_fma_f32 v2, v2, v4, 1.0
	v_rcp_f32_e32 v2, v2
	v_add_co_u32_e32 v4, vcc, s10, v1
	v_addc_co_u32_e32 v5, vcc, 0, v5, vcc
	s_and_b64 vcc, exec, s[8:9]
	v_mov_b32_e32 v10, v2
	s_cbranch_vccz .LBB278_2
; %bb.1:
	global_load_ushort v7, v1, s[2:3]
	s_waitcnt vmcnt(0)
	v_lshlrev_b32_e32 v7, 16, v7
	v_add_f32_e32 v10, v2, v7
.LBB278_2:
	global_load_ushort v7, v[4:5], off offset:128
	s_waitcnt vmcnt(0)
	v_lshlrev_b32_e32 v7, 16, v7
	v_mul_f32_e32 v8, 0xbfb8aa3b, v7
	v_cmp_gt_f32_e32 vcc, s0, v8
	v_cndmask_b32_e32 v3, 0, v3, vcc
	v_fmac_f32_e32 v3, 0xbfb8aa3b, v7
	v_exp_f32_e32 v3, v3
	v_cndmask_b32_e32 v6, 1.0, v6, vcc
	s_andn2_b64 vcc, exec, s[8:9]
	v_fma_f32 v3, v3, v6, 1.0
	v_rcp_f32_e32 v9, v3
	v_cndmask_b32_e64 v3, 0, 1, s[8:9]
	v_cmp_ne_u32_e64 s[0:1], 1, v3
	v_mov_b32_e32 v12, v9
	s_cbranch_vccnz .LBB278_4
; %bb.3:
	global_load_ushort v3, v1, s[2:3] offset:128
	s_waitcnt vmcnt(0)
	v_lshlrev_b32_e32 v3, 16, v3
	v_add_f32_e32 v12, v9, v3
.LBB278_4:
	global_load_ushort v6, v[4:5], off offset:256
	s_mov_b32 s7, 0xc2fc0000
	v_mov_b32_e32 v3, 0x42800000
	s_waitcnt vmcnt(0)
	v_lshlrev_b32_e32 v6, 16, v6
	v_mul_f32_e32 v7, 0xbfb8aa3b, v6
	v_cmp_gt_f32_e32 vcc, s7, v7
	v_cndmask_b32_e32 v7, 0, v3, vcc
	v_fmac_f32_e32 v7, 0xbfb8aa3b, v6
	v_exp_f32_e32 v6, v7
	v_mov_b32_e32 v7, 0x1f800000
	v_cndmask_b32_e32 v8, 1.0, v7, vcc
	s_and_b64 vcc, exec, s[0:1]
	v_fma_f32 v6, v6, v8, 1.0
	v_rcp_f32_e32 v8, v6
	v_mov_b32_e32 v6, v8
	s_cbranch_vccnz .LBB278_6
; %bb.5:
	global_load_ushort v6, v1, s[2:3] offset:256
	s_waitcnt vmcnt(0)
	v_lshlrev_b32_e32 v6, 16, v6
	v_add_f32_e32 v6, v8, v6
.LBB278_6:
	global_load_ushort v4, v[4:5], off offset:384
	s_waitcnt vmcnt(0)
	v_lshlrev_b32_e32 v4, 16, v4
	v_mul_f32_e32 v5, 0xbfb8aa3b, v4
	v_cmp_gt_f32_e32 vcc, s7, v5
	v_cndmask_b32_e32 v3, 0, v3, vcc
	v_fmac_f32_e32 v3, 0xbfb8aa3b, v4
	v_exp_f32_e32 v3, v3
	v_cndmask_b32_e32 v4, 1.0, v7, vcc
	s_and_b64 vcc, exec, s[0:1]
	v_fma_f32 v3, v3, v4, 1.0
	v_rcp_f32_e32 v3, v3
	v_mov_b32_e32 v5, v3
	s_cbranch_vccnz .LBB278_8
; %bb.7:
	global_load_ushort v1, v1, s[2:3] offset:384
	s_waitcnt vmcnt(0)
	v_lshlrev_b32_e32 v1, 16, v1
	v_add_f32_e32 v5, v3, v1
.LBB278_8:
	v_add_u32_e32 v4, 64, v0
	v_cmp_lt_f32_e32 vcc, v10, v12
	v_add_u32_e32 v15, 0x80, v0
	v_add_u32_e32 v7, 0xc0, v0
	v_cndmask_b32_e32 v11, v9, v2, vcc
	v_cndmask_b32_e32 v2, v2, v9, vcc
	;; [unrolled: 1-line block ×6, first 2 shown]
	v_cmp_lt_f32_e32 vcc, v6, v5
	v_mov_b32_e32 v12, v6
	s_and_saveexec_b64 s[0:1], vcc
	s_xor_b64 s[0:1], exec, s[0:1]
; %bb.9:
	v_mov_b32_e32 v12, v15
	v_mov_b32_e32 v13, v6
	;; [unrolled: 1-line block ×4, first 2 shown]
	v_swap_b32 v8, v3
	v_swap_b32 v15, v7
	v_mov_b32_e32 v12, v5
	v_mov_b32_e32 v5, v13
; %bb.10:
	s_or_b64 exec, exec, s[0:1]
	v_cmp_lt_f32_e32 vcc, v14, v6
	v_cndmask_b32_e32 v13, v8, v2, vcc
	v_cndmask_b32_e32 v2, v2, v8, vcc
	;; [unrolled: 1-line block ×6, first 2 shown]
	v_cmp_lt_f32_e32 vcc, v9, v5
	v_mov_b32_e32 v14, v9
	s_and_saveexec_b64 s[0:1], vcc
; %bb.11:
	v_mov_b32_e32 v14, v1
	v_mov_b32_e32 v15, v9
	;; [unrolled: 1-line block ×4, first 2 shown]
	v_swap_b32 v11, v3
	v_swap_b32 v1, v7
	v_mov_b32_e32 v14, v5
	v_mov_b32_e32 v5, v15
; %bb.12:
	s_or_b64 exec, exec, s[0:1]
	s_load_dword s2, s[4:5], 0x28
	s_load_dwordx4 s[8:11], s[4:5], 0x10
	s_waitcnt lgkmcnt(0)
	s_cmp_lt_i32 s2, 1
	s_cbranch_scc1 .LBB278_18
; %bb.13:
	v_cmp_lt_f32_e32 vcc, v9, v12
	v_cndmask_b32_e32 v8, v10, v1, vcc
	v_cndmask_b32_e32 v1, v1, v10, vcc
	;; [unrolled: 1-line block ×6, first 2 shown]
	v_mbcnt_lo_u32_b32 v13, -1, 0
	v_mbcnt_hi_u32_b32 v13, -1, v13
	v_bfrev_b32_e32 v17, 0.5
	v_mov_b32_e32 v15, 0
	v_mov_b32_e32 v14, 0
	;; [unrolled: 1-line block ×3, first 2 shown]
	v_lshl_or_b32 v17, v13, 2, v17
	v_mov_b32_e32 v18, v0
	s_mov_b32 s3, s2
	v_mov_b32_e32 v13, 0
.LBB278_14:                             ; =>This Inner Loop Header: Depth=1
	v_cmp_eq_u32_e32 vcc, 1, v15
	v_cndmask_b32_e32 v19, v6, v9, vcc
	v_cmp_eq_u32_e64 s[0:1], 2, v15
	v_cndmask_b32_e64 v19, v19, v10, s[0:1]
	v_cndmask_b32_e32 v20, v4, v1, vcc
	v_cndmask_b32_e32 v21, v2, v11, vcc
	v_cmp_eq_u32_e32 vcc, 3, v15
	v_cndmask_b32_e32 v19, v19, v5, vcc
	v_cndmask_b32_e64 v20, v20, v8, s[0:1]
	v_cndmask_b32_e64 v21, v21, v12, s[0:1]
	v_cmp_gt_u32_e64 s[0:1], 4, v15
	v_cndmask_b32_e64 v19, v16, v19, s[0:1]
	;;#ASMSTART
	v_max_f32 v23, v19, v19 quad_perm:[1,0,3,2] row_mask:0xf bank_mask:0xf bound_ctrl:1
	;;#ASMEND
	;;#ASMSTART
	v_max_f32 v24, v23, v23 quad_perm:[2,3,0,1] row_mask:0xf bank_mask:0xf bound_ctrl:1
	;;#ASMEND
	;;#ASMSTART
	v_max_f32 v23, v24, v24 row_half_mirror row_mask:0xf bank_mask:0xf bound_ctrl:1
	;;#ASMEND
	;;#ASMSTART
	v_max_f32 v24, v23, v23 row_mirror row_mask:0xf bank_mask:0xf bound_ctrl:1
	;;#ASMEND
	;;#ASMSTART
	v_max_f32 v23, v24, v24 row_ror:4 row_mask:0xf bank_mask:0xf bound_ctrl:1
	;;#ASMEND
	;;#ASMSTART
	v_max_f32 v24, v23, v23 row_ror:8 row_mask:0xf bank_mask:0xf bound_ctrl:1
	;;#ASMEND
	;;#ASMSTART
	v_max_f32 v23, v24, v24 row_bcast:15 row_mask:0xf bank_mask:0xf bound_ctrl:1
	;;#ASMEND
	;;#ASMSTART
	v_max_f32 v24, v23, v23 row_bcast:31 row_mask:0xf bank_mask:0xf bound_ctrl:1
	;;#ASMEND
	ds_bpermute_b32 v23, v17, v24
	v_cndmask_b32_e32 v20, v20, v7, vcc
	v_cndmask_b32_e32 v21, v21, v3, vcc
	v_cndmask_b32_e64 v22, 0, v20, s[0:1]
	s_waitcnt lgkmcnt(0)
	v_cmp_eq_f32_e32 vcc, v19, v23
	s_ff1_i32_b64 s7, vcc
	s_cmp_lg_u64 vcc, 0
	s_cselect_b32 s7, s7, 0
	v_readlane_b32 s7, v22, s7
	v_cmp_eq_u32_e32 vcc, s7, v20
	s_and_b64 vcc, s[0:1], vcc
	s_and_b32 s12, s7, 63
	v_cndmask_b32_e32 v20, 0, v21, vcc
	v_addc_co_u32_e32 v15, vcc, 0, v15, vcc
	v_readlane_b32 s0, v20, s12
	s_add_i32 s3, s3, -1
	v_mov_b32_e32 v19, s7
	v_mov_b32_e32 v20, s0
	v_cmp_eq_u32_e32 vcc, 0, v18
	s_cmp_eq_u32 s3, 0
	v_add_u32_e32 v18, -1, v18
	v_cndmask_b32_e32 v14, v14, v20, vcc
	v_cndmask_b32_e32 v13, v13, v19, vcc
	s_cbranch_scc0 .LBB278_14
; %bb.15:
	v_cmp_gt_i32_e32 vcc, s2, v0
	s_and_saveexec_b64 s[0:1], vcc
	s_cbranch_execz .LBB278_17
.LBB278_16:
	s_load_dword s2, s[4:5], 0x30
	s_load_dwordx2 s[0:1], s[4:5], 0x20
	s_ashr_i32 s3, s6, 31
	v_lshlrev_b32_e32 v0, 2, v0
	s_waitcnt lgkmcnt(0)
	v_mul_f32_e32 v1, s2, v14
	s_mul_i32 s1, s6, s1
	s_mul_hi_u32 s2, s6, s0
	s_add_i32 s1, s2, s1
	s_mul_i32 s3, s3, s0
	s_add_i32 s1, s1, s3
	s_mul_i32 s0, s6, s0
	s_lshl_b64 s[0:1], s[0:1], 2
	s_add_u32 s2, s8, s0
	s_addc_u32 s3, s9, s1
	s_add_u32 s0, s10, s0
	s_addc_u32 s1, s11, s1
	global_store_dword v0, v1, s[2:3]
	global_store_dword v0, v13, s[0:1]
.LBB278_17:
	s_endpgm
.LBB278_18:
	v_mov_b32_e32 v13, 0
	v_mov_b32_e32 v14, 0
	v_cmp_gt_i32_e32 vcc, s2, v0
	s_and_saveexec_b64 s[0:1], vcc
	s_cbranch_execnz .LBB278_16
	s_branch .LBB278_17
	.section	.rodata,"a",@progbits
	.p2align	6, 0x0
	.amdhsa_kernel _ZN5aiter24topk_softplus_kernel_optI12hip_bfloat16S1_Li256ELb0ELi1EEEvPKT_PKT0_PfPimiif
		.amdhsa_group_segment_fixed_size 0
		.amdhsa_private_segment_fixed_size 0
		.amdhsa_kernarg_size 52
		.amdhsa_user_sgpr_count 6
		.amdhsa_user_sgpr_private_segment_buffer 1
		.amdhsa_user_sgpr_dispatch_ptr 0
		.amdhsa_user_sgpr_queue_ptr 0
		.amdhsa_user_sgpr_kernarg_segment_ptr 1
		.amdhsa_user_sgpr_dispatch_id 0
		.amdhsa_user_sgpr_flat_scratch_init 0
		.amdhsa_user_sgpr_kernarg_preload_length 0
		.amdhsa_user_sgpr_kernarg_preload_offset 0
		.amdhsa_user_sgpr_private_segment_size 0
		.amdhsa_uses_dynamic_stack 0
		.amdhsa_system_sgpr_private_segment_wavefront_offset 0
		.amdhsa_system_sgpr_workgroup_id_x 1
		.amdhsa_system_sgpr_workgroup_id_y 0
		.amdhsa_system_sgpr_workgroup_id_z 0
		.amdhsa_system_sgpr_workgroup_info 0
		.amdhsa_system_vgpr_workitem_id 0
		.amdhsa_next_free_vgpr 25
		.amdhsa_next_free_sgpr 13
		.amdhsa_accum_offset 28
		.amdhsa_reserve_vcc 1
		.amdhsa_reserve_flat_scratch 0
		.amdhsa_float_round_mode_32 0
		.amdhsa_float_round_mode_16_64 0
		.amdhsa_float_denorm_mode_32 3
		.amdhsa_float_denorm_mode_16_64 3
		.amdhsa_dx10_clamp 1
		.amdhsa_ieee_mode 1
		.amdhsa_fp16_overflow 0
		.amdhsa_tg_split 0
		.amdhsa_exception_fp_ieee_invalid_op 0
		.amdhsa_exception_fp_denorm_src 0
		.amdhsa_exception_fp_ieee_div_zero 0
		.amdhsa_exception_fp_ieee_overflow 0
		.amdhsa_exception_fp_ieee_underflow 0
		.amdhsa_exception_fp_ieee_inexact 0
		.amdhsa_exception_int_div_zero 0
	.end_amdhsa_kernel
	.section	.text._ZN5aiter24topk_softplus_kernel_optI12hip_bfloat16S1_Li256ELb0ELi1EEEvPKT_PKT0_PfPimiif,"axG",@progbits,_ZN5aiter24topk_softplus_kernel_optI12hip_bfloat16S1_Li256ELb0ELi1EEEvPKT_PKT0_PfPimiif,comdat
.Lfunc_end278:
	.size	_ZN5aiter24topk_softplus_kernel_optI12hip_bfloat16S1_Li256ELb0ELi1EEEvPKT_PKT0_PfPimiif, .Lfunc_end278-_ZN5aiter24topk_softplus_kernel_optI12hip_bfloat16S1_Li256ELb0ELi1EEEvPKT_PKT0_PfPimiif
                                        ; -- End function
	.section	.AMDGPU.csdata,"",@progbits
; Kernel info:
; codeLenInByte = 1160
; NumSgprs: 17
; NumVgprs: 25
; NumAgprs: 0
; TotalNumVgprs: 25
; ScratchSize: 0
; MemoryBound: 0
; FloatMode: 240
; IeeeMode: 1
; LDSByteSize: 0 bytes/workgroup (compile time only)
; SGPRBlocks: 2
; VGPRBlocks: 3
; NumSGPRsForWavesPerEU: 17
; NumVGPRsForWavesPerEU: 25
; AccumOffset: 28
; Occupancy: 8
; WaveLimiterHint : 0
; COMPUTE_PGM_RSRC2:SCRATCH_EN: 0
; COMPUTE_PGM_RSRC2:USER_SGPR: 6
; COMPUTE_PGM_RSRC2:TRAP_HANDLER: 0
; COMPUTE_PGM_RSRC2:TGID_X_EN: 1
; COMPUTE_PGM_RSRC2:TGID_Y_EN: 0
; COMPUTE_PGM_RSRC2:TGID_Z_EN: 0
; COMPUTE_PGM_RSRC2:TIDIG_COMP_CNT: 0
; COMPUTE_PGM_RSRC3_GFX90A:ACCUM_OFFSET: 6
; COMPUTE_PGM_RSRC3_GFX90A:TG_SPLIT: 0
	.section	.text._ZN5aiter24topk_softplus_kernel_optI12hip_bfloat16S1_Li384ELb1ELi1EEEvPKT_PKT0_PfPimiif,"axG",@progbits,_ZN5aiter24topk_softplus_kernel_optI12hip_bfloat16S1_Li384ELb1ELi1EEEvPKT_PKT0_PfPimiif,comdat
	.protected	_ZN5aiter24topk_softplus_kernel_optI12hip_bfloat16S1_Li384ELb1ELi1EEEvPKT_PKT0_PfPimiif ; -- Begin function _ZN5aiter24topk_softplus_kernel_optI12hip_bfloat16S1_Li384ELb1ELi1EEEvPKT_PKT0_PfPimiif
	.globl	_ZN5aiter24topk_softplus_kernel_optI12hip_bfloat16S1_Li384ELb1ELi1EEEvPKT_PKT0_PfPimiif
	.p2align	8
	.type	_ZN5aiter24topk_softplus_kernel_optI12hip_bfloat16S1_Li384ELb1ELi1EEEvPKT_PKT0_PfPimiif,@function
_ZN5aiter24topk_softplus_kernel_optI12hip_bfloat16S1_Li384ELb1ELi1EEEvPKT_PKT0_PfPimiif: ; @_ZN5aiter24topk_softplus_kernel_optI12hip_bfloat16S1_Li384ELb1ELi1EEEvPKT_PKT0_PfPimiif
; %bb.0:
	s_load_dwordx4 s[0:3], s[4:5], 0x0
	s_mul_i32 s8, s6, 0x180
	s_ashr_i32 s9, s8, 31
	s_lshl_b64 s[8:9], s[8:9], 1
	v_lshlrev_b32_e32 v1, 1, v0
	s_waitcnt lgkmcnt(0)
	s_add_u32 s10, s0, s8
	s_addc_u32 s11, s1, s9
	global_load_ushort v2, v1, s[10:11]
	s_mov_b32 s0, 0xc2fc0000
	v_mov_b32_e32 v6, 0x42800000
	v_mov_b32_e32 v7, 0x1f800000
	s_cmp_lg_u64 s[2:3], 0
	s_cselect_b64 s[8:9], -1, 0
	s_waitcnt vmcnt(0)
	v_lshlrev_b32_e32 v2, 16, v2
	v_mul_f32_e32 v3, 0xbfb8aa3b, v2
	v_cmp_gt_f32_e32 vcc, s0, v3
	v_cndmask_b32_e32 v3, 0, v6, vcc
	v_fmac_f32_e32 v3, 0xbfb8aa3b, v2
	v_exp_f32_e32 v2, v3
	v_cndmask_b32_e32 v4, 1.0, v7, vcc
	v_mov_b32_e32 v3, s11
	v_fma_f32 v2, v2, v4, 1.0
	v_rcp_f32_e32 v4, v2
	v_add_co_u32_e32 v2, vcc, s10, v1
	v_addc_co_u32_e32 v3, vcc, 0, v3, vcc
	s_and_b64 vcc, exec, s[8:9]
	v_mov_b32_e32 v5, v4
	s_cbranch_vccz .LBB279_2
; %bb.1:
	global_load_ushort v5, v1, s[2:3]
	s_waitcnt vmcnt(0)
	v_lshlrev_b32_e32 v5, 16, v5
	v_add_f32_e32 v5, v4, v5
.LBB279_2:
	global_load_ushort v8, v[2:3], off offset:128
	s_waitcnt vmcnt(0)
	v_lshlrev_b32_e32 v8, 16, v8
	v_mul_f32_e32 v9, 0xbfb8aa3b, v8
	v_cmp_gt_f32_e32 vcc, s0, v9
	v_cndmask_b32_e32 v6, 0, v6, vcc
	v_fmac_f32_e32 v6, 0xbfb8aa3b, v8
	v_exp_f32_e32 v6, v6
	v_cndmask_b32_e32 v7, 1.0, v7, vcc
	s_andn2_b64 vcc, exec, s[8:9]
	v_fma_f32 v6, v6, v7, 1.0
	v_rcp_f32_e32 v6, v6
	v_cndmask_b32_e64 v7, 0, 1, s[8:9]
	v_cmp_ne_u32_e64 s[0:1], 1, v7
	v_mov_b32_e32 v7, v6
	s_cbranch_vccnz .LBB279_4
; %bb.3:
	global_load_ushort v7, v1, s[2:3] offset:128
	s_waitcnt vmcnt(0)
	v_lshlrev_b32_e32 v7, 16, v7
	v_add_f32_e32 v7, v6, v7
.LBB279_4:
	global_load_ushort v8, v[2:3], off offset:256
	s_mov_b32 s7, 0xc2fc0000
	v_mov_b32_e32 v10, 0x42800000
	v_mov_b32_e32 v11, 0x1f800000
	s_waitcnt vmcnt(0)
	v_lshlrev_b32_e32 v8, 16, v8
	v_mul_f32_e32 v9, 0xbfb8aa3b, v8
	v_cmp_gt_f32_e32 vcc, s7, v9
	v_cndmask_b32_e32 v9, 0, v10, vcc
	v_fmac_f32_e32 v9, 0xbfb8aa3b, v8
	v_exp_f32_e32 v8, v9
	v_cndmask_b32_e32 v9, 1.0, v11, vcc
	s_and_b64 vcc, exec, s[0:1]
	v_fma_f32 v8, v8, v9, 1.0
	v_rcp_f32_e32 v8, v8
	v_mov_b32_e32 v9, v8
	s_cbranch_vccnz .LBB279_6
; %bb.5:
	global_load_ushort v9, v1, s[2:3] offset:256
	s_waitcnt vmcnt(0)
	v_lshlrev_b32_e32 v9, 16, v9
	v_add_f32_e32 v9, v8, v9
.LBB279_6:
	global_load_ushort v12, v[2:3], off offset:384
	s_waitcnt vmcnt(0)
	v_lshlrev_b32_e32 v12, 16, v12
	v_mul_f32_e32 v13, 0xbfb8aa3b, v12
	v_cmp_gt_f32_e32 vcc, s7, v13
	v_cndmask_b32_e32 v10, 0, v10, vcc
	v_fmac_f32_e32 v10, 0xbfb8aa3b, v12
	v_exp_f32_e32 v10, v10
	v_cndmask_b32_e32 v11, 1.0, v11, vcc
	s_and_b64 vcc, exec, s[0:1]
	v_fma_f32 v10, v10, v11, 1.0
	v_rcp_f32_e32 v10, v10
	v_mov_b32_e32 v11, v10
	s_cbranch_vccnz .LBB279_8
; %bb.7:
	global_load_ushort v11, v1, s[2:3] offset:384
	s_waitcnt vmcnt(0)
	v_lshlrev_b32_e32 v11, 16, v11
	v_add_f32_e32 v11, v10, v11
.LBB279_8:
	global_load_ushort v12, v[2:3], off offset:512
	v_mov_b32_e32 v14, 0x42800000
	v_mov_b32_e32 v15, 0x1f800000
	s_waitcnt vmcnt(0)
	v_lshlrev_b32_e32 v12, 16, v12
	v_mul_f32_e32 v13, 0xbfb8aa3b, v12
	v_cmp_gt_f32_e32 vcc, s7, v13
	v_cndmask_b32_e32 v13, 0, v14, vcc
	v_fmac_f32_e32 v13, 0xbfb8aa3b, v12
	v_exp_f32_e32 v12, v13
	v_cndmask_b32_e32 v13, 1.0, v15, vcc
	s_and_b64 vcc, exec, s[0:1]
	v_fma_f32 v12, v12, v13, 1.0
	v_rcp_f32_e32 v12, v12
	v_mov_b32_e32 v13, v12
	s_cbranch_vccnz .LBB279_10
; %bb.9:
	global_load_ushort v13, v1, s[2:3] offset:512
	s_waitcnt vmcnt(0)
	v_lshlrev_b32_e32 v13, 16, v13
	v_add_f32_e32 v13, v12, v13
.LBB279_10:
	global_load_ushort v2, v[2:3], off offset:640
	s_waitcnt vmcnt(0)
	v_lshlrev_b32_e32 v2, 16, v2
	v_mul_f32_e32 v3, 0xbfb8aa3b, v2
	v_cmp_gt_f32_e32 vcc, s7, v3
	v_cndmask_b32_e32 v3, 0, v14, vcc
	v_fmac_f32_e32 v3, 0xbfb8aa3b, v2
	v_exp_f32_e32 v2, v3
	v_cndmask_b32_e32 v3, 1.0, v15, vcc
	s_and_b64 vcc, exec, s[0:1]
	v_fma_f32 v2, v2, v3, 1.0
	v_rcp_f32_e32 v2, v2
	v_mov_b32_e32 v3, v2
	s_cbranch_vccnz .LBB279_12
; %bb.11:
	global_load_ushort v1, v1, s[2:3] offset:640
	s_waitcnt vmcnt(0)
	v_lshlrev_b32_e32 v1, 16, v1
	v_add_f32_e32 v3, v2, v1
.LBB279_12:
	v_add_u32_e32 v1, 64, v0
	v_cmp_lt_f32_e32 vcc, v5, v7
	v_add_u32_e32 v14, 0x80, v0
	v_add_u32_e32 v15, 0xc0, v0
	v_cndmask_b32_e32 v18, v6, v4, vcc
	v_cndmask_b32_e32 v4, v4, v6, vcc
	;; [unrolled: 1-line block ×6, first 2 shown]
	v_cmp_lt_f32_e32 vcc, v9, v11
	v_add_u32_e32 v16, 0x100, v0
	v_add_u32_e32 v17, 0x140, v0
	v_cndmask_b32_e32 v7, v10, v8, vcc
	v_cndmask_b32_e32 v8, v8, v10, vcc
	v_cndmask_b32_e32 v10, v15, v14, vcc
	v_cndmask_b32_e32 v14, v14, v15, vcc
	v_cndmask_b32_e32 v15, v11, v9, vcc
	v_cndmask_b32_e32 v9, v9, v11, vcc
	v_cmp_lt_f32_e32 vcc, v13, v3
	v_cndmask_b32_e32 v11, v2, v12, vcc
	v_cndmask_b32_e32 v2, v12, v2, vcc
	v_cndmask_b32_e32 v12, v17, v16, vcc
	v_cndmask_b32_e32 v16, v16, v17, vcc
	v_cndmask_b32_e32 v17, v3, v13, vcc
	v_cndmask_b32_e32 v3, v13, v3, vcc
	v_cmp_lt_f32_e32 vcc, v5, v9
	v_cndmask_b32_e32 v13, v8, v4, vcc
	v_cndmask_b32_e32 v4, v4, v8, vcc
	v_cndmask_b32_e32 v8, v14, v1, vcc
	v_cndmask_b32_e32 v1, v1, v14, vcc
	v_cndmask_b32_e32 v14, v9, v5, vcc
	v_cndmask_b32_e32 v5, v5, v9, vcc
	v_cmp_lt_f32_e32 vcc, v19, v3
	v_cndmask_b32_e32 v9, v2, v18, vcc
	v_cndmask_b32_e32 v18, v18, v2, vcc
	v_cndmask_b32_e32 v20, v16, v6, vcc
	v_cndmask_b32_e32 v6, v6, v16, vcc
	v_cndmask_b32_e32 v21, v3, v19, vcc
	v_cndmask_b32_e32 v3, v19, v3, vcc
	v_cmp_lt_f32_e32 vcc, v15, v17
	v_cndmask_b32_e32 v22, v11, v7, vcc
	v_cndmask_b32_e32 v7, v7, v11, vcc
	v_cndmask_b32_e32 v11, v12, v10, vcc
	v_cndmask_b32_e32 v10, v10, v12, vcc
	v_cndmask_b32_e32 v23, v17, v15, vcc
	v_cndmask_b32_e32 v12, v15, v17, vcc
	v_cmp_lt_f32_e32 vcc, v5, v3
	v_cndmask_b32_e32 v2, v4, v18, vcc
	v_cndmask_b32_e32 v24, v18, v4, vcc
	v_cndmask_b32_e32 v4, v1, v6, vcc
	v_cndmask_b32_e32 v25, v6, v1, vcc
	v_cndmask_b32_e32 v6, v5, v3, vcc
	v_cndmask_b32_e32 v26, v3, v5, vcc
	v_cmp_lt_f32_e32 vcc, v14, v12
	v_cndmask_b32_e32 v19, v7, v13, vcc
	v_cndmask_b32_e32 v1, v13, v7, vcc
	v_cndmask_b32_e32 v15, v10, v8, vcc
	v_cndmask_b32_e32 v3, v8, v10, vcc
	v_cndmask_b32_e32 v16, v12, v14, vcc
	v_cndmask_b32_e32 v13, v14, v12, vcc
	v_cmp_lt_f32_e32 vcc, v21, v23
	v_cndmask_b32_e32 v12, v21, v23, vcc
	v_cmp_lt_f32_e64 s[0:1], v26, v13
	v_cndmask_b32_e32 v5, v22, v9, vcc
	v_cndmask_b32_e32 v8, v9, v22, vcc
	;; [unrolled: 1-line block ×3, first 2 shown]
	v_cndmask_b32_e64 v18, v1, v24, s[0:1]
	v_cndmask_b32_e64 v14, v3, v25, s[0:1]
	;; [unrolled: 1-line block ×3, first 2 shown]
	v_cmp_lt_f32_e64 s[2:3], v16, v12
	v_cndmask_b32_e32 v10, v20, v11, vcc
	v_cndmask_b32_e32 v9, v23, v21, vcc
	v_cndmask_b32_e64 v1, v24, v1, s[0:1]
	v_cndmask_b32_e64 v3, v25, v3, s[0:1]
	v_cndmask_b32_e64 v11, v26, v13, s[0:1]
	s_and_saveexec_b64 s[0:1], s[2:3]
	s_xor_b64 s[0:1], exec, s[0:1]
; %bb.13:
	v_mov_b32_e32 v13, v19
	v_mov_b32_e32 v20, v15
	;; [unrolled: 1-line block ×3, first 2 shown]
	v_swap_b32 v16, v12
	v_swap_b32 v19, v8
	;; [unrolled: 1-line block ×3, first 2 shown]
; %bb.14:
	s_or_b64 exec, exec, s[0:1]
	s_load_dword s7, s[4:5], 0x28
	s_load_dwordx4 s[16:19], s[4:5], 0x10
	v_mov_b32_e32 v21, 0
	s_waitcnt lgkmcnt(0)
	s_cmp_lt_i32 s7, 1
	s_cbranch_scc1 .LBB279_20
; %bb.15:
	v_cmp_lt_f32_e32 vcc, v17, v16
	v_cndmask_b32_e32 v13, v15, v14, vcc
	v_cndmask_b32_e32 v14, v14, v15, vcc
	;; [unrolled: 1-line block ×6, first 2 shown]
	v_mbcnt_lo_u32_b32 v19, -1, 0
	v_mbcnt_hi_u32_b32 v19, -1, v19
	v_bfrev_b32_e32 v20, 0.5
	v_mov_b32_e32 v21, 0
	v_mov_b32_e32 v22, 0
	;; [unrolled: 1-line block ×3, first 2 shown]
	v_lshl_or_b32 v24, v19, 2, v20
	v_mov_b32_e32 v25, v0
	s_mov_b32 s20, s7
	v_mov_b32_e32 v19, 0
	v_mov_b32_e32 v20, 0
.LBB279_16:                             ; =>This Inner Loop Header: Depth=1
	v_cmp_eq_u32_e32 vcc, 1, v22
	v_cndmask_b32_e32 v26, v6, v11, vcc
	v_cmp_eq_u32_e64 s[0:1], 2, v22
	v_cndmask_b32_e64 v26, v26, v16, s[0:1]
	v_cmp_eq_u32_e64 s[2:3], 3, v22
	v_cndmask_b32_e64 v26, v26, v15, s[2:3]
	;; [unrolled: 2-line block ×4, first 2 shown]
	v_cmp_gt_u32_e64 s[12:13], 6, v22
	v_cndmask_b32_e64 v26, v23, v26, s[12:13]
	;;#ASMSTART
	v_max_f32 v27, v26, v26 quad_perm:[1,0,3,2] row_mask:0xf bank_mask:0xf bound_ctrl:1
	;;#ASMEND
	;;#ASMSTART
	v_max_f32 v28, v27, v27 quad_perm:[2,3,0,1] row_mask:0xf bank_mask:0xf bound_ctrl:1
	;;#ASMEND
	;;#ASMSTART
	v_max_f32 v27, v28, v28 row_half_mirror row_mask:0xf bank_mask:0xf bound_ctrl:1
	;;#ASMEND
	;;#ASMSTART
	v_max_f32 v28, v27, v27 row_mirror row_mask:0xf bank_mask:0xf bound_ctrl:1
	;;#ASMEND
	;;#ASMSTART
	v_max_f32 v27, v28, v28 row_ror:4 row_mask:0xf bank_mask:0xf bound_ctrl:1
	;;#ASMEND
	;;#ASMSTART
	v_max_f32 v28, v27, v27 row_ror:8 row_mask:0xf bank_mask:0xf bound_ctrl:1
	;;#ASMEND
	;;#ASMSTART
	v_max_f32 v27, v28, v28 row_bcast:15 row_mask:0xf bank_mask:0xf bound_ctrl:1
	;;#ASMEND
	;;#ASMSTART
	v_max_f32 v28, v27, v27 row_bcast:31 row_mask:0xf bank_mask:0xf bound_ctrl:1
	;;#ASMEND
	ds_bpermute_b32 v27, v24, v28
	s_waitcnt lgkmcnt(0)
	v_cmp_eq_f32_e64 s[14:15], v26, v27
	v_cndmask_b32_e32 v26, v4, v3, vcc
	v_cndmask_b32_e64 v26, v26, v14, s[0:1]
	v_cndmask_b32_e64 v26, v26, v13, s[2:3]
	;; [unrolled: 1-line block ×4, first 2 shown]
	s_ff1_i32_b64 s21, s[14:15]
	s_cmp_lg_u64 s[14:15], 0
	s_cselect_b32 s14, s21, 0
	v_cndmask_b32_e64 v27, 0, v26, s[12:13]
	v_readlane_b32 s21, v27, s14
	v_cmp_eq_u32_e64 s[14:15], s21, v26
	v_cndmask_b32_e32 v26, v2, v1, vcc
	v_cndmask_b32_e64 v26, v26, v18, s[0:1]
	v_cndmask_b32_e64 v26, v26, v17, s[2:3]
	;; [unrolled: 1-line block ×4, first 2 shown]
	s_and_b64 vcc, s[12:13], s[14:15]
	s_and_b32 s0, s21, 63
	v_cndmask_b32_e32 v26, 0, v26, vcc
	v_readlane_b32 s2, v26, s0
	v_mov_b32_e32 v26, s2
	v_cmp_eq_u32_e64 s[0:1], 0, v25
	v_cndmask_b32_e64 v20, v20, v26, s[0:1]
	v_mov_b32_e32 v26, s21
	s_add_i32 s20, s20, -1
	v_cndmask_b32_e64 v19, v19, v26, s[0:1]
	v_addc_co_u32_e32 v22, vcc, 0, v22, vcc
	s_cmp_eq_u32 s20, 0
	v_add_f32_e32 v21, s2, v21
	v_add_u32_e32 v25, -1, v25
	s_cbranch_scc0 .LBB279_16
; %bb.17:
	v_cmp_gt_i32_e32 vcc, s7, v0
	s_and_saveexec_b64 s[0:1], vcc
	s_cbranch_execz .LBB279_19
.LBB279_18:
	s_load_dword s2, s[4:5], 0x30
	v_max_f32_e32 v1, v21, v21
	v_max_f32_e32 v1, 0x1e3ce508, v1
	v_lshlrev_b32_e32 v0, 2, v0
	s_waitcnt lgkmcnt(0)
	v_div_scale_f32 v2, s[0:1], v1, v1, s2
	v_rcp_f32_e32 v3, v2
	v_div_scale_f32 v4, vcc, s2, v1, s2
	s_load_dwordx2 s[0:1], s[4:5], 0x20
	v_fma_f32 v5, -v2, v3, 1.0
	v_fmac_f32_e32 v3, v5, v3
	v_mul_f32_e32 v5, v4, v3
	v_fma_f32 v6, -v2, v5, v4
	v_fmac_f32_e32 v5, v6, v3
	v_fma_f32 v2, -v2, v5, v4
	v_div_fmas_f32 v2, v2, v3, v5
	v_div_fixup_f32 v1, v2, v1, s2
	s_ashr_i32 s2, s6, 31
	s_waitcnt lgkmcnt(0)
	s_mul_i32 s1, s6, s1
	s_mul_hi_u32 s3, s6, s0
	s_add_i32 s1, s3, s1
	s_mul_i32 s2, s2, s0
	s_add_i32 s1, s1, s2
	s_mul_i32 s0, s6, s0
	s_lshl_b64 s[0:1], s[0:1], 2
	s_add_u32 s2, s16, s0
	s_addc_u32 s3, s17, s1
	s_add_u32 s0, s18, s0
	v_mul_f32_e32 v1, v20, v1
	s_addc_u32 s1, s19, s1
	global_store_dword v0, v1, s[2:3]
	global_store_dword v0, v19, s[0:1]
.LBB279_19:
	s_endpgm
.LBB279_20:
	v_mov_b32_e32 v19, 0
	v_mov_b32_e32 v20, 0
	v_cmp_gt_i32_e32 vcc, s7, v0
	s_and_saveexec_b64 s[0:1], vcc
	s_cbranch_execnz .LBB279_18
	s_branch .LBB279_19
	.section	.rodata,"a",@progbits
	.p2align	6, 0x0
	.amdhsa_kernel _ZN5aiter24topk_softplus_kernel_optI12hip_bfloat16S1_Li384ELb1ELi1EEEvPKT_PKT0_PfPimiif
		.amdhsa_group_segment_fixed_size 0
		.amdhsa_private_segment_fixed_size 0
		.amdhsa_kernarg_size 52
		.amdhsa_user_sgpr_count 6
		.amdhsa_user_sgpr_private_segment_buffer 1
		.amdhsa_user_sgpr_dispatch_ptr 0
		.amdhsa_user_sgpr_queue_ptr 0
		.amdhsa_user_sgpr_kernarg_segment_ptr 1
		.amdhsa_user_sgpr_dispatch_id 0
		.amdhsa_user_sgpr_flat_scratch_init 0
		.amdhsa_user_sgpr_kernarg_preload_length 0
		.amdhsa_user_sgpr_kernarg_preload_offset 0
		.amdhsa_user_sgpr_private_segment_size 0
		.amdhsa_uses_dynamic_stack 0
		.amdhsa_system_sgpr_private_segment_wavefront_offset 0
		.amdhsa_system_sgpr_workgroup_id_x 1
		.amdhsa_system_sgpr_workgroup_id_y 0
		.amdhsa_system_sgpr_workgroup_id_z 0
		.amdhsa_system_sgpr_workgroup_info 0
		.amdhsa_system_vgpr_workitem_id 0
		.amdhsa_next_free_vgpr 29
		.amdhsa_next_free_sgpr 22
		.amdhsa_accum_offset 32
		.amdhsa_reserve_vcc 1
		.amdhsa_reserve_flat_scratch 0
		.amdhsa_float_round_mode_32 0
		.amdhsa_float_round_mode_16_64 0
		.amdhsa_float_denorm_mode_32 3
		.amdhsa_float_denorm_mode_16_64 3
		.amdhsa_dx10_clamp 1
		.amdhsa_ieee_mode 1
		.amdhsa_fp16_overflow 0
		.amdhsa_tg_split 0
		.amdhsa_exception_fp_ieee_invalid_op 0
		.amdhsa_exception_fp_denorm_src 0
		.amdhsa_exception_fp_ieee_div_zero 0
		.amdhsa_exception_fp_ieee_overflow 0
		.amdhsa_exception_fp_ieee_underflow 0
		.amdhsa_exception_fp_ieee_inexact 0
		.amdhsa_exception_int_div_zero 0
	.end_amdhsa_kernel
	.section	.text._ZN5aiter24topk_softplus_kernel_optI12hip_bfloat16S1_Li384ELb1ELi1EEEvPKT_PKT0_PfPimiif,"axG",@progbits,_ZN5aiter24topk_softplus_kernel_optI12hip_bfloat16S1_Li384ELb1ELi1EEEvPKT_PKT0_PfPimiif,comdat
.Lfunc_end279:
	.size	_ZN5aiter24topk_softplus_kernel_optI12hip_bfloat16S1_Li384ELb1ELi1EEEvPKT_PKT0_PfPimiif, .Lfunc_end279-_ZN5aiter24topk_softplus_kernel_optI12hip_bfloat16S1_Li384ELb1ELi1EEEvPKT_PKT0_PfPimiif
                                        ; -- End function
	.section	.AMDGPU.csdata,"",@progbits
; Kernel info:
; codeLenInByte = 1776
; NumSgprs: 26
; NumVgprs: 29
; NumAgprs: 0
; TotalNumVgprs: 29
; ScratchSize: 0
; MemoryBound: 0
; FloatMode: 240
; IeeeMode: 1
; LDSByteSize: 0 bytes/workgroup (compile time only)
; SGPRBlocks: 3
; VGPRBlocks: 3
; NumSGPRsForWavesPerEU: 26
; NumVGPRsForWavesPerEU: 29
; AccumOffset: 32
; Occupancy: 8
; WaveLimiterHint : 0
; COMPUTE_PGM_RSRC2:SCRATCH_EN: 0
; COMPUTE_PGM_RSRC2:USER_SGPR: 6
; COMPUTE_PGM_RSRC2:TRAP_HANDLER: 0
; COMPUTE_PGM_RSRC2:TGID_X_EN: 1
; COMPUTE_PGM_RSRC2:TGID_Y_EN: 0
; COMPUTE_PGM_RSRC2:TGID_Z_EN: 0
; COMPUTE_PGM_RSRC2:TIDIG_COMP_CNT: 0
; COMPUTE_PGM_RSRC3_GFX90A:ACCUM_OFFSET: 7
; COMPUTE_PGM_RSRC3_GFX90A:TG_SPLIT: 0
	.section	.text._ZN5aiter24topk_softplus_kernel_optI12hip_bfloat16S1_Li384ELb0ELi1EEEvPKT_PKT0_PfPimiif,"axG",@progbits,_ZN5aiter24topk_softplus_kernel_optI12hip_bfloat16S1_Li384ELb0ELi1EEEvPKT_PKT0_PfPimiif,comdat
	.protected	_ZN5aiter24topk_softplus_kernel_optI12hip_bfloat16S1_Li384ELb0ELi1EEEvPKT_PKT0_PfPimiif ; -- Begin function _ZN5aiter24topk_softplus_kernel_optI12hip_bfloat16S1_Li384ELb0ELi1EEEvPKT_PKT0_PfPimiif
	.globl	_ZN5aiter24topk_softplus_kernel_optI12hip_bfloat16S1_Li384ELb0ELi1EEEvPKT_PKT0_PfPimiif
	.p2align	8
	.type	_ZN5aiter24topk_softplus_kernel_optI12hip_bfloat16S1_Li384ELb0ELi1EEEvPKT_PKT0_PfPimiif,@function
_ZN5aiter24topk_softplus_kernel_optI12hip_bfloat16S1_Li384ELb0ELi1EEEvPKT_PKT0_PfPimiif: ; @_ZN5aiter24topk_softplus_kernel_optI12hip_bfloat16S1_Li384ELb0ELi1EEEvPKT_PKT0_PfPimiif
; %bb.0:
	s_load_dwordx4 s[0:3], s[4:5], 0x0
	s_mul_i32 s8, s6, 0x180
	s_ashr_i32 s9, s8, 31
	s_lshl_b64 s[8:9], s[8:9], 1
	v_lshlrev_b32_e32 v1, 1, v0
	s_waitcnt lgkmcnt(0)
	s_add_u32 s10, s0, s8
	s_addc_u32 s11, s1, s9
	global_load_ushort v2, v1, s[10:11]
	s_mov_b32 s0, 0xc2fc0000
	v_mov_b32_e32 v6, 0x42800000
	v_mov_b32_e32 v7, 0x1f800000
	s_cmp_lg_u64 s[2:3], 0
	s_cselect_b64 s[8:9], -1, 0
	s_waitcnt vmcnt(0)
	v_lshlrev_b32_e32 v2, 16, v2
	v_mul_f32_e32 v3, 0xbfb8aa3b, v2
	v_cmp_gt_f32_e32 vcc, s0, v3
	v_cndmask_b32_e32 v3, 0, v6, vcc
	v_fmac_f32_e32 v3, 0xbfb8aa3b, v2
	v_exp_f32_e32 v2, v3
	v_cndmask_b32_e32 v4, 1.0, v7, vcc
	v_mov_b32_e32 v3, s11
	v_fma_f32 v2, v2, v4, 1.0
	v_rcp_f32_e32 v4, v2
	v_add_co_u32_e32 v2, vcc, s10, v1
	v_addc_co_u32_e32 v3, vcc, 0, v3, vcc
	s_and_b64 vcc, exec, s[8:9]
	v_mov_b32_e32 v5, v4
	s_cbranch_vccz .LBB280_2
; %bb.1:
	global_load_ushort v5, v1, s[2:3]
	s_waitcnt vmcnt(0)
	v_lshlrev_b32_e32 v5, 16, v5
	v_add_f32_e32 v5, v4, v5
.LBB280_2:
	global_load_ushort v8, v[2:3], off offset:128
	s_waitcnt vmcnt(0)
	v_lshlrev_b32_e32 v8, 16, v8
	v_mul_f32_e32 v9, 0xbfb8aa3b, v8
	v_cmp_gt_f32_e32 vcc, s0, v9
	v_cndmask_b32_e32 v6, 0, v6, vcc
	v_fmac_f32_e32 v6, 0xbfb8aa3b, v8
	v_exp_f32_e32 v6, v6
	v_cndmask_b32_e32 v7, 1.0, v7, vcc
	s_andn2_b64 vcc, exec, s[8:9]
	v_fma_f32 v6, v6, v7, 1.0
	v_rcp_f32_e32 v6, v6
	v_cndmask_b32_e64 v7, 0, 1, s[8:9]
	v_cmp_ne_u32_e64 s[0:1], 1, v7
	v_mov_b32_e32 v7, v6
	s_cbranch_vccnz .LBB280_4
; %bb.3:
	global_load_ushort v7, v1, s[2:3] offset:128
	s_waitcnt vmcnt(0)
	v_lshlrev_b32_e32 v7, 16, v7
	v_add_f32_e32 v7, v6, v7
.LBB280_4:
	global_load_ushort v8, v[2:3], off offset:256
	s_mov_b32 s7, 0xc2fc0000
	v_mov_b32_e32 v10, 0x42800000
	v_mov_b32_e32 v11, 0x1f800000
	s_waitcnt vmcnt(0)
	v_lshlrev_b32_e32 v8, 16, v8
	v_mul_f32_e32 v9, 0xbfb8aa3b, v8
	v_cmp_gt_f32_e32 vcc, s7, v9
	v_cndmask_b32_e32 v9, 0, v10, vcc
	v_fmac_f32_e32 v9, 0xbfb8aa3b, v8
	v_exp_f32_e32 v8, v9
	v_cndmask_b32_e32 v9, 1.0, v11, vcc
	s_and_b64 vcc, exec, s[0:1]
	v_fma_f32 v8, v8, v9, 1.0
	v_rcp_f32_e32 v8, v8
	v_mov_b32_e32 v9, v8
	s_cbranch_vccnz .LBB280_6
; %bb.5:
	global_load_ushort v9, v1, s[2:3] offset:256
	s_waitcnt vmcnt(0)
	v_lshlrev_b32_e32 v9, 16, v9
	v_add_f32_e32 v9, v8, v9
.LBB280_6:
	global_load_ushort v12, v[2:3], off offset:384
	s_waitcnt vmcnt(0)
	v_lshlrev_b32_e32 v12, 16, v12
	v_mul_f32_e32 v13, 0xbfb8aa3b, v12
	v_cmp_gt_f32_e32 vcc, s7, v13
	v_cndmask_b32_e32 v10, 0, v10, vcc
	v_fmac_f32_e32 v10, 0xbfb8aa3b, v12
	v_exp_f32_e32 v10, v10
	v_cndmask_b32_e32 v11, 1.0, v11, vcc
	s_and_b64 vcc, exec, s[0:1]
	v_fma_f32 v10, v10, v11, 1.0
	v_rcp_f32_e32 v10, v10
	v_mov_b32_e32 v11, v10
	s_cbranch_vccnz .LBB280_8
; %bb.7:
	global_load_ushort v11, v1, s[2:3] offset:384
	s_waitcnt vmcnt(0)
	v_lshlrev_b32_e32 v11, 16, v11
	v_add_f32_e32 v11, v10, v11
.LBB280_8:
	global_load_ushort v12, v[2:3], off offset:512
	v_mov_b32_e32 v14, 0x42800000
	v_mov_b32_e32 v15, 0x1f800000
	s_waitcnt vmcnt(0)
	v_lshlrev_b32_e32 v12, 16, v12
	v_mul_f32_e32 v13, 0xbfb8aa3b, v12
	v_cmp_gt_f32_e32 vcc, s7, v13
	v_cndmask_b32_e32 v13, 0, v14, vcc
	v_fmac_f32_e32 v13, 0xbfb8aa3b, v12
	v_exp_f32_e32 v12, v13
	v_cndmask_b32_e32 v13, 1.0, v15, vcc
	s_and_b64 vcc, exec, s[0:1]
	v_fma_f32 v12, v12, v13, 1.0
	v_rcp_f32_e32 v12, v12
	v_mov_b32_e32 v13, v12
	s_cbranch_vccnz .LBB280_10
; %bb.9:
	global_load_ushort v13, v1, s[2:3] offset:512
	s_waitcnt vmcnt(0)
	v_lshlrev_b32_e32 v13, 16, v13
	v_add_f32_e32 v13, v12, v13
.LBB280_10:
	global_load_ushort v2, v[2:3], off offset:640
	s_waitcnt vmcnt(0)
	v_lshlrev_b32_e32 v2, 16, v2
	v_mul_f32_e32 v3, 0xbfb8aa3b, v2
	v_cmp_gt_f32_e32 vcc, s7, v3
	v_cndmask_b32_e32 v3, 0, v14, vcc
	v_fmac_f32_e32 v3, 0xbfb8aa3b, v2
	v_exp_f32_e32 v2, v3
	v_cndmask_b32_e32 v3, 1.0, v15, vcc
	s_and_b64 vcc, exec, s[0:1]
	v_fma_f32 v2, v2, v3, 1.0
	v_rcp_f32_e32 v2, v2
	v_mov_b32_e32 v3, v2
	s_cbranch_vccnz .LBB280_12
; %bb.11:
	global_load_ushort v1, v1, s[2:3] offset:640
	s_waitcnt vmcnt(0)
	v_lshlrev_b32_e32 v1, 16, v1
	v_add_f32_e32 v3, v2, v1
.LBB280_12:
	v_add_u32_e32 v1, 64, v0
	v_cmp_lt_f32_e32 vcc, v5, v7
	v_add_u32_e32 v14, 0x80, v0
	v_add_u32_e32 v15, 0xc0, v0
	v_cndmask_b32_e32 v18, v6, v4, vcc
	v_cndmask_b32_e32 v4, v4, v6, vcc
	;; [unrolled: 1-line block ×6, first 2 shown]
	v_cmp_lt_f32_e32 vcc, v9, v11
	v_add_u32_e32 v16, 0x100, v0
	v_add_u32_e32 v17, 0x140, v0
	v_cndmask_b32_e32 v7, v10, v8, vcc
	v_cndmask_b32_e32 v8, v8, v10, vcc
	v_cndmask_b32_e32 v10, v15, v14, vcc
	v_cndmask_b32_e32 v14, v14, v15, vcc
	v_cndmask_b32_e32 v15, v11, v9, vcc
	v_cndmask_b32_e32 v9, v9, v11, vcc
	v_cmp_lt_f32_e32 vcc, v13, v3
	v_cndmask_b32_e32 v11, v2, v12, vcc
	v_cndmask_b32_e32 v2, v12, v2, vcc
	v_cndmask_b32_e32 v12, v17, v16, vcc
	v_cndmask_b32_e32 v16, v16, v17, vcc
	v_cndmask_b32_e32 v17, v3, v13, vcc
	v_cndmask_b32_e32 v3, v13, v3, vcc
	v_cmp_lt_f32_e32 vcc, v5, v9
	;; [unrolled: 7-line block ×7, first 2 shown]
	v_cndmask_b32_e32 v12, v21, v23, vcc
	v_cmp_lt_f32_e64 s[0:1], v26, v13
	v_cndmask_b32_e32 v5, v22, v9, vcc
	v_cndmask_b32_e32 v8, v9, v22, vcc
	;; [unrolled: 1-line block ×3, first 2 shown]
	v_cndmask_b32_e64 v18, v1, v24, s[0:1]
	v_cndmask_b32_e64 v14, v3, v25, s[0:1]
	;; [unrolled: 1-line block ×3, first 2 shown]
	v_cmp_lt_f32_e64 s[2:3], v16, v12
	v_cndmask_b32_e32 v10, v20, v11, vcc
	v_cndmask_b32_e32 v9, v23, v21, vcc
	v_cndmask_b32_e64 v1, v24, v1, s[0:1]
	v_cndmask_b32_e64 v3, v25, v3, s[0:1]
	;; [unrolled: 1-line block ×3, first 2 shown]
	s_and_saveexec_b64 s[0:1], s[2:3]
	s_xor_b64 s[0:1], exec, s[0:1]
; %bb.13:
	v_mov_b32_e32 v13, v19
	v_mov_b32_e32 v20, v15
	;; [unrolled: 1-line block ×3, first 2 shown]
	v_swap_b32 v16, v12
	v_swap_b32 v19, v8
	v_swap_b32 v15, v10
; %bb.14:
	s_or_b64 exec, exec, s[0:1]
	s_load_dword s7, s[4:5], 0x28
	s_load_dwordx4 s[16:19], s[4:5], 0x10
	s_waitcnt lgkmcnt(0)
	s_cmp_lt_i32 s7, 1
	s_cbranch_scc1 .LBB280_20
; %bb.15:
	v_cmp_lt_f32_e32 vcc, v17, v16
	v_cndmask_b32_e32 v13, v15, v14, vcc
	v_cndmask_b32_e32 v14, v14, v15, vcc
	;; [unrolled: 1-line block ×6, first 2 shown]
	v_mbcnt_lo_u32_b32 v19, -1, 0
	v_mbcnt_hi_u32_b32 v19, -1, v19
	v_bfrev_b32_e32 v23, 0.5
	v_mov_b32_e32 v21, 0
	v_mov_b32_e32 v20, 0
	;; [unrolled: 1-line block ×3, first 2 shown]
	v_lshl_or_b32 v23, v19, 2, v23
	v_mov_b32_e32 v24, v0
	s_mov_b32 s20, s7
	v_mov_b32_e32 v19, 0
.LBB280_16:                             ; =>This Inner Loop Header: Depth=1
	v_cmp_eq_u32_e32 vcc, 1, v21
	v_cndmask_b32_e32 v25, v6, v11, vcc
	v_cmp_eq_u32_e64 s[0:1], 2, v21
	v_cndmask_b32_e64 v25, v25, v16, s[0:1]
	v_cmp_eq_u32_e64 s[2:3], 3, v21
	v_cndmask_b32_e64 v25, v25, v15, s[2:3]
	;; [unrolled: 2-line block ×4, first 2 shown]
	v_cmp_gt_u32_e64 s[12:13], 6, v21
	v_cndmask_b32_e64 v25, v22, v25, s[12:13]
	;;#ASMSTART
	v_max_f32 v26, v25, v25 quad_perm:[1,0,3,2] row_mask:0xf bank_mask:0xf bound_ctrl:1
	;;#ASMEND
	;;#ASMSTART
	v_max_f32 v27, v26, v26 quad_perm:[2,3,0,1] row_mask:0xf bank_mask:0xf bound_ctrl:1
	;;#ASMEND
	;;#ASMSTART
	v_max_f32 v26, v27, v27 row_half_mirror row_mask:0xf bank_mask:0xf bound_ctrl:1
	;;#ASMEND
	;;#ASMSTART
	v_max_f32 v27, v26, v26 row_mirror row_mask:0xf bank_mask:0xf bound_ctrl:1
	;;#ASMEND
	;;#ASMSTART
	v_max_f32 v26, v27, v27 row_ror:4 row_mask:0xf bank_mask:0xf bound_ctrl:1
	;;#ASMEND
	;;#ASMSTART
	v_max_f32 v27, v26, v26 row_ror:8 row_mask:0xf bank_mask:0xf bound_ctrl:1
	;;#ASMEND
	;;#ASMSTART
	v_max_f32 v26, v27, v27 row_bcast:15 row_mask:0xf bank_mask:0xf bound_ctrl:1
	;;#ASMEND
	;;#ASMSTART
	v_max_f32 v27, v26, v26 row_bcast:31 row_mask:0xf bank_mask:0xf bound_ctrl:1
	;;#ASMEND
	ds_bpermute_b32 v26, v23, v27
	s_waitcnt lgkmcnt(0)
	v_cmp_eq_f32_e64 s[14:15], v25, v26
	v_cndmask_b32_e32 v25, v4, v3, vcc
	v_cndmask_b32_e64 v25, v25, v14, s[0:1]
	v_cndmask_b32_e64 v25, v25, v13, s[2:3]
	;; [unrolled: 1-line block ×4, first 2 shown]
	s_ff1_i32_b64 s21, s[14:15]
	s_cmp_lg_u64 s[14:15], 0
	s_cselect_b32 s14, s21, 0
	v_cndmask_b32_e64 v26, 0, v25, s[12:13]
	v_readlane_b32 s21, v26, s14
	v_cmp_eq_u32_e64 s[14:15], s21, v25
	v_cndmask_b32_e32 v25, v2, v1, vcc
	v_cndmask_b32_e64 v25, v25, v18, s[0:1]
	v_cndmask_b32_e64 v25, v25, v17, s[2:3]
	;; [unrolled: 1-line block ×4, first 2 shown]
	s_and_b64 vcc, s[12:13], s[14:15]
	s_and_b32 s0, s21, 63
	v_cndmask_b32_e32 v25, 0, v25, vcc
	v_readlane_b32 s0, v25, s0
	v_mov_b32_e32 v25, s0
	v_cmp_eq_u32_e64 s[0:1], 0, v24
	v_cndmask_b32_e64 v20, v20, v25, s[0:1]
	v_mov_b32_e32 v25, s21
	s_add_i32 s20, s20, -1
	v_cndmask_b32_e64 v19, v19, v25, s[0:1]
	v_addc_co_u32_e32 v21, vcc, 0, v21, vcc
	s_cmp_eq_u32 s20, 0
	v_add_u32_e32 v24, -1, v24
	s_cbranch_scc0 .LBB280_16
; %bb.17:
	v_cmp_gt_i32_e32 vcc, s7, v0
	s_and_saveexec_b64 s[0:1], vcc
	s_cbranch_execz .LBB280_19
.LBB280_18:
	s_load_dword s2, s[4:5], 0x30
	s_load_dwordx2 s[0:1], s[4:5], 0x20
	s_ashr_i32 s3, s6, 31
	v_lshlrev_b32_e32 v0, 2, v0
	s_waitcnt lgkmcnt(0)
	v_mul_f32_e32 v1, s2, v20
	s_mul_i32 s1, s6, s1
	s_mul_hi_u32 s2, s6, s0
	s_add_i32 s1, s2, s1
	s_mul_i32 s3, s3, s0
	s_add_i32 s1, s1, s3
	s_mul_i32 s0, s6, s0
	s_lshl_b64 s[0:1], s[0:1], 2
	s_add_u32 s2, s16, s0
	s_addc_u32 s3, s17, s1
	s_add_u32 s0, s18, s0
	s_addc_u32 s1, s19, s1
	global_store_dword v0, v1, s[2:3]
	global_store_dword v0, v19, s[0:1]
.LBB280_19:
	s_endpgm
.LBB280_20:
	v_mov_b32_e32 v19, 0
	v_mov_b32_e32 v20, 0
	v_cmp_gt_i32_e32 vcc, s7, v0
	s_and_saveexec_b64 s[0:1], vcc
	s_cbranch_execnz .LBB280_18
	s_branch .LBB280_19
	.section	.rodata,"a",@progbits
	.p2align	6, 0x0
	.amdhsa_kernel _ZN5aiter24topk_softplus_kernel_optI12hip_bfloat16S1_Li384ELb0ELi1EEEvPKT_PKT0_PfPimiif
		.amdhsa_group_segment_fixed_size 0
		.amdhsa_private_segment_fixed_size 0
		.amdhsa_kernarg_size 52
		.amdhsa_user_sgpr_count 6
		.amdhsa_user_sgpr_private_segment_buffer 1
		.amdhsa_user_sgpr_dispatch_ptr 0
		.amdhsa_user_sgpr_queue_ptr 0
		.amdhsa_user_sgpr_kernarg_segment_ptr 1
		.amdhsa_user_sgpr_dispatch_id 0
		.amdhsa_user_sgpr_flat_scratch_init 0
		.amdhsa_user_sgpr_kernarg_preload_length 0
		.amdhsa_user_sgpr_kernarg_preload_offset 0
		.amdhsa_user_sgpr_private_segment_size 0
		.amdhsa_uses_dynamic_stack 0
		.amdhsa_system_sgpr_private_segment_wavefront_offset 0
		.amdhsa_system_sgpr_workgroup_id_x 1
		.amdhsa_system_sgpr_workgroup_id_y 0
		.amdhsa_system_sgpr_workgroup_id_z 0
		.amdhsa_system_sgpr_workgroup_info 0
		.amdhsa_system_vgpr_workitem_id 0
		.amdhsa_next_free_vgpr 28
		.amdhsa_next_free_sgpr 22
		.amdhsa_accum_offset 28
		.amdhsa_reserve_vcc 1
		.amdhsa_reserve_flat_scratch 0
		.amdhsa_float_round_mode_32 0
		.amdhsa_float_round_mode_16_64 0
		.amdhsa_float_denorm_mode_32 3
		.amdhsa_float_denorm_mode_16_64 3
		.amdhsa_dx10_clamp 1
		.amdhsa_ieee_mode 1
		.amdhsa_fp16_overflow 0
		.amdhsa_tg_split 0
		.amdhsa_exception_fp_ieee_invalid_op 0
		.amdhsa_exception_fp_denorm_src 0
		.amdhsa_exception_fp_ieee_div_zero 0
		.amdhsa_exception_fp_ieee_overflow 0
		.amdhsa_exception_fp_ieee_underflow 0
		.amdhsa_exception_fp_ieee_inexact 0
		.amdhsa_exception_int_div_zero 0
	.end_amdhsa_kernel
	.section	.text._ZN5aiter24topk_softplus_kernel_optI12hip_bfloat16S1_Li384ELb0ELi1EEEvPKT_PKT0_PfPimiif,"axG",@progbits,_ZN5aiter24topk_softplus_kernel_optI12hip_bfloat16S1_Li384ELb0ELi1EEEvPKT_PKT0_PfPimiif,comdat
.Lfunc_end280:
	.size	_ZN5aiter24topk_softplus_kernel_optI12hip_bfloat16S1_Li384ELb0ELi1EEEvPKT_PKT0_PfPimiif, .Lfunc_end280-_ZN5aiter24topk_softplus_kernel_optI12hip_bfloat16S1_Li384ELb0ELi1EEEvPKT_PKT0_PfPimiif
                                        ; -- End function
	.section	.AMDGPU.csdata,"",@progbits
; Kernel info:
; codeLenInByte = 1676
; NumSgprs: 26
; NumVgprs: 28
; NumAgprs: 0
; TotalNumVgprs: 28
; ScratchSize: 0
; MemoryBound: 0
; FloatMode: 240
; IeeeMode: 1
; LDSByteSize: 0 bytes/workgroup (compile time only)
; SGPRBlocks: 3
; VGPRBlocks: 3
; NumSGPRsForWavesPerEU: 26
; NumVGPRsForWavesPerEU: 28
; AccumOffset: 28
; Occupancy: 8
; WaveLimiterHint : 0
; COMPUTE_PGM_RSRC2:SCRATCH_EN: 0
; COMPUTE_PGM_RSRC2:USER_SGPR: 6
; COMPUTE_PGM_RSRC2:TRAP_HANDLER: 0
; COMPUTE_PGM_RSRC2:TGID_X_EN: 1
; COMPUTE_PGM_RSRC2:TGID_Y_EN: 0
; COMPUTE_PGM_RSRC2:TGID_Z_EN: 0
; COMPUTE_PGM_RSRC2:TIDIG_COMP_CNT: 0
; COMPUTE_PGM_RSRC3_GFX90A:ACCUM_OFFSET: 6
; COMPUTE_PGM_RSRC3_GFX90A:TG_SPLIT: 0
	.section	.text._ZN5aiter20topk_softplus_kernelI12hip_bfloat16S1_Dv4_fLb1ELi1EEEvPKT_PKT0_PfPimiiif,"axG",@progbits,_ZN5aiter20topk_softplus_kernelI12hip_bfloat16S1_Dv4_fLb1ELi1EEEvPKT_PKT0_PfPimiiif,comdat
	.protected	_ZN5aiter20topk_softplus_kernelI12hip_bfloat16S1_Dv4_fLb1ELi1EEEvPKT_PKT0_PfPimiiif ; -- Begin function _ZN5aiter20topk_softplus_kernelI12hip_bfloat16S1_Dv4_fLb1ELi1EEEvPKT_PKT0_PfPimiiif
	.globl	_ZN5aiter20topk_softplus_kernelI12hip_bfloat16S1_Dv4_fLb1ELi1EEEvPKT_PKT0_PfPimiiif
	.p2align	8
	.type	_ZN5aiter20topk_softplus_kernelI12hip_bfloat16S1_Dv4_fLb1ELi1EEEvPKT_PKT0_PfPimiiif,@function
_ZN5aiter20topk_softplus_kernelI12hip_bfloat16S1_Dv4_fLb1ELi1EEEvPKT_PKT0_PfPimiiif: ; @_ZN5aiter20topk_softplus_kernelI12hip_bfloat16S1_Dv4_fLb1ELi1EEEvPKT_PKT0_PfPimiiif
; %bb.0:
	s_load_dwordx2 s[16:17], s[4:5], 0x28
	s_load_dwordx8 s[8:15], s[4:5], 0x0
	v_lshlrev_b32_e32 v1, 2, v0
	v_lshl_add_u32 v12, v0, 4, 0
	s_waitcnt lgkmcnt(0)
	s_ashr_i32 s0, s16, 31
	s_lshr_b32 s0, s0, 30
	s_add_i32 s0, s16, s0
	s_mul_i32 s18, s6, s16
	s_ashr_i32 s7, s0, 2
	s_ashr_i32 s19, s18, 31
	v_cmp_gt_i32_e64 s[0:1], s7, v0
	s_and_saveexec_b64 s[20:21], s[0:1]
	s_cbranch_execz .LBB281_11
; %bb.1:
	s_load_dword s24, s[4:5], 0x44
	s_cmp_lg_u64 s[10:11], 0
	s_cselect_b64 s[2:3], -1, 0
	v_lshlrev_b32_e32 v2, 3, v0
	s_mov_b64 s[22:23], 0
	s_waitcnt lgkmcnt(0)
	s_and_b32 s24, s24, 0xffff
	s_add_u32 s25, s10, 2
	s_addc_u32 s26, s11, 0
	s_add_u32 s27, s10, 4
	s_addc_u32 s28, s11, 0
	;; [unrolled: 2-line block ×3, first 2 shown]
	s_lshl_b64 s[34:35], s[18:19], 1
	s_add_u32 s33, s8, s34
	s_addc_u32 s34, s9, s35
	v_mov_b32_e32 v3, s34
	v_add_co_u32_e32 v6, vcc, s33, v2
	v_cndmask_b32_e64 v2, 0, 1, s[2:3]
	s_mov_b32 s31, 0
	v_addc_co_u32_e32 v7, vcc, 0, v3, vcc
	s_lshl_b32 s33, s24, 3
	v_lshlrev_b32_e32 v8, 2, v0
	s_lshl_b32 s34, s24, 2
	v_lshl_add_u32 v13, v0, 4, 0
	s_lshl_b32 s35, s24, 4
	v_mov_b32_e32 v9, 0
	s_mov_b32 s36, 0xc2fc0000
	v_mov_b32_e32 v14, 0x42800000
	v_mov_b32_e32 v15, 0x1f800000
	v_cmp_ne_u32_e64 s[2:3], 1, v2
	v_mov_b32_e32 v16, v0
	s_branch .LBB281_3
.LBB281_2:                              ;   in Loop: Header=BB281_3 Depth=1
	ds_write_b128 v13, v[2:5]
	v_mov_b32_e32 v2, s31
	v_add_co_u32_e32 v6, vcc, s33, v6
	v_add_u32_e32 v16, s24, v16
	v_addc_co_u32_e32 v7, vcc, v7, v2, vcc
	v_cmp_le_i32_e32 vcc, s7, v16
	v_add_u32_e32 v8, s34, v8
	s_or_b64 s[22:23], vcc, s[22:23]
	v_add_u32_e32 v13, s35, v13
	s_andn2_b64 exec, exec, s[22:23]
	s_cbranch_execz .LBB281_11
.LBB281_3:                              ; =>This Inner Loop Header: Depth=1
	global_load_dwordx2 v[4:5], v[6:7], off
	v_lshlrev_b64 v[10:11], 1, v[8:9]
	s_waitcnt vmcnt(0)
	v_cvt_f32_u32_sdwa v2, v4 dst_sel:DWORD dst_unused:UNUSED_PAD src0_sel:WORD_0
	v_mul_f32_e32 v3, 0xbfb8aa3b, v2
	v_cmp_gt_f32_e32 vcc, s36, v3
	v_cndmask_b32_e32 v3, 0, v14, vcc
	v_fmac_f32_e32 v3, 0xbfb8aa3b, v2
	v_exp_f32_e32 v2, v3
	v_cndmask_b32_e32 v3, 1.0, v15, vcc
	s_and_b64 vcc, exec, s[2:3]
	v_fma_f32 v2, v2, v3, 1.0
	v_rcp_f32_e32 v2, v2
	s_cbranch_vccnz .LBB281_5
; %bb.4:                                ;   in Loop: Header=BB281_3 Depth=1
	v_mov_b32_e32 v3, s11
	v_add_co_u32_e32 v18, vcc, s10, v10
	v_addc_co_u32_e32 v19, vcc, v3, v11, vcc
	global_load_ushort v3, v[18:19], off
	s_waitcnt vmcnt(0)
	v_lshlrev_b32_e32 v3, 16, v3
	v_add_f32_e32 v2, v2, v3
.LBB281_5:                              ;   in Loop: Header=BB281_3 Depth=1
	v_cvt_f32_u32_sdwa v3, v4 dst_sel:DWORD dst_unused:UNUSED_PAD src0_sel:WORD_1
	v_mul_f32_e32 v4, 0xbfb8aa3b, v3
	v_cmp_gt_f32_e32 vcc, s36, v4
	v_cndmask_b32_e32 v4, 0, v14, vcc
	v_fmac_f32_e32 v4, 0xbfb8aa3b, v3
	v_exp_f32_e32 v3, v4
	v_cndmask_b32_e32 v4, 1.0, v15, vcc
	s_and_b64 vcc, exec, s[2:3]
	v_fma_f32 v3, v3, v4, 1.0
	v_rcp_f32_e32 v3, v3
	s_cbranch_vccnz .LBB281_7
; %bb.6:                                ;   in Loop: Header=BB281_3 Depth=1
	v_mov_b32_e32 v4, s26
	v_add_co_u32_e32 v18, vcc, s25, v10
	v_addc_co_u32_e32 v19, vcc, v4, v11, vcc
	global_load_ushort v4, v[18:19], off
	s_waitcnt vmcnt(0)
	v_lshlrev_b32_e32 v4, 16, v4
	v_add_f32_e32 v3, v3, v4
.LBB281_7:                              ;   in Loop: Header=BB281_3 Depth=1
	v_cvt_f32_u32_sdwa v4, v5 dst_sel:DWORD dst_unused:UNUSED_PAD src0_sel:WORD_0
	v_mul_f32_e32 v17, 0xbfb8aa3b, v4
	v_cmp_gt_f32_e32 vcc, s36, v17
	v_cndmask_b32_e32 v17, 0, v14, vcc
	v_fmac_f32_e32 v17, 0xbfb8aa3b, v4
	v_exp_f32_e32 v4, v17
	v_cndmask_b32_e32 v17, 1.0, v15, vcc
	s_and_b64 vcc, exec, s[2:3]
	v_fma_f32 v4, v4, v17, 1.0
	v_rcp_f32_e32 v4, v4
	s_cbranch_vccnz .LBB281_9
; %bb.8:                                ;   in Loop: Header=BB281_3 Depth=1
	v_mov_b32_e32 v17, s28
	v_add_co_u32_e32 v18, vcc, s27, v10
	v_addc_co_u32_e32 v19, vcc, v17, v11, vcc
	global_load_ushort v17, v[18:19], off
	s_waitcnt vmcnt(0)
	v_lshlrev_b32_e32 v17, 16, v17
	v_add_f32_e32 v4, v4, v17
.LBB281_9:                              ;   in Loop: Header=BB281_3 Depth=1
	v_cvt_f32_u32_sdwa v5, v5 dst_sel:DWORD dst_unused:UNUSED_PAD src0_sel:WORD_1
	v_mul_f32_e32 v17, 0xbfb8aa3b, v5
	v_cmp_gt_f32_e32 vcc, s36, v17
	v_cndmask_b32_e32 v17, 0, v14, vcc
	v_fmac_f32_e32 v17, 0xbfb8aa3b, v5
	v_exp_f32_e32 v5, v17
	v_cndmask_b32_e32 v17, 1.0, v15, vcc
	s_and_b64 vcc, exec, s[2:3]
	v_fma_f32 v5, v5, v17, 1.0
	v_rcp_f32_e32 v5, v5
	s_cbranch_vccnz .LBB281_2
; %bb.10:                               ;   in Loop: Header=BB281_3 Depth=1
	v_mov_b32_e32 v17, s30
	v_add_co_u32_e32 v10, vcc, s29, v10
	v_addc_co_u32_e32 v11, vcc, v17, v11, vcc
	global_load_ushort v10, v[10:11], off
	s_waitcnt vmcnt(0)
	v_lshlrev_b32_e32 v10, 16, v10
	v_add_f32_e32 v5, v5, v10
	s_branch .LBB281_2
.LBB281_11:
	s_or_b64 exec, exec, s[20:21]
	v_lshl_add_u32 v2, s7, 2, v0
	v_cmp_gt_i32_e32 vcc, s16, v2
	s_and_saveexec_b64 s[20:21], vcc
	s_cbranch_execz .LBB281_16
; %bb.12:
	s_lshl_b64 s[2:3], s[18:19], 1
	s_load_dword s19, s[4:5], 0x44
	s_add_u32 s18, s8, s2
	s_addc_u32 s23, s9, s3
	s_cmp_lg_u64 s[10:11], 0
	s_cselect_b64 s[2:3], -1, 0
	s_lshl_b32 s22, s7, 4
	s_waitcnt lgkmcnt(0)
	s_and_b32 s19, s19, 0xffff
	s_add_i32 s22, s22, 0
	v_cndmask_b32_e64 v3, 0, 1, s[2:3]
	s_mov_b64 s[8:9], 0
	v_lshl_add_u32 v6, v0, 2, s22
	s_lshl_b32 s22, s19, 2
	v_mov_b32_e32 v7, s23
	s_mov_b32 s23, 0xc2fc0000
	v_mov_b32_e32 v8, 0x42800000
	v_mov_b32_e32 v9, 0x1f800000
	v_cmp_ne_u32_e64 s[2:3], 1, v3
	s_branch .LBB281_14
.LBB281_13:                             ;   in Loop: Header=BB281_14 Depth=1
	v_add_u32_e32 v2, s19, v2
	v_cmp_le_i32_e32 vcc, s16, v2
	s_or_b64 s[8:9], vcc, s[8:9]
	v_add_u32_e32 v6, s22, v6
	s_andn2_b64 exec, exec, s[8:9]
	s_cbranch_execz .LBB281_16
.LBB281_14:                             ; =>This Inner Loop Header: Depth=1
	v_ashrrev_i32_e32 v3, 31, v2
	v_lshlrev_b64 v[4:5], 1, v[2:3]
	v_add_co_u32_e32 v10, vcc, s18, v4
	v_addc_co_u32_e32 v11, vcc, v7, v5, vcc
	global_load_ushort v3, v[10:11], off
	s_waitcnt vmcnt(0)
	v_lshlrev_b32_e32 v3, 16, v3
	v_mul_f32_e32 v10, 0xbfb8aa3b, v3
	v_cmp_gt_f32_e32 vcc, s23, v10
	v_cndmask_b32_e32 v10, 0, v8, vcc
	v_fmac_f32_e32 v10, 0xbfb8aa3b, v3
	v_exp_f32_e32 v3, v10
	v_cndmask_b32_e32 v10, 1.0, v9, vcc
	s_and_b64 vcc, exec, s[2:3]
	v_fma_f32 v3, v3, v10, 1.0
	v_rcp_f32_e32 v3, v3
	ds_write_b32 v6, v3
	s_cbranch_vccnz .LBB281_13
; %bb.15:                               ;   in Loop: Header=BB281_14 Depth=1
	v_mov_b32_e32 v10, s11
	v_add_co_u32_e32 v4, vcc, s10, v4
	v_addc_co_u32_e32 v5, vcc, v10, v5, vcc
	global_load_ushort v4, v[4:5], off
	s_waitcnt vmcnt(0)
	v_lshlrev_b32_e32 v4, 16, v4
	v_add_f32_e32 v3, v3, v4
	ds_write_b32 v6, v3
	s_branch .LBB281_13
.LBB281_16:
	s_or_b64 exec, exec, s[20:21]
	s_cmp_lt_i32 s17, 1
	v_mov_b32_e32 v3, 0
	s_waitcnt lgkmcnt(0)
	s_barrier
	s_cbranch_scc1 .LBB281_25
; %bb.17:
	s_add_u32 s2, s4, 56
	s_addc_u32 s3, s5, 0
	v_mbcnt_lo_u32_b32 v2, -1, 0
	s_cmp_lg_u64 s[10:11], 0
	v_mbcnt_hi_u32_b32 v2, -1, v2
	v_bfrev_b32_e32 v4, 0.5
	s_cselect_b64 s[8:9], -1, 0
	s_mov_b32 s16, 0
	v_mov_b32_e32 v3, 0
	v_lshl_or_b32 v5, v2, 2, v4
	v_mov_b32_e32 v6, 0
	v_mov_b32_e32 v7, 0xff800000
	;; [unrolled: 1-line block ×4, first 2 shown]
	s_branch .LBB281_19
.LBB281_18:                             ;   in Loop: Header=BB281_19 Depth=1
	s_lshl_b32 s19, s18, 2
	s_add_i32 s19, s19, 0
	v_mov_b32_e32 v8, s19
	ds_write_b32 v8, v7
	v_mov_b32_e32 v8, s18
	v_cmp_eq_u32_e32 vcc, s16, v0
	s_add_i32 s16, s16, 1
	v_cndmask_b32_e32 v2, v2, v8, vcc
	v_cndmask_b32_e32 v3, v3, v10, vcc
	s_cmp_eq_u32 s16, s17
	v_add_f32_e32 v4, v4, v10
	s_cbranch_scc1 .LBB281_26
.LBB281_19:                             ; =>This Loop Header: Depth=1
                                        ;     Child Loop BB281_21 Depth 2
	v_mov_b32_e32 v8, s16
	v_mov_b32_e32 v9, 0xff800000
	s_and_saveexec_b64 s[18:19], s[0:1]
	s_cbranch_execz .LBB281_23
; %bb.20:                               ;   in Loop: Header=BB281_19 Depth=1
	s_load_dword s22, s[2:3], 0xc
	s_mov_b64 s[20:21], 0
	v_mov_b32_e32 v8, s16
	v_mov_b32_e32 v9, 0xff800000
	;; [unrolled: 1-line block ×3, first 2 shown]
	s_waitcnt lgkmcnt(0)
	s_and_b32 s22, s22, 0xffff
	s_lshl_b32 s23, s22, 2
	s_lshl_b32 s24, s22, 4
	v_mov_b32_e32 v11, v1
	v_mov_b32_e32 v13, v0
.LBB281_21:                             ;   Parent Loop BB281_19 Depth=1
                                        ; =>  This Inner Loop Header: Depth=2
	ds_read_b128 v[14:17], v10
	v_add_u32_e32 v13, s22, v13
	v_cmp_le_i32_e32 vcc, s7, v13
	s_or_b64 s[20:21], vcc, s[20:21]
	v_add_u32_e32 v18, 1, v11
	s_waitcnt lgkmcnt(0)
	v_cmp_gt_f32_e32 vcc, v14, v9
	v_cndmask_b32_e32 v9, v9, v14, vcc
	v_cndmask_b32_e32 v8, v8, v11, vcc
	v_cmp_gt_f32_e32 vcc, v15, v9
	v_cndmask_b32_e32 v9, v9, v15, vcc
	v_cndmask_b32_e32 v8, v8, v18, vcc
	v_cmp_gt_f32_e32 vcc, v16, v9
	v_add_u32_e32 v19, 2, v11
	v_cndmask_b32_e32 v9, v9, v16, vcc
	v_add_u32_e32 v20, 3, v11
	v_cndmask_b32_e32 v8, v8, v19, vcc
	v_cmp_gt_f32_e32 vcc, v17, v9
	v_add_u32_e32 v10, s24, v10
	v_add_u32_e32 v11, s23, v11
	v_cndmask_b32_e32 v9, v9, v17, vcc
	v_cndmask_b32_e32 v8, v8, v20, vcc
	s_andn2_b64 exec, exec, s[20:21]
	s_cbranch_execnz .LBB281_21
; %bb.22:                               ;   in Loop: Header=BB281_19 Depth=1
	s_or_b64 exec, exec, s[20:21]
.LBB281_23:                             ;   in Loop: Header=BB281_19 Depth=1
	s_or_b64 exec, exec, s[18:19]
	;;#ASMSTART
	v_max_f32 v10, v9, v9 quad_perm:[1,0,3,2] row_mask:0xf bank_mask:0xf bound_ctrl:1
	;;#ASMEND
	;;#ASMSTART
	v_max_f32 v11, v10, v10 quad_perm:[2,3,0,1] row_mask:0xf bank_mask:0xf bound_ctrl:1
	;;#ASMEND
	;;#ASMSTART
	v_max_f32 v10, v11, v11 row_half_mirror row_mask:0xf bank_mask:0xf bound_ctrl:1
	;;#ASMEND
	;;#ASMSTART
	v_max_f32 v11, v10, v10 row_mirror row_mask:0xf bank_mask:0xf bound_ctrl:1
	;;#ASMEND
	;;#ASMSTART
	v_max_f32 v10, v11, v11 row_ror:4 row_mask:0xf bank_mask:0xf bound_ctrl:1
	;;#ASMEND
	;;#ASMSTART
	v_max_f32 v11, v10, v10 row_ror:8 row_mask:0xf bank_mask:0xf bound_ctrl:1
	;;#ASMEND
	;;#ASMSTART
	v_max_f32 v10, v11, v11 row_bcast:15 row_mask:0xf bank_mask:0xf bound_ctrl:1
	;;#ASMEND
	;;#ASMSTART
	v_max_f32 v11, v10, v10 row_bcast:31 row_mask:0xf bank_mask:0xf bound_ctrl:1
	;;#ASMEND
	ds_bpermute_b32 v10, v5, v11
	s_waitcnt lgkmcnt(0)
	v_cmp_eq_f32_e32 vcc, v9, v10
	s_ff1_i32_b64 s18, vcc
	s_cmp_lg_u64 vcc, 0
	s_cselect_b32 s18, s18, 0
	s_and_b64 vcc, exec, s[8:9]
	v_readlane_b32 s18, v8, s18
	s_cbranch_vccz .LBB281_18
; %bb.24:                               ;   in Loop: Header=BB281_19 Depth=1
	s_ashr_i32 s19, s18, 31
	s_lshl_b64 s[20:21], s[18:19], 1
	s_add_u32 s20, s10, s20
	s_addc_u32 s21, s11, s21
	global_load_ushort v8, v6, s[20:21]
	s_waitcnt vmcnt(0)
	v_lshlrev_b32_e32 v8, 16, v8
	v_sub_f32_e32 v10, v10, v8
	s_branch .LBB281_18
.LBB281_25:
	v_mov_b32_e32 v2, 0
	v_mov_b32_e32 v4, 0
.LBB281_26:
	v_cmp_gt_i32_e32 vcc, s17, v0
	s_and_saveexec_b64 s[0:1], vcc
	s_cbranch_execz .LBB281_29
; %bb.27:
	s_load_dword s2, s[4:5], 0x34
	v_max_f32_e32 v1, v4, v4
	v_max_f32_e32 v1, 0x1e3ce508, v1
	s_load_dword s3, s[4:5], 0x44
	s_waitcnt lgkmcnt(0)
	v_div_scale_f32 v4, s[0:1], v1, v1, s2
	s_load_dwordx2 s[0:1], s[4:5], 0x20
	v_rcp_f32_e32 v5, v4
	v_div_scale_f32 v6, vcc, s2, v1, s2
	s_and_b32 s3, s3, 0xffff
	v_fma_f32 v7, -v4, v5, 1.0
	v_fmac_f32_e32 v5, v7, v5
	v_mul_f32_e32 v7, v6, v5
	v_fma_f32 v8, -v4, v7, v6
	v_fmac_f32_e32 v7, v8, v5
	v_fma_f32 v4, -v4, v7, v6
	v_div_fmas_f32 v4, v4, v5, v7
	v_div_fixup_f32 v1, v4, v1, s2
	s_ashr_i32 s2, s6, 31
	s_waitcnt lgkmcnt(0)
	s_mul_i32 s1, s6, s1
	s_mul_hi_u32 s4, s6, s0
	s_add_i32 s1, s4, s1
	s_mul_i32 s2, s2, s0
	s_add_i32 s4, s1, s2
	v_mul_f32_e32 v1, v3, v1
	s_mul_i32 s2, s6, s0
	s_mov_b64 s[0:1], 0
	v_mov_b32_e32 v3, s4
	v_mov_b32_e32 v4, s13
	;; [unrolled: 1-line block ×3, first 2 shown]
.LBB281_28:                             ; =>This Inner Loop Header: Depth=1
	v_ashrrev_i32_e32 v7, 31, v0
	v_add_co_u32_e32 v6, vcc, s2, v0
	v_addc_co_u32_e32 v7, vcc, v3, v7, vcc
	v_add_u32_e32 v0, s3, v0
	v_cmp_le_i32_e32 vcc, s17, v0
	v_lshlrev_b64 v[6:7], 2, v[6:7]
	s_or_b64 s[0:1], vcc, s[0:1]
	v_add_co_u32_e32 v8, vcc, s12, v6
	v_addc_co_u32_e32 v9, vcc, v4, v7, vcc
	v_add_co_u32_e32 v6, vcc, s14, v6
	v_addc_co_u32_e32 v7, vcc, v5, v7, vcc
	global_store_dword v[8:9], v1, off
	global_store_dword v[6:7], v2, off
	s_andn2_b64 exec, exec, s[0:1]
	s_cbranch_execnz .LBB281_28
.LBB281_29:
	s_endpgm
	.section	.rodata,"a",@progbits
	.p2align	6, 0x0
	.amdhsa_kernel _ZN5aiter20topk_softplus_kernelI12hip_bfloat16S1_Dv4_fLb1ELi1EEEvPKT_PKT0_PfPimiiif
		.amdhsa_group_segment_fixed_size 0
		.amdhsa_private_segment_fixed_size 0
		.amdhsa_kernarg_size 312
		.amdhsa_user_sgpr_count 6
		.amdhsa_user_sgpr_private_segment_buffer 1
		.amdhsa_user_sgpr_dispatch_ptr 0
		.amdhsa_user_sgpr_queue_ptr 0
		.amdhsa_user_sgpr_kernarg_segment_ptr 1
		.amdhsa_user_sgpr_dispatch_id 0
		.amdhsa_user_sgpr_flat_scratch_init 0
		.amdhsa_user_sgpr_kernarg_preload_length 0
		.amdhsa_user_sgpr_kernarg_preload_offset 0
		.amdhsa_user_sgpr_private_segment_size 0
		.amdhsa_uses_dynamic_stack 0
		.amdhsa_system_sgpr_private_segment_wavefront_offset 0
		.amdhsa_system_sgpr_workgroup_id_x 1
		.amdhsa_system_sgpr_workgroup_id_y 0
		.amdhsa_system_sgpr_workgroup_id_z 0
		.amdhsa_system_sgpr_workgroup_info 0
		.amdhsa_system_vgpr_workitem_id 0
		.amdhsa_next_free_vgpr 21
		.amdhsa_next_free_sgpr 37
		.amdhsa_accum_offset 24
		.amdhsa_reserve_vcc 1
		.amdhsa_reserve_flat_scratch 0
		.amdhsa_float_round_mode_32 0
		.amdhsa_float_round_mode_16_64 0
		.amdhsa_float_denorm_mode_32 3
		.amdhsa_float_denorm_mode_16_64 3
		.amdhsa_dx10_clamp 1
		.amdhsa_ieee_mode 1
		.amdhsa_fp16_overflow 0
		.amdhsa_tg_split 0
		.amdhsa_exception_fp_ieee_invalid_op 0
		.amdhsa_exception_fp_denorm_src 0
		.amdhsa_exception_fp_ieee_div_zero 0
		.amdhsa_exception_fp_ieee_overflow 0
		.amdhsa_exception_fp_ieee_underflow 0
		.amdhsa_exception_fp_ieee_inexact 0
		.amdhsa_exception_int_div_zero 0
	.end_amdhsa_kernel
	.section	.text._ZN5aiter20topk_softplus_kernelI12hip_bfloat16S1_Dv4_fLb1ELi1EEEvPKT_PKT0_PfPimiiif,"axG",@progbits,_ZN5aiter20topk_softplus_kernelI12hip_bfloat16S1_Dv4_fLb1ELi1EEEvPKT_PKT0_PfPimiiif,comdat
.Lfunc_end281:
	.size	_ZN5aiter20topk_softplus_kernelI12hip_bfloat16S1_Dv4_fLb1ELi1EEEvPKT_PKT0_PfPimiiif, .Lfunc_end281-_ZN5aiter20topk_softplus_kernelI12hip_bfloat16S1_Dv4_fLb1ELi1EEEvPKT_PKT0_PfPimiiif
                                        ; -- End function
	.section	.AMDGPU.csdata,"",@progbits
; Kernel info:
; codeLenInByte = 1728
; NumSgprs: 41
; NumVgprs: 21
; NumAgprs: 0
; TotalNumVgprs: 21
; ScratchSize: 0
; MemoryBound: 0
; FloatMode: 240
; IeeeMode: 1
; LDSByteSize: 0 bytes/workgroup (compile time only)
; SGPRBlocks: 5
; VGPRBlocks: 2
; NumSGPRsForWavesPerEU: 41
; NumVGPRsForWavesPerEU: 21
; AccumOffset: 24
; Occupancy: 8
; WaveLimiterHint : 0
; COMPUTE_PGM_RSRC2:SCRATCH_EN: 0
; COMPUTE_PGM_RSRC2:USER_SGPR: 6
; COMPUTE_PGM_RSRC2:TRAP_HANDLER: 0
; COMPUTE_PGM_RSRC2:TGID_X_EN: 1
; COMPUTE_PGM_RSRC2:TGID_Y_EN: 0
; COMPUTE_PGM_RSRC2:TGID_Z_EN: 0
; COMPUTE_PGM_RSRC2:TIDIG_COMP_CNT: 0
; COMPUTE_PGM_RSRC3_GFX90A:ACCUM_OFFSET: 5
; COMPUTE_PGM_RSRC3_GFX90A:TG_SPLIT: 0
	.section	.text._ZN5aiter20topk_softplus_kernelI12hip_bfloat16S1_Dv4_fLb0ELi1EEEvPKT_PKT0_PfPimiiif,"axG",@progbits,_ZN5aiter20topk_softplus_kernelI12hip_bfloat16S1_Dv4_fLb0ELi1EEEvPKT_PKT0_PfPimiiif,comdat
	.protected	_ZN5aiter20topk_softplus_kernelI12hip_bfloat16S1_Dv4_fLb0ELi1EEEvPKT_PKT0_PfPimiiif ; -- Begin function _ZN5aiter20topk_softplus_kernelI12hip_bfloat16S1_Dv4_fLb0ELi1EEEvPKT_PKT0_PfPimiiif
	.globl	_ZN5aiter20topk_softplus_kernelI12hip_bfloat16S1_Dv4_fLb0ELi1EEEvPKT_PKT0_PfPimiiif
	.p2align	8
	.type	_ZN5aiter20topk_softplus_kernelI12hip_bfloat16S1_Dv4_fLb0ELi1EEEvPKT_PKT0_PfPimiiif,@function
_ZN5aiter20topk_softplus_kernelI12hip_bfloat16S1_Dv4_fLb0ELi1EEEvPKT_PKT0_PfPimiiif: ; @_ZN5aiter20topk_softplus_kernelI12hip_bfloat16S1_Dv4_fLb0ELi1EEEvPKT_PKT0_PfPimiiif
; %bb.0:
	s_load_dwordx2 s[16:17], s[4:5], 0x28
	s_load_dwordx8 s[8:15], s[4:5], 0x0
	v_lshlrev_b32_e32 v1, 2, v0
	v_lshl_add_u32 v12, v0, 4, 0
	s_waitcnt lgkmcnt(0)
	s_ashr_i32 s0, s16, 31
	s_lshr_b32 s0, s0, 30
	s_add_i32 s0, s16, s0
	s_mul_i32 s18, s6, s16
	s_ashr_i32 s7, s0, 2
	s_ashr_i32 s19, s18, 31
	v_cmp_gt_i32_e64 s[0:1], s7, v0
	s_and_saveexec_b64 s[20:21], s[0:1]
	s_cbranch_execz .LBB282_11
; %bb.1:
	s_load_dword s24, s[4:5], 0x44
	s_cmp_lg_u64 s[10:11], 0
	s_cselect_b64 s[2:3], -1, 0
	v_lshlrev_b32_e32 v2, 3, v0
	s_mov_b64 s[22:23], 0
	s_waitcnt lgkmcnt(0)
	s_and_b32 s24, s24, 0xffff
	s_add_u32 s25, s10, 2
	s_addc_u32 s26, s11, 0
	s_add_u32 s27, s10, 4
	s_addc_u32 s28, s11, 0
	;; [unrolled: 2-line block ×3, first 2 shown]
	s_lshl_b64 s[34:35], s[18:19], 1
	s_add_u32 s33, s8, s34
	s_addc_u32 s34, s9, s35
	v_mov_b32_e32 v3, s34
	v_add_co_u32_e32 v6, vcc, s33, v2
	v_cndmask_b32_e64 v2, 0, 1, s[2:3]
	s_mov_b32 s31, 0
	v_addc_co_u32_e32 v7, vcc, 0, v3, vcc
	s_lshl_b32 s33, s24, 3
	v_lshlrev_b32_e32 v8, 2, v0
	s_lshl_b32 s34, s24, 2
	v_lshl_add_u32 v13, v0, 4, 0
	s_lshl_b32 s35, s24, 4
	v_mov_b32_e32 v9, 0
	s_mov_b32 s36, 0xc2fc0000
	v_mov_b32_e32 v14, 0x42800000
	v_mov_b32_e32 v15, 0x1f800000
	v_cmp_ne_u32_e64 s[2:3], 1, v2
	v_mov_b32_e32 v16, v0
	s_branch .LBB282_3
.LBB282_2:                              ;   in Loop: Header=BB282_3 Depth=1
	ds_write_b128 v13, v[2:5]
	v_mov_b32_e32 v2, s31
	v_add_co_u32_e32 v6, vcc, s33, v6
	v_add_u32_e32 v16, s24, v16
	v_addc_co_u32_e32 v7, vcc, v7, v2, vcc
	v_cmp_le_i32_e32 vcc, s7, v16
	v_add_u32_e32 v8, s34, v8
	s_or_b64 s[22:23], vcc, s[22:23]
	v_add_u32_e32 v13, s35, v13
	s_andn2_b64 exec, exec, s[22:23]
	s_cbranch_execz .LBB282_11
.LBB282_3:                              ; =>This Inner Loop Header: Depth=1
	global_load_dwordx2 v[4:5], v[6:7], off
	v_lshlrev_b64 v[10:11], 1, v[8:9]
	s_waitcnt vmcnt(0)
	v_cvt_f32_u32_sdwa v2, v4 dst_sel:DWORD dst_unused:UNUSED_PAD src0_sel:WORD_0
	v_mul_f32_e32 v3, 0xbfb8aa3b, v2
	v_cmp_gt_f32_e32 vcc, s36, v3
	v_cndmask_b32_e32 v3, 0, v14, vcc
	v_fmac_f32_e32 v3, 0xbfb8aa3b, v2
	v_exp_f32_e32 v2, v3
	v_cndmask_b32_e32 v3, 1.0, v15, vcc
	s_and_b64 vcc, exec, s[2:3]
	v_fma_f32 v2, v2, v3, 1.0
	v_rcp_f32_e32 v2, v2
	s_cbranch_vccnz .LBB282_5
; %bb.4:                                ;   in Loop: Header=BB282_3 Depth=1
	v_mov_b32_e32 v3, s11
	v_add_co_u32_e32 v18, vcc, s10, v10
	v_addc_co_u32_e32 v19, vcc, v3, v11, vcc
	global_load_ushort v3, v[18:19], off
	s_waitcnt vmcnt(0)
	v_lshlrev_b32_e32 v3, 16, v3
	v_add_f32_e32 v2, v2, v3
.LBB282_5:                              ;   in Loop: Header=BB282_3 Depth=1
	v_cvt_f32_u32_sdwa v3, v4 dst_sel:DWORD dst_unused:UNUSED_PAD src0_sel:WORD_1
	v_mul_f32_e32 v4, 0xbfb8aa3b, v3
	v_cmp_gt_f32_e32 vcc, s36, v4
	v_cndmask_b32_e32 v4, 0, v14, vcc
	v_fmac_f32_e32 v4, 0xbfb8aa3b, v3
	v_exp_f32_e32 v3, v4
	v_cndmask_b32_e32 v4, 1.0, v15, vcc
	s_and_b64 vcc, exec, s[2:3]
	v_fma_f32 v3, v3, v4, 1.0
	v_rcp_f32_e32 v3, v3
	s_cbranch_vccnz .LBB282_7
; %bb.6:                                ;   in Loop: Header=BB282_3 Depth=1
	v_mov_b32_e32 v4, s26
	v_add_co_u32_e32 v18, vcc, s25, v10
	v_addc_co_u32_e32 v19, vcc, v4, v11, vcc
	global_load_ushort v4, v[18:19], off
	s_waitcnt vmcnt(0)
	v_lshlrev_b32_e32 v4, 16, v4
	v_add_f32_e32 v3, v3, v4
.LBB282_7:                              ;   in Loop: Header=BB282_3 Depth=1
	v_cvt_f32_u32_sdwa v4, v5 dst_sel:DWORD dst_unused:UNUSED_PAD src0_sel:WORD_0
	v_mul_f32_e32 v17, 0xbfb8aa3b, v4
	v_cmp_gt_f32_e32 vcc, s36, v17
	v_cndmask_b32_e32 v17, 0, v14, vcc
	v_fmac_f32_e32 v17, 0xbfb8aa3b, v4
	v_exp_f32_e32 v4, v17
	v_cndmask_b32_e32 v17, 1.0, v15, vcc
	s_and_b64 vcc, exec, s[2:3]
	v_fma_f32 v4, v4, v17, 1.0
	v_rcp_f32_e32 v4, v4
	s_cbranch_vccnz .LBB282_9
; %bb.8:                                ;   in Loop: Header=BB282_3 Depth=1
	v_mov_b32_e32 v17, s28
	v_add_co_u32_e32 v18, vcc, s27, v10
	v_addc_co_u32_e32 v19, vcc, v17, v11, vcc
	global_load_ushort v17, v[18:19], off
	s_waitcnt vmcnt(0)
	v_lshlrev_b32_e32 v17, 16, v17
	v_add_f32_e32 v4, v4, v17
.LBB282_9:                              ;   in Loop: Header=BB282_3 Depth=1
	v_cvt_f32_u32_sdwa v5, v5 dst_sel:DWORD dst_unused:UNUSED_PAD src0_sel:WORD_1
	v_mul_f32_e32 v17, 0xbfb8aa3b, v5
	v_cmp_gt_f32_e32 vcc, s36, v17
	v_cndmask_b32_e32 v17, 0, v14, vcc
	v_fmac_f32_e32 v17, 0xbfb8aa3b, v5
	v_exp_f32_e32 v5, v17
	v_cndmask_b32_e32 v17, 1.0, v15, vcc
	s_and_b64 vcc, exec, s[2:3]
	v_fma_f32 v5, v5, v17, 1.0
	v_rcp_f32_e32 v5, v5
	s_cbranch_vccnz .LBB282_2
; %bb.10:                               ;   in Loop: Header=BB282_3 Depth=1
	v_mov_b32_e32 v17, s30
	v_add_co_u32_e32 v10, vcc, s29, v10
	v_addc_co_u32_e32 v11, vcc, v17, v11, vcc
	global_load_ushort v10, v[10:11], off
	s_waitcnt vmcnt(0)
	v_lshlrev_b32_e32 v10, 16, v10
	v_add_f32_e32 v5, v5, v10
	s_branch .LBB282_2
.LBB282_11:
	s_or_b64 exec, exec, s[20:21]
	v_lshl_add_u32 v2, s7, 2, v0
	v_cmp_gt_i32_e32 vcc, s16, v2
	s_and_saveexec_b64 s[20:21], vcc
	s_cbranch_execz .LBB282_16
; %bb.12:
	s_lshl_b64 s[2:3], s[18:19], 1
	s_load_dword s19, s[4:5], 0x44
	s_add_u32 s18, s8, s2
	s_addc_u32 s23, s9, s3
	s_cmp_lg_u64 s[10:11], 0
	s_cselect_b64 s[2:3], -1, 0
	s_lshl_b32 s22, s7, 4
	s_waitcnt lgkmcnt(0)
	s_and_b32 s19, s19, 0xffff
	s_add_i32 s22, s22, 0
	v_cndmask_b32_e64 v3, 0, 1, s[2:3]
	s_mov_b64 s[8:9], 0
	v_lshl_add_u32 v6, v0, 2, s22
	s_lshl_b32 s22, s19, 2
	v_mov_b32_e32 v7, s23
	s_mov_b32 s23, 0xc2fc0000
	v_mov_b32_e32 v8, 0x42800000
	v_mov_b32_e32 v9, 0x1f800000
	v_cmp_ne_u32_e64 s[2:3], 1, v3
	s_branch .LBB282_14
.LBB282_13:                             ;   in Loop: Header=BB282_14 Depth=1
	v_add_u32_e32 v2, s19, v2
	v_cmp_le_i32_e32 vcc, s16, v2
	s_or_b64 s[8:9], vcc, s[8:9]
	v_add_u32_e32 v6, s22, v6
	s_andn2_b64 exec, exec, s[8:9]
	s_cbranch_execz .LBB282_16
.LBB282_14:                             ; =>This Inner Loop Header: Depth=1
	v_ashrrev_i32_e32 v3, 31, v2
	v_lshlrev_b64 v[4:5], 1, v[2:3]
	v_add_co_u32_e32 v10, vcc, s18, v4
	v_addc_co_u32_e32 v11, vcc, v7, v5, vcc
	global_load_ushort v3, v[10:11], off
	s_waitcnt vmcnt(0)
	v_lshlrev_b32_e32 v3, 16, v3
	v_mul_f32_e32 v10, 0xbfb8aa3b, v3
	v_cmp_gt_f32_e32 vcc, s23, v10
	v_cndmask_b32_e32 v10, 0, v8, vcc
	v_fmac_f32_e32 v10, 0xbfb8aa3b, v3
	v_exp_f32_e32 v3, v10
	v_cndmask_b32_e32 v10, 1.0, v9, vcc
	s_and_b64 vcc, exec, s[2:3]
	v_fma_f32 v3, v3, v10, 1.0
	v_rcp_f32_e32 v3, v3
	ds_write_b32 v6, v3
	s_cbranch_vccnz .LBB282_13
; %bb.15:                               ;   in Loop: Header=BB282_14 Depth=1
	v_mov_b32_e32 v10, s11
	v_add_co_u32_e32 v4, vcc, s10, v4
	v_addc_co_u32_e32 v5, vcc, v10, v5, vcc
	global_load_ushort v4, v[4:5], off
	s_waitcnt vmcnt(0)
	v_lshlrev_b32_e32 v4, 16, v4
	v_add_f32_e32 v3, v3, v4
	ds_write_b32 v6, v3
	s_branch .LBB282_13
.LBB282_16:
	s_or_b64 exec, exec, s[20:21]
	s_cmp_lt_i32 s17, 1
	s_waitcnt lgkmcnt(0)
	s_barrier
	s_cbranch_scc1 .LBB282_25
; %bb.17:
	s_add_u32 s2, s4, 56
	s_addc_u32 s3, s5, 0
	v_mbcnt_lo_u32_b32 v3, -1, 0
	s_cmp_lg_u64 s[10:11], 0
	v_mbcnt_hi_u32_b32 v3, -1, v3
	v_bfrev_b32_e32 v5, 0.5
	s_cselect_b64 s[8:9], -1, 0
	s_mov_b32 s16, 0
	v_mov_b32_e32 v2, 0
	v_mov_b32_e32 v4, 0
	v_lshl_or_b32 v5, v3, 2, v5
	v_mov_b32_e32 v6, 0xff800000
	v_mov_b32_e32 v3, 0
	s_branch .LBB282_19
.LBB282_18:                             ;   in Loop: Header=BB282_19 Depth=1
	s_lshl_b32 s19, s18, 2
	s_add_i32 s19, s19, 0
	v_mov_b32_e32 v7, s19
	ds_write_b32 v7, v6
	v_mov_b32_e32 v7, s18
	v_cmp_eq_u32_e32 vcc, s16, v0
	s_add_i32 s16, s16, 1
	v_cndmask_b32_e32 v2, v2, v7, vcc
	s_cmp_eq_u32 s16, s17
	v_cndmask_b32_e32 v3, v3, v9, vcc
	s_cbranch_scc1 .LBB282_26
.LBB282_19:                             ; =>This Loop Header: Depth=1
                                        ;     Child Loop BB282_21 Depth 2
	v_mov_b32_e32 v7, s16
	v_mov_b32_e32 v8, 0xff800000
	s_and_saveexec_b64 s[18:19], s[0:1]
	s_cbranch_execz .LBB282_23
; %bb.20:                               ;   in Loop: Header=BB282_19 Depth=1
	s_load_dword s22, s[2:3], 0xc
	s_mov_b64 s[20:21], 0
	v_mov_b32_e32 v7, s16
	v_mov_b32_e32 v8, 0xff800000
	;; [unrolled: 1-line block ×3, first 2 shown]
	s_waitcnt lgkmcnt(0)
	s_and_b32 s22, s22, 0xffff
	s_lshl_b32 s23, s22, 2
	s_lshl_b32 s24, s22, 4
	v_mov_b32_e32 v10, v1
	v_mov_b32_e32 v11, v0
.LBB282_21:                             ;   Parent Loop BB282_19 Depth=1
                                        ; =>  This Inner Loop Header: Depth=2
	ds_read_b128 v[14:17], v9
	v_add_u32_e32 v11, s22, v11
	v_cmp_le_i32_e32 vcc, s7, v11
	s_or_b64 s[20:21], vcc, s[20:21]
	v_add_u32_e32 v13, 1, v10
	s_waitcnt lgkmcnt(0)
	v_cmp_gt_f32_e32 vcc, v14, v8
	v_cndmask_b32_e32 v8, v8, v14, vcc
	v_cndmask_b32_e32 v7, v7, v10, vcc
	v_cmp_gt_f32_e32 vcc, v15, v8
	v_cndmask_b32_e32 v8, v8, v15, vcc
	v_cndmask_b32_e32 v7, v7, v13, vcc
	v_cmp_gt_f32_e32 vcc, v16, v8
	v_add_u32_e32 v18, 2, v10
	v_cndmask_b32_e32 v8, v8, v16, vcc
	v_add_u32_e32 v19, 3, v10
	v_cndmask_b32_e32 v7, v7, v18, vcc
	v_cmp_gt_f32_e32 vcc, v17, v8
	v_add_u32_e32 v9, s24, v9
	v_add_u32_e32 v10, s23, v10
	v_cndmask_b32_e32 v8, v8, v17, vcc
	v_cndmask_b32_e32 v7, v7, v19, vcc
	s_andn2_b64 exec, exec, s[20:21]
	s_cbranch_execnz .LBB282_21
; %bb.22:                               ;   in Loop: Header=BB282_19 Depth=1
	s_or_b64 exec, exec, s[20:21]
.LBB282_23:                             ;   in Loop: Header=BB282_19 Depth=1
	s_or_b64 exec, exec, s[18:19]
	;;#ASMSTART
	v_max_f32 v9, v8, v8 quad_perm:[1,0,3,2] row_mask:0xf bank_mask:0xf bound_ctrl:1
	;;#ASMEND
	;;#ASMSTART
	v_max_f32 v10, v9, v9 quad_perm:[2,3,0,1] row_mask:0xf bank_mask:0xf bound_ctrl:1
	;;#ASMEND
	;;#ASMSTART
	v_max_f32 v9, v10, v10 row_half_mirror row_mask:0xf bank_mask:0xf bound_ctrl:1
	;;#ASMEND
	;;#ASMSTART
	v_max_f32 v10, v9, v9 row_mirror row_mask:0xf bank_mask:0xf bound_ctrl:1
	;;#ASMEND
	;;#ASMSTART
	v_max_f32 v9, v10, v10 row_ror:4 row_mask:0xf bank_mask:0xf bound_ctrl:1
	;;#ASMEND
	;;#ASMSTART
	v_max_f32 v10, v9, v9 row_ror:8 row_mask:0xf bank_mask:0xf bound_ctrl:1
	;;#ASMEND
	;;#ASMSTART
	v_max_f32 v9, v10, v10 row_bcast:15 row_mask:0xf bank_mask:0xf bound_ctrl:1
	;;#ASMEND
	;;#ASMSTART
	v_max_f32 v10, v9, v9 row_bcast:31 row_mask:0xf bank_mask:0xf bound_ctrl:1
	;;#ASMEND
	ds_bpermute_b32 v9, v5, v10
	s_waitcnt lgkmcnt(0)
	v_cmp_eq_f32_e32 vcc, v8, v9
	s_ff1_i32_b64 s18, vcc
	s_cmp_lg_u64 vcc, 0
	s_cselect_b32 s18, s18, 0
	s_and_b64 vcc, exec, s[8:9]
	v_readlane_b32 s18, v7, s18
	s_cbranch_vccz .LBB282_18
; %bb.24:                               ;   in Loop: Header=BB282_19 Depth=1
	s_ashr_i32 s19, s18, 31
	s_lshl_b64 s[20:21], s[18:19], 1
	s_add_u32 s20, s10, s20
	s_addc_u32 s21, s11, s21
	global_load_ushort v7, v4, s[20:21]
	s_waitcnt vmcnt(0)
	v_lshlrev_b32_e32 v7, 16, v7
	v_sub_f32_e32 v9, v9, v7
	s_branch .LBB282_18
.LBB282_25:
	v_mov_b32_e32 v3, 0
	v_mov_b32_e32 v2, 0
.LBB282_26:
	v_cmp_gt_i32_e32 vcc, s17, v0
	s_and_saveexec_b64 s[0:1], vcc
	s_cbranch_execz .LBB282_29
; %bb.27:
	s_load_dword s2, s[4:5], 0x34
	s_load_dwordx2 s[0:1], s[4:5], 0x20
	s_ashr_i32 s3, s6, 31
	s_load_dword s4, s[4:5], 0x44
	v_mov_b32_e32 v4, s13
	s_waitcnt lgkmcnt(0)
	v_mul_f32_e32 v1, s2, v3
	s_mul_i32 s1, s6, s1
	s_mul_hi_u32 s2, s6, s0
	s_add_i32 s1, s2, s1
	s_mul_i32 s3, s3, s0
	s_add_i32 s5, s1, s3
	s_mul_i32 s2, s6, s0
	s_and_b32 s3, s4, 0xffff
	s_mov_b64 s[0:1], 0
	v_mov_b32_e32 v3, s5
	v_mov_b32_e32 v5, s15
.LBB282_28:                             ; =>This Inner Loop Header: Depth=1
	v_ashrrev_i32_e32 v7, 31, v0
	v_add_co_u32_e32 v6, vcc, s2, v0
	v_addc_co_u32_e32 v7, vcc, v3, v7, vcc
	v_add_u32_e32 v0, s3, v0
	v_cmp_le_i32_e32 vcc, s17, v0
	v_lshlrev_b64 v[6:7], 2, v[6:7]
	s_or_b64 s[0:1], vcc, s[0:1]
	v_add_co_u32_e32 v8, vcc, s12, v6
	v_addc_co_u32_e32 v9, vcc, v4, v7, vcc
	v_add_co_u32_e32 v6, vcc, s14, v6
	v_addc_co_u32_e32 v7, vcc, v5, v7, vcc
	global_store_dword v[8:9], v1, off
	global_store_dword v[6:7], v2, off
	s_andn2_b64 exec, exec, s[0:1]
	s_cbranch_execnz .LBB282_28
.LBB282_29:
	s_endpgm
	.section	.rodata,"a",@progbits
	.p2align	6, 0x0
	.amdhsa_kernel _ZN5aiter20topk_softplus_kernelI12hip_bfloat16S1_Dv4_fLb0ELi1EEEvPKT_PKT0_PfPimiiif
		.amdhsa_group_segment_fixed_size 0
		.amdhsa_private_segment_fixed_size 0
		.amdhsa_kernarg_size 312
		.amdhsa_user_sgpr_count 6
		.amdhsa_user_sgpr_private_segment_buffer 1
		.amdhsa_user_sgpr_dispatch_ptr 0
		.amdhsa_user_sgpr_queue_ptr 0
		.amdhsa_user_sgpr_kernarg_segment_ptr 1
		.amdhsa_user_sgpr_dispatch_id 0
		.amdhsa_user_sgpr_flat_scratch_init 0
		.amdhsa_user_sgpr_kernarg_preload_length 0
		.amdhsa_user_sgpr_kernarg_preload_offset 0
		.amdhsa_user_sgpr_private_segment_size 0
		.amdhsa_uses_dynamic_stack 0
		.amdhsa_system_sgpr_private_segment_wavefront_offset 0
		.amdhsa_system_sgpr_workgroup_id_x 1
		.amdhsa_system_sgpr_workgroup_id_y 0
		.amdhsa_system_sgpr_workgroup_id_z 0
		.amdhsa_system_sgpr_workgroup_info 0
		.amdhsa_system_vgpr_workitem_id 0
		.amdhsa_next_free_vgpr 20
		.amdhsa_next_free_sgpr 37
		.amdhsa_accum_offset 20
		.amdhsa_reserve_vcc 1
		.amdhsa_reserve_flat_scratch 0
		.amdhsa_float_round_mode_32 0
		.amdhsa_float_round_mode_16_64 0
		.amdhsa_float_denorm_mode_32 3
		.amdhsa_float_denorm_mode_16_64 3
		.amdhsa_dx10_clamp 1
		.amdhsa_ieee_mode 1
		.amdhsa_fp16_overflow 0
		.amdhsa_tg_split 0
		.amdhsa_exception_fp_ieee_invalid_op 0
		.amdhsa_exception_fp_denorm_src 0
		.amdhsa_exception_fp_ieee_div_zero 0
		.amdhsa_exception_fp_ieee_overflow 0
		.amdhsa_exception_fp_ieee_underflow 0
		.amdhsa_exception_fp_ieee_inexact 0
		.amdhsa_exception_int_div_zero 0
	.end_amdhsa_kernel
	.section	.text._ZN5aiter20topk_softplus_kernelI12hip_bfloat16S1_Dv4_fLb0ELi1EEEvPKT_PKT0_PfPimiiif,"axG",@progbits,_ZN5aiter20topk_softplus_kernelI12hip_bfloat16S1_Dv4_fLb0ELi1EEEvPKT_PKT0_PfPimiiif,comdat
.Lfunc_end282:
	.size	_ZN5aiter20topk_softplus_kernelI12hip_bfloat16S1_Dv4_fLb0ELi1EEEvPKT_PKT0_PfPimiiif, .Lfunc_end282-_ZN5aiter20topk_softplus_kernelI12hip_bfloat16S1_Dv4_fLb0ELi1EEEvPKT_PKT0_PfPimiiif
                                        ; -- End function
	.section	.AMDGPU.csdata,"",@progbits
; Kernel info:
; codeLenInByte = 1628
; NumSgprs: 41
; NumVgprs: 20
; NumAgprs: 0
; TotalNumVgprs: 20
; ScratchSize: 0
; MemoryBound: 0
; FloatMode: 240
; IeeeMode: 1
; LDSByteSize: 0 bytes/workgroup (compile time only)
; SGPRBlocks: 5
; VGPRBlocks: 2
; NumSGPRsForWavesPerEU: 41
; NumVGPRsForWavesPerEU: 20
; AccumOffset: 20
; Occupancy: 8
; WaveLimiterHint : 0
; COMPUTE_PGM_RSRC2:SCRATCH_EN: 0
; COMPUTE_PGM_RSRC2:USER_SGPR: 6
; COMPUTE_PGM_RSRC2:TRAP_HANDLER: 0
; COMPUTE_PGM_RSRC2:TGID_X_EN: 1
; COMPUTE_PGM_RSRC2:TGID_Y_EN: 0
; COMPUTE_PGM_RSRC2:TGID_Z_EN: 0
; COMPUTE_PGM_RSRC2:TIDIG_COMP_CNT: 0
; COMPUTE_PGM_RSRC3_GFX90A:ACCUM_OFFSET: 4
; COMPUTE_PGM_RSRC3_GFX90A:TG_SPLIT: 0
	.section	.text._ZN5aiter20topk_softplus_kernelI12hip_bfloat16S1_Dv2_fLb1ELi1EEEvPKT_PKT0_PfPimiiif,"axG",@progbits,_ZN5aiter20topk_softplus_kernelI12hip_bfloat16S1_Dv2_fLb1ELi1EEEvPKT_PKT0_PfPimiiif,comdat
	.protected	_ZN5aiter20topk_softplus_kernelI12hip_bfloat16S1_Dv2_fLb1ELi1EEEvPKT_PKT0_PfPimiiif ; -- Begin function _ZN5aiter20topk_softplus_kernelI12hip_bfloat16S1_Dv2_fLb1ELi1EEEvPKT_PKT0_PfPimiiif
	.globl	_ZN5aiter20topk_softplus_kernelI12hip_bfloat16S1_Dv2_fLb1ELi1EEEvPKT_PKT0_PfPimiiif
	.p2align	8
	.type	_ZN5aiter20topk_softplus_kernelI12hip_bfloat16S1_Dv2_fLb1ELi1EEEvPKT_PKT0_PfPimiiif,@function
_ZN5aiter20topk_softplus_kernelI12hip_bfloat16S1_Dv2_fLb1ELi1EEEvPKT_PKT0_PfPimiiif: ; @_ZN5aiter20topk_softplus_kernelI12hip_bfloat16S1_Dv2_fLb1ELi1EEEvPKT_PKT0_PfPimiiif
; %bb.0:
	s_load_dwordx2 s[16:17], s[4:5], 0x28
	s_load_dwordx8 s[8:15], s[4:5], 0x0
	v_lshl_add_u32 v6, v0, 3, 0
	s_waitcnt lgkmcnt(0)
	s_lshr_b32 s1, s16, 31
	s_mul_i32 s0, s6, s16
	s_add_i32 s1, s16, s1
	s_ashr_i32 s7, s1, 1
	s_ashr_i32 s1, s0, 31
	s_lshl_b64 s[0:1], s[0:1], 1
	s_add_u32 s20, s8, s0
	s_addc_u32 s21, s9, s1
	v_cmp_gt_i32_e64 s[0:1], s7, v0
	s_and_saveexec_b64 s[8:9], s[0:1]
	s_cbranch_execz .LBB283_7
; %bb.1:
	s_load_dword s22, s[4:5], 0x44
	s_cmp_lg_u64 s[10:11], 0
	s_cselect_b64 s[2:3], -1, 0
	s_mov_b32 s26, 0
	v_cndmask_b32_e64 v4, 0, 1, s[2:3]
	s_waitcnt lgkmcnt(0)
	s_and_b32 s22, s22, 0xffff
	s_mov_b64 s[18:19], 0
	v_lshlrev_b32_e32 v2, 2, v0
	v_mov_b32_e32 v1, 0
	s_lshl_b32 s23, s22, 2
	v_lshl_add_u32 v3, v0, 3, 0
	s_lshl_b32 s24, s22, 3
	v_mov_b32_e32 v7, s21
	s_mov_b32 s25, 0xc2fc0000
	v_mov_b32_e32 v8, 0x42800000
	v_mov_b32_e32 v9, 0x1f800000
	v_cmp_ne_u32_e64 s[2:3], 1, v4
	v_mov_b32_e32 v10, s26
	v_mov_b32_e32 v11, v0
	s_branch .LBB283_3
.LBB283_2:                              ;   in Loop: Header=BB283_3 Depth=1
	v_add_co_u32_e32 v2, vcc, s23, v2
	v_add_u32_e32 v11, s22, v11
	v_addc_co_u32_e32 v1, vcc, v1, v10, vcc
	v_cmp_le_i32_e32 vcc, s7, v11
	ds_write_b64 v3, v[4:5]
	s_or_b64 s[18:19], vcc, s[18:19]
	v_add_u32_e32 v3, s24, v3
	s_andn2_b64 exec, exec, s[18:19]
	s_cbranch_execz .LBB283_7
.LBB283_3:                              ; =>This Inner Loop Header: Depth=1
	v_add_co_u32_e32 v4, vcc, s20, v2
	v_addc_co_u32_e32 v5, vcc, v7, v1, vcc
	global_load_dword v5, v[4:5], off
	s_waitcnt vmcnt(0)
	v_cvt_f32_u32_sdwa v4, v5 dst_sel:DWORD dst_unused:UNUSED_PAD src0_sel:WORD_0
	v_mul_f32_e32 v12, 0xbfb8aa3b, v4
	v_cmp_gt_f32_e32 vcc, s25, v12
	v_cndmask_b32_e32 v12, 0, v8, vcc
	v_fmac_f32_e32 v12, 0xbfb8aa3b, v4
	v_exp_f32_e32 v4, v12
	v_cndmask_b32_e32 v12, 1.0, v9, vcc
	s_and_b64 vcc, exec, s[2:3]
	v_fma_f32 v4, v4, v12, 1.0
	v_rcp_f32_e32 v4, v4
	s_cbranch_vccnz .LBB283_5
; %bb.4:                                ;   in Loop: Header=BB283_3 Depth=1
	v_mov_b32_e32 v13, s11
	v_add_co_u32_e32 v12, vcc, s10, v2
	v_addc_co_u32_e32 v13, vcc, v13, v1, vcc
	global_load_ushort v12, v[12:13], off
	s_waitcnt vmcnt(0)
	v_lshlrev_b32_e32 v12, 16, v12
	v_add_f32_e32 v4, v4, v12
.LBB283_5:                              ;   in Loop: Header=BB283_3 Depth=1
	v_cvt_f32_u32_sdwa v5, v5 dst_sel:DWORD dst_unused:UNUSED_PAD src0_sel:WORD_1
	v_mul_f32_e32 v12, 0xbfb8aa3b, v5
	v_cmp_gt_f32_e32 vcc, s25, v12
	v_cndmask_b32_e32 v12, 0, v8, vcc
	v_fmac_f32_e32 v12, 0xbfb8aa3b, v5
	v_exp_f32_e32 v5, v12
	v_cndmask_b32_e32 v12, 1.0, v9, vcc
	s_and_b64 vcc, exec, s[2:3]
	v_fma_f32 v5, v5, v12, 1.0
	v_rcp_f32_e32 v5, v5
	s_cbranch_vccnz .LBB283_2
; %bb.6:                                ;   in Loop: Header=BB283_3 Depth=1
	v_mov_b32_e32 v13, s11
	v_add_co_u32_e32 v12, vcc, s10, v2
	v_addc_co_u32_e32 v13, vcc, v13, v1, vcc
	global_load_ushort v12, v[12:13], off offset:2
	s_waitcnt vmcnt(0)
	v_lshlrev_b32_e32 v12, 16, v12
	v_add_f32_e32 v5, v5, v12
	s_branch .LBB283_2
.LBB283_7:
	s_or_b64 exec, exec, s[8:9]
	v_lshl_add_u32 v2, s7, 1, v0
	v_cmp_gt_i32_e32 vcc, s16, v2
	s_and_saveexec_b64 s[8:9], vcc
	s_cbranch_execz .LBB283_12
; %bb.8:
	s_load_dword s22, s[4:5], 0x44
	s_cmp_lg_u64 s[10:11], 0
	s_cselect_b64 s[2:3], -1, 0
	s_lshl_b32 s23, s7, 3
	s_add_i32 s23, s23, 0
	s_waitcnt lgkmcnt(0)
	s_and_b32 s22, s22, 0xffff
	v_cndmask_b32_e64 v3, 0, 1, s[2:3]
	s_mov_b64 s[18:19], 0
	v_lshl_add_u32 v1, v0, 2, s23
	s_lshl_b32 s23, s22, 2
	v_mov_b32_e32 v7, s21
	s_mov_b32 s21, 0xc2fc0000
	v_mov_b32_e32 v8, 0x42800000
	v_mov_b32_e32 v9, 0x1f800000
	v_cmp_ne_u32_e64 s[2:3], 1, v3
	s_branch .LBB283_10
.LBB283_9:                              ;   in Loop: Header=BB283_10 Depth=1
	v_add_u32_e32 v2, s22, v2
	v_cmp_le_i32_e32 vcc, s16, v2
	s_or_b64 s[18:19], vcc, s[18:19]
	v_add_u32_e32 v1, s23, v1
	s_andn2_b64 exec, exec, s[18:19]
	s_cbranch_execz .LBB283_12
.LBB283_10:                             ; =>This Inner Loop Header: Depth=1
	v_ashrrev_i32_e32 v3, 31, v2
	v_lshlrev_b64 v[4:5], 1, v[2:3]
	v_add_co_u32_e32 v10, vcc, s20, v4
	v_addc_co_u32_e32 v11, vcc, v7, v5, vcc
	global_load_ushort v3, v[10:11], off
	s_waitcnt vmcnt(0)
	v_lshlrev_b32_e32 v3, 16, v3
	v_mul_f32_e32 v10, 0xbfb8aa3b, v3
	v_cmp_gt_f32_e32 vcc, s21, v10
	v_cndmask_b32_e32 v10, 0, v8, vcc
	v_fmac_f32_e32 v10, 0xbfb8aa3b, v3
	v_exp_f32_e32 v3, v10
	v_cndmask_b32_e32 v10, 1.0, v9, vcc
	s_and_b64 vcc, exec, s[2:3]
	v_fma_f32 v3, v3, v10, 1.0
	v_rcp_f32_e32 v3, v3
	ds_write_b32 v1, v3
	s_cbranch_vccnz .LBB283_9
; %bb.11:                               ;   in Loop: Header=BB283_10 Depth=1
	v_mov_b32_e32 v10, s11
	v_add_co_u32_e32 v4, vcc, s10, v4
	v_addc_co_u32_e32 v5, vcc, v10, v5, vcc
	global_load_ushort v4, v[4:5], off
	s_waitcnt vmcnt(0)
	v_lshlrev_b32_e32 v4, 16, v4
	v_add_f32_e32 v3, v3, v4
	ds_write_b32 v1, v3
	s_branch .LBB283_9
.LBB283_12:
	s_or_b64 exec, exec, s[8:9]
	s_cmp_lt_i32 s17, 1
	v_mov_b32_e32 v2, 0
	s_waitcnt lgkmcnt(0)
	s_barrier
	s_cbranch_scc1 .LBB283_21
; %bb.13:
	s_add_u32 s2, s4, 56
	s_addc_u32 s3, s5, 0
	v_mbcnt_lo_u32_b32 v1, -1, 0
	s_cmp_lg_u64 s[10:11], 0
	v_mbcnt_hi_u32_b32 v1, -1, v1
	v_bfrev_b32_e32 v3, 0.5
	s_cselect_b64 s[8:9], -1, 0
	v_lshlrev_b32_e32 v4, 1, v0
	s_mov_b32 s16, 0
	v_mov_b32_e32 v2, 0
	v_lshl_or_b32 v5, v1, 2, v3
	v_mov_b32_e32 v7, 0
	v_mov_b32_e32 v8, 0xff800000
	;; [unrolled: 1-line block ×4, first 2 shown]
	s_branch .LBB283_15
.LBB283_14:                             ;   in Loop: Header=BB283_15 Depth=1
	s_lshl_b32 s19, s18, 2
	s_add_i32 s19, s19, 0
	v_mov_b32_e32 v9, s19
	ds_write_b32 v9, v8
	v_mov_b32_e32 v9, s18
	v_cmp_eq_u32_e32 vcc, s16, v0
	s_add_i32 s16, s16, 1
	v_cndmask_b32_e32 v1, v1, v9, vcc
	v_cndmask_b32_e32 v2, v2, v11, vcc
	s_cmp_eq_u32 s16, s17
	v_add_f32_e32 v3, v3, v11
	s_cbranch_scc1 .LBB283_22
.LBB283_15:                             ; =>This Loop Header: Depth=1
                                        ;     Child Loop BB283_17 Depth 2
	v_mov_b32_e32 v9, s16
	v_mov_b32_e32 v10, 0xff800000
	s_and_saveexec_b64 s[18:19], s[0:1]
	s_cbranch_execz .LBB283_19
; %bb.16:                               ;   in Loop: Header=BB283_15 Depth=1
	s_load_dword s22, s[2:3], 0xc
	s_mov_b64 s[20:21], 0
	v_mov_b32_e32 v9, s16
	v_mov_b32_e32 v10, 0xff800000
	;; [unrolled: 1-line block ×3, first 2 shown]
	s_waitcnt lgkmcnt(0)
	s_and_b32 s22, s22, 0xffff
	s_lshl_b32 s23, s22, 1
	s_lshl_b32 s24, s22, 3
	v_mov_b32_e32 v12, v4
	v_mov_b32_e32 v13, v0
.LBB283_17:                             ;   Parent Loop BB283_15 Depth=1
                                        ; =>  This Inner Loop Header: Depth=2
	ds_read_b64 v[14:15], v11
	v_add_u32_e32 v13, s22, v13
	v_cmp_le_i32_e32 vcc, s7, v13
	s_or_b64 s[20:21], vcc, s[20:21]
	v_add_u32_e32 v16, 1, v12
	s_waitcnt lgkmcnt(0)
	v_cmp_gt_f32_e32 vcc, v14, v10
	v_cndmask_b32_e32 v10, v10, v14, vcc
	v_cndmask_b32_e32 v9, v9, v12, vcc
	v_cmp_gt_f32_e32 vcc, v15, v10
	v_add_u32_e32 v11, s24, v11
	v_cndmask_b32_e32 v10, v10, v15, vcc
	v_add_u32_e32 v12, s23, v12
	v_cndmask_b32_e32 v9, v9, v16, vcc
	s_andn2_b64 exec, exec, s[20:21]
	s_cbranch_execnz .LBB283_17
; %bb.18:                               ;   in Loop: Header=BB283_15 Depth=1
	s_or_b64 exec, exec, s[20:21]
.LBB283_19:                             ;   in Loop: Header=BB283_15 Depth=1
	s_or_b64 exec, exec, s[18:19]
	;;#ASMSTART
	v_max_f32 v11, v10, v10 quad_perm:[1,0,3,2] row_mask:0xf bank_mask:0xf bound_ctrl:1
	;;#ASMEND
	;;#ASMSTART
	v_max_f32 v12, v11, v11 quad_perm:[2,3,0,1] row_mask:0xf bank_mask:0xf bound_ctrl:1
	;;#ASMEND
	;;#ASMSTART
	v_max_f32 v11, v12, v12 row_half_mirror row_mask:0xf bank_mask:0xf bound_ctrl:1
	;;#ASMEND
	;;#ASMSTART
	v_max_f32 v12, v11, v11 row_mirror row_mask:0xf bank_mask:0xf bound_ctrl:1
	;;#ASMEND
	;;#ASMSTART
	v_max_f32 v11, v12, v12 row_ror:4 row_mask:0xf bank_mask:0xf bound_ctrl:1
	;;#ASMEND
	;;#ASMSTART
	v_max_f32 v12, v11, v11 row_ror:8 row_mask:0xf bank_mask:0xf bound_ctrl:1
	;;#ASMEND
	;;#ASMSTART
	v_max_f32 v11, v12, v12 row_bcast:15 row_mask:0xf bank_mask:0xf bound_ctrl:1
	;;#ASMEND
	;;#ASMSTART
	v_max_f32 v12, v11, v11 row_bcast:31 row_mask:0xf bank_mask:0xf bound_ctrl:1
	;;#ASMEND
	ds_bpermute_b32 v11, v5, v12
	s_waitcnt lgkmcnt(0)
	v_cmp_eq_f32_e32 vcc, v10, v11
	s_ff1_i32_b64 s18, vcc
	s_cmp_lg_u64 vcc, 0
	s_cselect_b32 s18, s18, 0
	s_and_b64 vcc, exec, s[8:9]
	v_readlane_b32 s18, v9, s18
	s_cbranch_vccz .LBB283_14
; %bb.20:                               ;   in Loop: Header=BB283_15 Depth=1
	s_ashr_i32 s19, s18, 31
	s_lshl_b64 s[20:21], s[18:19], 1
	s_add_u32 s20, s10, s20
	s_addc_u32 s21, s11, s21
	global_load_ushort v9, v7, s[20:21]
	s_waitcnt vmcnt(0)
	v_lshlrev_b32_e32 v9, 16, v9
	v_sub_f32_e32 v11, v11, v9
	s_branch .LBB283_14
.LBB283_21:
	v_mov_b32_e32 v1, 0
	v_mov_b32_e32 v3, 0
.LBB283_22:
	v_cmp_gt_i32_e32 vcc, s17, v0
	s_and_saveexec_b64 s[0:1], vcc
	s_cbranch_execz .LBB283_25
; %bb.23:
	s_load_dword s2, s[4:5], 0x34
	v_max_f32_e32 v3, v3, v3
	v_max_f32_e32 v3, 0x1e3ce508, v3
	s_load_dword s3, s[4:5], 0x44
	s_waitcnt lgkmcnt(0)
	v_div_scale_f32 v4, s[0:1], v3, v3, s2
	s_load_dwordx2 s[0:1], s[4:5], 0x20
	v_rcp_f32_e32 v5, v4
	v_div_scale_f32 v6, vcc, s2, v3, s2
	s_and_b32 s3, s3, 0xffff
	v_fma_f32 v7, -v4, v5, 1.0
	v_fmac_f32_e32 v5, v7, v5
	v_mul_f32_e32 v7, v6, v5
	v_fma_f32 v8, -v4, v7, v6
	v_fmac_f32_e32 v7, v8, v5
	v_fma_f32 v4, -v4, v7, v6
	v_div_fmas_f32 v4, v4, v5, v7
	v_div_fixup_f32 v3, v4, v3, s2
	s_ashr_i32 s2, s6, 31
	s_waitcnt lgkmcnt(0)
	s_mul_i32 s1, s6, s1
	s_mul_hi_u32 s4, s6, s0
	s_add_i32 s1, s4, s1
	s_mul_i32 s2, s2, s0
	s_add_i32 s4, s1, s2
	v_mul_f32_e32 v2, v2, v3
	s_mul_i32 s2, s6, s0
	s_mov_b64 s[0:1], 0
	v_mov_b32_e32 v3, s4
	v_mov_b32_e32 v4, s13
	;; [unrolled: 1-line block ×3, first 2 shown]
.LBB283_24:                             ; =>This Inner Loop Header: Depth=1
	v_ashrrev_i32_e32 v7, 31, v0
	v_add_co_u32_e32 v6, vcc, s2, v0
	v_addc_co_u32_e32 v7, vcc, v3, v7, vcc
	v_add_u32_e32 v0, s3, v0
	v_cmp_le_i32_e32 vcc, s17, v0
	v_lshlrev_b64 v[6:7], 2, v[6:7]
	s_or_b64 s[0:1], vcc, s[0:1]
	v_add_co_u32_e32 v8, vcc, s12, v6
	v_addc_co_u32_e32 v9, vcc, v4, v7, vcc
	v_add_co_u32_e32 v6, vcc, s14, v6
	v_addc_co_u32_e32 v7, vcc, v5, v7, vcc
	global_store_dword v[8:9], v2, off
	global_store_dword v[6:7], v1, off
	s_andn2_b64 exec, exec, s[0:1]
	s_cbranch_execnz .LBB283_24
.LBB283_25:
	s_endpgm
	.section	.rodata,"a",@progbits
	.p2align	6, 0x0
	.amdhsa_kernel _ZN5aiter20topk_softplus_kernelI12hip_bfloat16S1_Dv2_fLb1ELi1EEEvPKT_PKT0_PfPimiiif
		.amdhsa_group_segment_fixed_size 0
		.amdhsa_private_segment_fixed_size 0
		.amdhsa_kernarg_size 312
		.amdhsa_user_sgpr_count 6
		.amdhsa_user_sgpr_private_segment_buffer 1
		.amdhsa_user_sgpr_dispatch_ptr 0
		.amdhsa_user_sgpr_queue_ptr 0
		.amdhsa_user_sgpr_kernarg_segment_ptr 1
		.amdhsa_user_sgpr_dispatch_id 0
		.amdhsa_user_sgpr_flat_scratch_init 0
		.amdhsa_user_sgpr_kernarg_preload_length 0
		.amdhsa_user_sgpr_kernarg_preload_offset 0
		.amdhsa_user_sgpr_private_segment_size 0
		.amdhsa_uses_dynamic_stack 0
		.amdhsa_system_sgpr_private_segment_wavefront_offset 0
		.amdhsa_system_sgpr_workgroup_id_x 1
		.amdhsa_system_sgpr_workgroup_id_y 0
		.amdhsa_system_sgpr_workgroup_id_z 0
		.amdhsa_system_sgpr_workgroup_info 0
		.amdhsa_system_vgpr_workitem_id 0
		.amdhsa_next_free_vgpr 17
		.amdhsa_next_free_sgpr 27
		.amdhsa_accum_offset 20
		.amdhsa_reserve_vcc 1
		.amdhsa_reserve_flat_scratch 0
		.amdhsa_float_round_mode_32 0
		.amdhsa_float_round_mode_16_64 0
		.amdhsa_float_denorm_mode_32 3
		.amdhsa_float_denorm_mode_16_64 3
		.amdhsa_dx10_clamp 1
		.amdhsa_ieee_mode 1
		.amdhsa_fp16_overflow 0
		.amdhsa_tg_split 0
		.amdhsa_exception_fp_ieee_invalid_op 0
		.amdhsa_exception_fp_denorm_src 0
		.amdhsa_exception_fp_ieee_div_zero 0
		.amdhsa_exception_fp_ieee_overflow 0
		.amdhsa_exception_fp_ieee_underflow 0
		.amdhsa_exception_fp_ieee_inexact 0
		.amdhsa_exception_int_div_zero 0
	.end_amdhsa_kernel
	.section	.text._ZN5aiter20topk_softplus_kernelI12hip_bfloat16S1_Dv2_fLb1ELi1EEEvPKT_PKT0_PfPimiiif,"axG",@progbits,_ZN5aiter20topk_softplus_kernelI12hip_bfloat16S1_Dv2_fLb1ELi1EEEvPKT_PKT0_PfPimiiif,comdat
.Lfunc_end283:
	.size	_ZN5aiter20topk_softplus_kernelI12hip_bfloat16S1_Dv2_fLb1ELi1EEEvPKT_PKT0_PfPimiiif, .Lfunc_end283-_ZN5aiter20topk_softplus_kernelI12hip_bfloat16S1_Dv2_fLb1ELi1EEEvPKT_PKT0_PfPimiiif
                                        ; -- End function
	.section	.AMDGPU.csdata,"",@progbits
; Kernel info:
; codeLenInByte = 1452
; NumSgprs: 31
; NumVgprs: 17
; NumAgprs: 0
; TotalNumVgprs: 17
; ScratchSize: 0
; MemoryBound: 0
; FloatMode: 240
; IeeeMode: 1
; LDSByteSize: 0 bytes/workgroup (compile time only)
; SGPRBlocks: 3
; VGPRBlocks: 2
; NumSGPRsForWavesPerEU: 31
; NumVGPRsForWavesPerEU: 17
; AccumOffset: 20
; Occupancy: 8
; WaveLimiterHint : 0
; COMPUTE_PGM_RSRC2:SCRATCH_EN: 0
; COMPUTE_PGM_RSRC2:USER_SGPR: 6
; COMPUTE_PGM_RSRC2:TRAP_HANDLER: 0
; COMPUTE_PGM_RSRC2:TGID_X_EN: 1
; COMPUTE_PGM_RSRC2:TGID_Y_EN: 0
; COMPUTE_PGM_RSRC2:TGID_Z_EN: 0
; COMPUTE_PGM_RSRC2:TIDIG_COMP_CNT: 0
; COMPUTE_PGM_RSRC3_GFX90A:ACCUM_OFFSET: 4
; COMPUTE_PGM_RSRC3_GFX90A:TG_SPLIT: 0
	.section	.text._ZN5aiter20topk_softplus_kernelI12hip_bfloat16S1_Dv2_fLb0ELi1EEEvPKT_PKT0_PfPimiiif,"axG",@progbits,_ZN5aiter20topk_softplus_kernelI12hip_bfloat16S1_Dv2_fLb0ELi1EEEvPKT_PKT0_PfPimiiif,comdat
	.protected	_ZN5aiter20topk_softplus_kernelI12hip_bfloat16S1_Dv2_fLb0ELi1EEEvPKT_PKT0_PfPimiiif ; -- Begin function _ZN5aiter20topk_softplus_kernelI12hip_bfloat16S1_Dv2_fLb0ELi1EEEvPKT_PKT0_PfPimiiif
	.globl	_ZN5aiter20topk_softplus_kernelI12hip_bfloat16S1_Dv2_fLb0ELi1EEEvPKT_PKT0_PfPimiiif
	.p2align	8
	.type	_ZN5aiter20topk_softplus_kernelI12hip_bfloat16S1_Dv2_fLb0ELi1EEEvPKT_PKT0_PfPimiiif,@function
_ZN5aiter20topk_softplus_kernelI12hip_bfloat16S1_Dv2_fLb0ELi1EEEvPKT_PKT0_PfPimiiif: ; @_ZN5aiter20topk_softplus_kernelI12hip_bfloat16S1_Dv2_fLb0ELi1EEEvPKT_PKT0_PfPimiiif
; %bb.0:
	s_load_dwordx2 s[16:17], s[4:5], 0x28
	s_load_dwordx8 s[8:15], s[4:5], 0x0
	v_lshl_add_u32 v6, v0, 3, 0
	s_waitcnt lgkmcnt(0)
	s_lshr_b32 s1, s16, 31
	s_mul_i32 s0, s6, s16
	s_add_i32 s1, s16, s1
	s_ashr_i32 s7, s1, 1
	s_ashr_i32 s1, s0, 31
	s_lshl_b64 s[0:1], s[0:1], 1
	s_add_u32 s20, s8, s0
	s_addc_u32 s21, s9, s1
	v_cmp_gt_i32_e64 s[0:1], s7, v0
	s_and_saveexec_b64 s[8:9], s[0:1]
	s_cbranch_execz .LBB284_7
; %bb.1:
	s_load_dword s22, s[4:5], 0x44
	s_cmp_lg_u64 s[10:11], 0
	s_cselect_b64 s[2:3], -1, 0
	s_mov_b32 s26, 0
	v_cndmask_b32_e64 v4, 0, 1, s[2:3]
	s_waitcnt lgkmcnt(0)
	s_and_b32 s22, s22, 0xffff
	s_mov_b64 s[18:19], 0
	v_lshlrev_b32_e32 v2, 2, v0
	v_mov_b32_e32 v1, 0
	s_lshl_b32 s23, s22, 2
	v_lshl_add_u32 v3, v0, 3, 0
	s_lshl_b32 s24, s22, 3
	v_mov_b32_e32 v7, s21
	s_mov_b32 s25, 0xc2fc0000
	v_mov_b32_e32 v8, 0x42800000
	v_mov_b32_e32 v9, 0x1f800000
	v_cmp_ne_u32_e64 s[2:3], 1, v4
	v_mov_b32_e32 v10, s26
	v_mov_b32_e32 v11, v0
	s_branch .LBB284_3
.LBB284_2:                              ;   in Loop: Header=BB284_3 Depth=1
	v_add_co_u32_e32 v2, vcc, s23, v2
	v_add_u32_e32 v11, s22, v11
	v_addc_co_u32_e32 v1, vcc, v1, v10, vcc
	v_cmp_le_i32_e32 vcc, s7, v11
	ds_write_b64 v3, v[4:5]
	s_or_b64 s[18:19], vcc, s[18:19]
	v_add_u32_e32 v3, s24, v3
	s_andn2_b64 exec, exec, s[18:19]
	s_cbranch_execz .LBB284_7
.LBB284_3:                              ; =>This Inner Loop Header: Depth=1
	v_add_co_u32_e32 v4, vcc, s20, v2
	v_addc_co_u32_e32 v5, vcc, v7, v1, vcc
	global_load_dword v5, v[4:5], off
	s_waitcnt vmcnt(0)
	v_cvt_f32_u32_sdwa v4, v5 dst_sel:DWORD dst_unused:UNUSED_PAD src0_sel:WORD_0
	v_mul_f32_e32 v12, 0xbfb8aa3b, v4
	v_cmp_gt_f32_e32 vcc, s25, v12
	v_cndmask_b32_e32 v12, 0, v8, vcc
	v_fmac_f32_e32 v12, 0xbfb8aa3b, v4
	v_exp_f32_e32 v4, v12
	v_cndmask_b32_e32 v12, 1.0, v9, vcc
	s_and_b64 vcc, exec, s[2:3]
	v_fma_f32 v4, v4, v12, 1.0
	v_rcp_f32_e32 v4, v4
	s_cbranch_vccnz .LBB284_5
; %bb.4:                                ;   in Loop: Header=BB284_3 Depth=1
	v_mov_b32_e32 v13, s11
	v_add_co_u32_e32 v12, vcc, s10, v2
	v_addc_co_u32_e32 v13, vcc, v13, v1, vcc
	global_load_ushort v12, v[12:13], off
	s_waitcnt vmcnt(0)
	v_lshlrev_b32_e32 v12, 16, v12
	v_add_f32_e32 v4, v4, v12
.LBB284_5:                              ;   in Loop: Header=BB284_3 Depth=1
	v_cvt_f32_u32_sdwa v5, v5 dst_sel:DWORD dst_unused:UNUSED_PAD src0_sel:WORD_1
	v_mul_f32_e32 v12, 0xbfb8aa3b, v5
	v_cmp_gt_f32_e32 vcc, s25, v12
	v_cndmask_b32_e32 v12, 0, v8, vcc
	v_fmac_f32_e32 v12, 0xbfb8aa3b, v5
	v_exp_f32_e32 v5, v12
	v_cndmask_b32_e32 v12, 1.0, v9, vcc
	s_and_b64 vcc, exec, s[2:3]
	v_fma_f32 v5, v5, v12, 1.0
	v_rcp_f32_e32 v5, v5
	s_cbranch_vccnz .LBB284_2
; %bb.6:                                ;   in Loop: Header=BB284_3 Depth=1
	v_mov_b32_e32 v13, s11
	v_add_co_u32_e32 v12, vcc, s10, v2
	v_addc_co_u32_e32 v13, vcc, v13, v1, vcc
	global_load_ushort v12, v[12:13], off offset:2
	s_waitcnt vmcnt(0)
	v_lshlrev_b32_e32 v12, 16, v12
	v_add_f32_e32 v5, v5, v12
	s_branch .LBB284_2
.LBB284_7:
	s_or_b64 exec, exec, s[8:9]
	v_lshl_add_u32 v2, s7, 1, v0
	v_cmp_gt_i32_e32 vcc, s16, v2
	s_and_saveexec_b64 s[8:9], vcc
	s_cbranch_execz .LBB284_12
; %bb.8:
	s_load_dword s22, s[4:5], 0x44
	s_cmp_lg_u64 s[10:11], 0
	s_cselect_b64 s[2:3], -1, 0
	s_lshl_b32 s23, s7, 3
	s_add_i32 s23, s23, 0
	s_waitcnt lgkmcnt(0)
	s_and_b32 s22, s22, 0xffff
	v_cndmask_b32_e64 v3, 0, 1, s[2:3]
	s_mov_b64 s[18:19], 0
	v_lshl_add_u32 v1, v0, 2, s23
	s_lshl_b32 s23, s22, 2
	v_mov_b32_e32 v7, s21
	s_mov_b32 s21, 0xc2fc0000
	v_mov_b32_e32 v8, 0x42800000
	v_mov_b32_e32 v9, 0x1f800000
	v_cmp_ne_u32_e64 s[2:3], 1, v3
	s_branch .LBB284_10
.LBB284_9:                              ;   in Loop: Header=BB284_10 Depth=1
	v_add_u32_e32 v2, s22, v2
	v_cmp_le_i32_e32 vcc, s16, v2
	s_or_b64 s[18:19], vcc, s[18:19]
	v_add_u32_e32 v1, s23, v1
	s_andn2_b64 exec, exec, s[18:19]
	s_cbranch_execz .LBB284_12
.LBB284_10:                             ; =>This Inner Loop Header: Depth=1
	v_ashrrev_i32_e32 v3, 31, v2
	v_lshlrev_b64 v[4:5], 1, v[2:3]
	v_add_co_u32_e32 v10, vcc, s20, v4
	v_addc_co_u32_e32 v11, vcc, v7, v5, vcc
	global_load_ushort v3, v[10:11], off
	s_waitcnt vmcnt(0)
	v_lshlrev_b32_e32 v3, 16, v3
	v_mul_f32_e32 v10, 0xbfb8aa3b, v3
	v_cmp_gt_f32_e32 vcc, s21, v10
	v_cndmask_b32_e32 v10, 0, v8, vcc
	v_fmac_f32_e32 v10, 0xbfb8aa3b, v3
	v_exp_f32_e32 v3, v10
	v_cndmask_b32_e32 v10, 1.0, v9, vcc
	s_and_b64 vcc, exec, s[2:3]
	v_fma_f32 v3, v3, v10, 1.0
	v_rcp_f32_e32 v3, v3
	ds_write_b32 v1, v3
	s_cbranch_vccnz .LBB284_9
; %bb.11:                               ;   in Loop: Header=BB284_10 Depth=1
	v_mov_b32_e32 v10, s11
	v_add_co_u32_e32 v4, vcc, s10, v4
	v_addc_co_u32_e32 v5, vcc, v10, v5, vcc
	global_load_ushort v4, v[4:5], off
	s_waitcnt vmcnt(0)
	v_lshlrev_b32_e32 v4, 16, v4
	v_add_f32_e32 v3, v3, v4
	ds_write_b32 v1, v3
	s_branch .LBB284_9
.LBB284_12:
	s_or_b64 exec, exec, s[8:9]
	s_cmp_lt_i32 s17, 1
	s_waitcnt lgkmcnt(0)
	s_barrier
	s_cbranch_scc1 .LBB284_21
; %bb.13:
	s_add_u32 s2, s4, 56
	s_addc_u32 s3, s5, 0
	v_mbcnt_lo_u32_b32 v2, -1, 0
	s_cmp_lg_u64 s[10:11], 0
	v_mbcnt_hi_u32_b32 v2, -1, v2
	v_bfrev_b32_e32 v5, 0.5
	s_cselect_b64 s[8:9], -1, 0
	v_lshlrev_b32_e32 v3, 1, v0
	s_mov_b32 s16, 0
	v_mov_b32_e32 v1, 0
	v_mov_b32_e32 v4, 0
	v_lshl_or_b32 v5, v2, 2, v5
	v_mov_b32_e32 v7, 0xff800000
	v_mov_b32_e32 v2, 0
	s_branch .LBB284_15
.LBB284_14:                             ;   in Loop: Header=BB284_15 Depth=1
	s_lshl_b32 s19, s18, 2
	s_add_i32 s19, s19, 0
	v_mov_b32_e32 v8, s19
	ds_write_b32 v8, v7
	v_mov_b32_e32 v8, s18
	v_cmp_eq_u32_e32 vcc, s16, v0
	s_add_i32 s16, s16, 1
	v_cndmask_b32_e32 v1, v1, v8, vcc
	s_cmp_eq_u32 s16, s17
	v_cndmask_b32_e32 v2, v2, v10, vcc
	s_cbranch_scc1 .LBB284_22
.LBB284_15:                             ; =>This Loop Header: Depth=1
                                        ;     Child Loop BB284_17 Depth 2
	v_mov_b32_e32 v8, s16
	v_mov_b32_e32 v9, 0xff800000
	s_and_saveexec_b64 s[18:19], s[0:1]
	s_cbranch_execz .LBB284_19
; %bb.16:                               ;   in Loop: Header=BB284_15 Depth=1
	s_load_dword s22, s[2:3], 0xc
	s_mov_b64 s[20:21], 0
	v_mov_b32_e32 v8, s16
	v_mov_b32_e32 v9, 0xff800000
	;; [unrolled: 1-line block ×3, first 2 shown]
	s_waitcnt lgkmcnt(0)
	s_and_b32 s22, s22, 0xffff
	s_lshl_b32 s23, s22, 1
	s_lshl_b32 s24, s22, 3
	v_mov_b32_e32 v11, v3
	v_mov_b32_e32 v12, v0
.LBB284_17:                             ;   Parent Loop BB284_15 Depth=1
                                        ; =>  This Inner Loop Header: Depth=2
	ds_read_b64 v[14:15], v10
	v_add_u32_e32 v12, s22, v12
	v_cmp_le_i32_e32 vcc, s7, v12
	s_or_b64 s[20:21], vcc, s[20:21]
	v_add_u32_e32 v13, 1, v11
	s_waitcnt lgkmcnt(0)
	v_cmp_gt_f32_e32 vcc, v14, v9
	v_cndmask_b32_e32 v9, v9, v14, vcc
	v_cndmask_b32_e32 v8, v8, v11, vcc
	v_cmp_gt_f32_e32 vcc, v15, v9
	v_add_u32_e32 v10, s24, v10
	v_cndmask_b32_e32 v9, v9, v15, vcc
	v_add_u32_e32 v11, s23, v11
	v_cndmask_b32_e32 v8, v8, v13, vcc
	s_andn2_b64 exec, exec, s[20:21]
	s_cbranch_execnz .LBB284_17
; %bb.18:                               ;   in Loop: Header=BB284_15 Depth=1
	s_or_b64 exec, exec, s[20:21]
.LBB284_19:                             ;   in Loop: Header=BB284_15 Depth=1
	s_or_b64 exec, exec, s[18:19]
	;;#ASMSTART
	v_max_f32 v10, v9, v9 quad_perm:[1,0,3,2] row_mask:0xf bank_mask:0xf bound_ctrl:1
	;;#ASMEND
	;;#ASMSTART
	v_max_f32 v11, v10, v10 quad_perm:[2,3,0,1] row_mask:0xf bank_mask:0xf bound_ctrl:1
	;;#ASMEND
	;;#ASMSTART
	v_max_f32 v10, v11, v11 row_half_mirror row_mask:0xf bank_mask:0xf bound_ctrl:1
	;;#ASMEND
	;;#ASMSTART
	v_max_f32 v11, v10, v10 row_mirror row_mask:0xf bank_mask:0xf bound_ctrl:1
	;;#ASMEND
	;;#ASMSTART
	v_max_f32 v10, v11, v11 row_ror:4 row_mask:0xf bank_mask:0xf bound_ctrl:1
	;;#ASMEND
	;;#ASMSTART
	v_max_f32 v11, v10, v10 row_ror:8 row_mask:0xf bank_mask:0xf bound_ctrl:1
	;;#ASMEND
	;;#ASMSTART
	v_max_f32 v10, v11, v11 row_bcast:15 row_mask:0xf bank_mask:0xf bound_ctrl:1
	;;#ASMEND
	;;#ASMSTART
	v_max_f32 v11, v10, v10 row_bcast:31 row_mask:0xf bank_mask:0xf bound_ctrl:1
	;;#ASMEND
	ds_bpermute_b32 v10, v5, v11
	s_waitcnt lgkmcnt(0)
	v_cmp_eq_f32_e32 vcc, v9, v10
	s_ff1_i32_b64 s18, vcc
	s_cmp_lg_u64 vcc, 0
	s_cselect_b32 s18, s18, 0
	s_and_b64 vcc, exec, s[8:9]
	v_readlane_b32 s18, v8, s18
	s_cbranch_vccz .LBB284_14
; %bb.20:                               ;   in Loop: Header=BB284_15 Depth=1
	s_ashr_i32 s19, s18, 31
	s_lshl_b64 s[20:21], s[18:19], 1
	s_add_u32 s20, s10, s20
	s_addc_u32 s21, s11, s21
	global_load_ushort v8, v4, s[20:21]
	s_waitcnt vmcnt(0)
	v_lshlrev_b32_e32 v8, 16, v8
	v_sub_f32_e32 v10, v10, v8
	s_branch .LBB284_14
.LBB284_21:
	v_mov_b32_e32 v2, 0
	v_mov_b32_e32 v1, 0
.LBB284_22:
	v_cmp_gt_i32_e32 vcc, s17, v0
	s_and_saveexec_b64 s[0:1], vcc
	s_cbranch_execz .LBB284_25
; %bb.23:
	s_load_dword s2, s[4:5], 0x34
	s_load_dwordx2 s[0:1], s[4:5], 0x20
	s_ashr_i32 s3, s6, 31
	s_load_dword s4, s[4:5], 0x44
	v_mov_b32_e32 v4, s13
	s_waitcnt lgkmcnt(0)
	v_mul_f32_e32 v2, s2, v2
	s_mul_i32 s1, s6, s1
	s_mul_hi_u32 s2, s6, s0
	s_add_i32 s1, s2, s1
	s_mul_i32 s3, s3, s0
	s_add_i32 s5, s1, s3
	s_mul_i32 s2, s6, s0
	s_and_b32 s3, s4, 0xffff
	s_mov_b64 s[0:1], 0
	v_mov_b32_e32 v3, s5
	v_mov_b32_e32 v5, s15
.LBB284_24:                             ; =>This Inner Loop Header: Depth=1
	v_ashrrev_i32_e32 v7, 31, v0
	v_add_co_u32_e32 v6, vcc, s2, v0
	v_addc_co_u32_e32 v7, vcc, v3, v7, vcc
	v_add_u32_e32 v0, s3, v0
	v_cmp_le_i32_e32 vcc, s17, v0
	v_lshlrev_b64 v[6:7], 2, v[6:7]
	s_or_b64 s[0:1], vcc, s[0:1]
	v_add_co_u32_e32 v8, vcc, s12, v6
	v_addc_co_u32_e32 v9, vcc, v4, v7, vcc
	v_add_co_u32_e32 v6, vcc, s14, v6
	v_addc_co_u32_e32 v7, vcc, v5, v7, vcc
	global_store_dword v[8:9], v2, off
	global_store_dword v[6:7], v1, off
	s_andn2_b64 exec, exec, s[0:1]
	s_cbranch_execnz .LBB284_24
.LBB284_25:
	s_endpgm
	.section	.rodata,"a",@progbits
	.p2align	6, 0x0
	.amdhsa_kernel _ZN5aiter20topk_softplus_kernelI12hip_bfloat16S1_Dv2_fLb0ELi1EEEvPKT_PKT0_PfPimiiif
		.amdhsa_group_segment_fixed_size 0
		.amdhsa_private_segment_fixed_size 0
		.amdhsa_kernarg_size 312
		.amdhsa_user_sgpr_count 6
		.amdhsa_user_sgpr_private_segment_buffer 1
		.amdhsa_user_sgpr_dispatch_ptr 0
		.amdhsa_user_sgpr_queue_ptr 0
		.amdhsa_user_sgpr_kernarg_segment_ptr 1
		.amdhsa_user_sgpr_dispatch_id 0
		.amdhsa_user_sgpr_flat_scratch_init 0
		.amdhsa_user_sgpr_kernarg_preload_length 0
		.amdhsa_user_sgpr_kernarg_preload_offset 0
		.amdhsa_user_sgpr_private_segment_size 0
		.amdhsa_uses_dynamic_stack 0
		.amdhsa_system_sgpr_private_segment_wavefront_offset 0
		.amdhsa_system_sgpr_workgroup_id_x 1
		.amdhsa_system_sgpr_workgroup_id_y 0
		.amdhsa_system_sgpr_workgroup_id_z 0
		.amdhsa_system_sgpr_workgroup_info 0
		.amdhsa_system_vgpr_workitem_id 0
		.amdhsa_next_free_vgpr 16
		.amdhsa_next_free_sgpr 27
		.amdhsa_accum_offset 16
		.amdhsa_reserve_vcc 1
		.amdhsa_reserve_flat_scratch 0
		.amdhsa_float_round_mode_32 0
		.amdhsa_float_round_mode_16_64 0
		.amdhsa_float_denorm_mode_32 3
		.amdhsa_float_denorm_mode_16_64 3
		.amdhsa_dx10_clamp 1
		.amdhsa_ieee_mode 1
		.amdhsa_fp16_overflow 0
		.amdhsa_tg_split 0
		.amdhsa_exception_fp_ieee_invalid_op 0
		.amdhsa_exception_fp_denorm_src 0
		.amdhsa_exception_fp_ieee_div_zero 0
		.amdhsa_exception_fp_ieee_overflow 0
		.amdhsa_exception_fp_ieee_underflow 0
		.amdhsa_exception_fp_ieee_inexact 0
		.amdhsa_exception_int_div_zero 0
	.end_amdhsa_kernel
	.section	.text._ZN5aiter20topk_softplus_kernelI12hip_bfloat16S1_Dv2_fLb0ELi1EEEvPKT_PKT0_PfPimiiif,"axG",@progbits,_ZN5aiter20topk_softplus_kernelI12hip_bfloat16S1_Dv2_fLb0ELi1EEEvPKT_PKT0_PfPimiiif,comdat
.Lfunc_end284:
	.size	_ZN5aiter20topk_softplus_kernelI12hip_bfloat16S1_Dv2_fLb0ELi1EEEvPKT_PKT0_PfPimiiif, .Lfunc_end284-_ZN5aiter20topk_softplus_kernelI12hip_bfloat16S1_Dv2_fLb0ELi1EEEvPKT_PKT0_PfPimiiif
                                        ; -- End function
	.section	.AMDGPU.csdata,"",@progbits
; Kernel info:
; codeLenInByte = 1352
; NumSgprs: 31
; NumVgprs: 16
; NumAgprs: 0
; TotalNumVgprs: 16
; ScratchSize: 0
; MemoryBound: 0
; FloatMode: 240
; IeeeMode: 1
; LDSByteSize: 0 bytes/workgroup (compile time only)
; SGPRBlocks: 3
; VGPRBlocks: 1
; NumSGPRsForWavesPerEU: 31
; NumVGPRsForWavesPerEU: 16
; AccumOffset: 16
; Occupancy: 8
; WaveLimiterHint : 0
; COMPUTE_PGM_RSRC2:SCRATCH_EN: 0
; COMPUTE_PGM_RSRC2:USER_SGPR: 6
; COMPUTE_PGM_RSRC2:TRAP_HANDLER: 0
; COMPUTE_PGM_RSRC2:TGID_X_EN: 1
; COMPUTE_PGM_RSRC2:TGID_Y_EN: 0
; COMPUTE_PGM_RSRC2:TGID_Z_EN: 0
; COMPUTE_PGM_RSRC2:TIDIG_COMP_CNT: 0
; COMPUTE_PGM_RSRC3_GFX90A:ACCUM_OFFSET: 3
; COMPUTE_PGM_RSRC3_GFX90A:TG_SPLIT: 0
	.section	.text._ZN5aiter20topk_softplus_kernelI12hip_bfloat16S1_Dv1_fLb1ELi1EEEvPKT_PKT0_PfPimiiif,"axG",@progbits,_ZN5aiter20topk_softplus_kernelI12hip_bfloat16S1_Dv1_fLb1ELi1EEEvPKT_PKT0_PfPimiiif,comdat
	.protected	_ZN5aiter20topk_softplus_kernelI12hip_bfloat16S1_Dv1_fLb1ELi1EEEvPKT_PKT0_PfPimiiif ; -- Begin function _ZN5aiter20topk_softplus_kernelI12hip_bfloat16S1_Dv1_fLb1ELi1EEEvPKT_PKT0_PfPimiiif
	.globl	_ZN5aiter20topk_softplus_kernelI12hip_bfloat16S1_Dv1_fLb1ELi1EEEvPKT_PKT0_PfPimiiif
	.p2align	8
	.type	_ZN5aiter20topk_softplus_kernelI12hip_bfloat16S1_Dv1_fLb1ELi1EEEvPKT_PKT0_PfPimiiif,@function
_ZN5aiter20topk_softplus_kernelI12hip_bfloat16S1_Dv1_fLb1ELi1EEEvPKT_PKT0_PfPimiiif: ; @_ZN5aiter20topk_softplus_kernelI12hip_bfloat16S1_Dv1_fLb1ELi1EEEvPKT_PKT0_PfPimiiif
; %bb.0:
	s_load_dwordx2 s[16:17], s[4:5], 0x28
	s_load_dwordx8 s[8:15], s[4:5], 0x0
	v_lshl_add_u32 v1, v0, 2, 0
	s_waitcnt lgkmcnt(0)
	s_mul_i32 s2, s6, s16
	s_ashr_i32 s3, s2, 31
	s_lshl_b64 s[2:3], s[2:3], 1
	s_add_u32 s7, s8, s2
	v_cmp_gt_i32_e64 s[0:1], s16, v0
	s_addc_u32 s20, s9, s3
	s_and_saveexec_b64 s[8:9], s[0:1]
	s_cbranch_execz .LBB285_5
; %bb.1:
	s_load_dword s21, s[4:5], 0x44
	s_cmp_lg_u64 s[10:11], 0
	s_cselect_b64 s[2:3], -1, 0
	v_cndmask_b32_e64 v2, 0, 1, s[2:3]
	s_mov_b64 s[18:19], 0
	s_waitcnt lgkmcnt(0)
	s_and_b32 s21, s21, 0xffff
	v_lshl_add_u32 v6, v0, 2, 0
	s_lshl_b32 s22, s21, 2
	v_mov_b32_e32 v7, s20
	s_mov_b32 s23, 0xc2fc0000
	v_mov_b32_e32 v8, 0x42800000
	v_mov_b32_e32 v9, 0x1f800000
	v_cmp_ne_u32_e64 s[2:3], 1, v2
	v_mov_b32_e32 v2, v0
	s_branch .LBB285_3
.LBB285_2:                              ;   in Loop: Header=BB285_3 Depth=1
	v_add_u32_e32 v2, s21, v2
	v_cmp_le_i32_e32 vcc, s16, v2
	ds_write_b32 v6, v3
	s_or_b64 s[18:19], vcc, s[18:19]
	v_add_u32_e32 v6, s22, v6
	s_andn2_b64 exec, exec, s[18:19]
	s_cbranch_execz .LBB285_5
.LBB285_3:                              ; =>This Inner Loop Header: Depth=1
	v_ashrrev_i32_e32 v3, 31, v2
	v_lshlrev_b64 v[4:5], 1, v[2:3]
	v_add_co_u32_e32 v10, vcc, s7, v4
	v_addc_co_u32_e32 v11, vcc, v7, v5, vcc
	global_load_ushort v3, v[10:11], off
	s_waitcnt vmcnt(0)
	v_cvt_f32_u32_e32 v3, v3
	v_mul_f32_e32 v10, 0xbfb8aa3b, v3
	v_cmp_gt_f32_e32 vcc, s23, v10
	v_cndmask_b32_e32 v10, 0, v8, vcc
	v_fmac_f32_e32 v10, 0xbfb8aa3b, v3
	v_exp_f32_e32 v3, v10
	v_cndmask_b32_e32 v10, 1.0, v9, vcc
	s_and_b64 vcc, exec, s[2:3]
	v_fma_f32 v3, v3, v10, 1.0
	v_rcp_f32_e32 v3, v3
	s_cbranch_vccnz .LBB285_2
; %bb.4:                                ;   in Loop: Header=BB285_3 Depth=1
	v_mov_b32_e32 v10, s11
	v_add_co_u32_e32 v4, vcc, s10, v4
	v_addc_co_u32_e32 v5, vcc, v10, v5, vcc
	global_load_ushort v4, v[4:5], off
	s_waitcnt vmcnt(0)
	v_lshlrev_b32_e32 v4, 16, v4
	v_add_f32_e32 v3, v3, v4
	s_branch .LBB285_2
.LBB285_5:
	s_or_b64 exec, exec, s[8:9]
	v_add_u32_e32 v2, s16, v0
	v_cmp_gt_i32_e32 vcc, s16, v2
	s_and_saveexec_b64 s[8:9], vcc
	s_cbranch_execz .LBB285_10
; %bb.6:
	s_load_dword s21, s[4:5], 0x44
	s_cmp_lg_u64 s[10:11], 0
	s_cselect_b64 s[2:3], -1, 0
	v_cndmask_b32_e64 v3, 0, 1, s[2:3]
	s_mov_b64 s[18:19], 0
	s_waitcnt lgkmcnt(0)
	s_and_b32 s21, s21, 0xffff
	v_lshl_add_u32 v6, v2, 2, 0
	s_lshl_b32 s22, s21, 2
	v_mov_b32_e32 v7, s20
	s_mov_b32 s20, 0xc2fc0000
	v_mov_b32_e32 v8, 0x42800000
	v_mov_b32_e32 v9, 0x1f800000
	v_cmp_ne_u32_e64 s[2:3], 1, v3
	s_branch .LBB285_8
.LBB285_7:                              ;   in Loop: Header=BB285_8 Depth=1
	v_add_u32_e32 v2, s21, v2
	v_cmp_le_i32_e32 vcc, s16, v2
	s_or_b64 s[18:19], vcc, s[18:19]
	v_add_u32_e32 v6, s22, v6
	s_andn2_b64 exec, exec, s[18:19]
	s_cbranch_execz .LBB285_10
.LBB285_8:                              ; =>This Inner Loop Header: Depth=1
	v_ashrrev_i32_e32 v3, 31, v2
	v_lshlrev_b64 v[4:5], 1, v[2:3]
	v_add_co_u32_e32 v10, vcc, s7, v4
	v_addc_co_u32_e32 v11, vcc, v7, v5, vcc
	global_load_ushort v3, v[10:11], off
	s_waitcnt vmcnt(0)
	v_lshlrev_b32_e32 v3, 16, v3
	v_mul_f32_e32 v10, 0xbfb8aa3b, v3
	v_cmp_gt_f32_e32 vcc, s20, v10
	v_cndmask_b32_e32 v10, 0, v8, vcc
	v_fmac_f32_e32 v10, 0xbfb8aa3b, v3
	v_exp_f32_e32 v3, v10
	v_cndmask_b32_e32 v10, 1.0, v9, vcc
	s_and_b64 vcc, exec, s[2:3]
	v_fma_f32 v3, v3, v10, 1.0
	v_rcp_f32_e32 v3, v3
	ds_write_b32 v6, v3
	s_cbranch_vccnz .LBB285_7
; %bb.9:                                ;   in Loop: Header=BB285_8 Depth=1
	v_mov_b32_e32 v10, s11
	v_add_co_u32_e32 v4, vcc, s10, v4
	v_addc_co_u32_e32 v5, vcc, v10, v5, vcc
	global_load_ushort v4, v[4:5], off
	s_waitcnt vmcnt(0)
	v_lshlrev_b32_e32 v4, 16, v4
	v_add_f32_e32 v3, v3, v4
	ds_write_b32 v6, v3
	s_branch .LBB285_7
.LBB285_10:
	s_or_b64 exec, exec, s[8:9]
	s_cmp_lt_i32 s17, 1
	v_mov_b32_e32 v3, 0
	s_waitcnt lgkmcnt(0)
	s_barrier
	s_cbranch_scc1 .LBB285_19
; %bb.11:
	s_add_u32 s2, s4, 56
	s_addc_u32 s3, s5, 0
	v_mbcnt_lo_u32_b32 v2, -1, 0
	s_cmp_lg_u64 s[10:11], 0
	v_mbcnt_hi_u32_b32 v2, -1, v2
	v_bfrev_b32_e32 v4, 0.5
	s_cselect_b64 s[8:9], -1, 0
	s_mov_b32 s7, 0
	v_mov_b32_e32 v3, 0
	v_lshl_or_b32 v5, v2, 2, v4
	v_mov_b32_e32 v6, 0
	v_mov_b32_e32 v7, 0xff800000
	;; [unrolled: 1-line block ×4, first 2 shown]
	s_branch .LBB285_13
.LBB285_12:                             ;   in Loop: Header=BB285_13 Depth=1
	s_lshl_b32 s19, s18, 2
	s_add_i32 s19, s19, 0
	v_mov_b32_e32 v8, s19
	ds_write_b32 v8, v7
	v_mov_b32_e32 v8, s18
	v_cmp_eq_u32_e32 vcc, s7, v0
	s_add_i32 s7, s7, 1
	v_cndmask_b32_e32 v2, v2, v8, vcc
	v_cndmask_b32_e32 v3, v3, v10, vcc
	s_cmp_eq_u32 s7, s17
	v_add_f32_e32 v4, v4, v10
	s_cbranch_scc1 .LBB285_20
.LBB285_13:                             ; =>This Loop Header: Depth=1
                                        ;     Child Loop BB285_15 Depth 2
	v_mov_b32_e32 v8, s7
	v_mov_b32_e32 v9, 0xff800000
	s_and_saveexec_b64 s[18:19], s[0:1]
	s_cbranch_execz .LBB285_17
; %bb.14:                               ;   in Loop: Header=BB285_13 Depth=1
	s_load_dword s22, s[2:3], 0xc
	s_mov_b64 s[20:21], 0
	v_mov_b32_e32 v8, s7
	v_mov_b32_e32 v9, 0xff800000
	;; [unrolled: 1-line block ×3, first 2 shown]
	s_waitcnt lgkmcnt(0)
	s_and_b32 s22, s22, 0xffff
	s_lshl_b32 s23, s22, 2
	v_mov_b32_e32 v11, v0
.LBB285_15:                             ;   Parent Loop BB285_13 Depth=1
                                        ; =>  This Inner Loop Header: Depth=2
	ds_read_b32 v12, v10
	v_add_u32_e32 v10, s23, v10
	s_waitcnt lgkmcnt(0)
	v_cmp_gt_f32_e32 vcc, v12, v9
	v_cndmask_b32_e32 v8, v8, v11, vcc
	v_add_u32_e32 v11, s22, v11
	v_cndmask_b32_e32 v9, v9, v12, vcc
	v_cmp_le_i32_e32 vcc, s16, v11
	s_or_b64 s[20:21], vcc, s[20:21]
	s_andn2_b64 exec, exec, s[20:21]
	s_cbranch_execnz .LBB285_15
; %bb.16:                               ;   in Loop: Header=BB285_13 Depth=1
	s_or_b64 exec, exec, s[20:21]
.LBB285_17:                             ;   in Loop: Header=BB285_13 Depth=1
	s_or_b64 exec, exec, s[18:19]
	;;#ASMSTART
	v_max_f32 v10, v9, v9 quad_perm:[1,0,3,2] row_mask:0xf bank_mask:0xf bound_ctrl:1
	;;#ASMEND
	;;#ASMSTART
	v_max_f32 v11, v10, v10 quad_perm:[2,3,0,1] row_mask:0xf bank_mask:0xf bound_ctrl:1
	;;#ASMEND
	;;#ASMSTART
	v_max_f32 v10, v11, v11 row_half_mirror row_mask:0xf bank_mask:0xf bound_ctrl:1
	;;#ASMEND
	;;#ASMSTART
	v_max_f32 v11, v10, v10 row_mirror row_mask:0xf bank_mask:0xf bound_ctrl:1
	;;#ASMEND
	;;#ASMSTART
	v_max_f32 v10, v11, v11 row_ror:4 row_mask:0xf bank_mask:0xf bound_ctrl:1
	;;#ASMEND
	;;#ASMSTART
	v_max_f32 v11, v10, v10 row_ror:8 row_mask:0xf bank_mask:0xf bound_ctrl:1
	;;#ASMEND
	;;#ASMSTART
	v_max_f32 v10, v11, v11 row_bcast:15 row_mask:0xf bank_mask:0xf bound_ctrl:1
	;;#ASMEND
	;;#ASMSTART
	v_max_f32 v11, v10, v10 row_bcast:31 row_mask:0xf bank_mask:0xf bound_ctrl:1
	;;#ASMEND
	ds_bpermute_b32 v10, v5, v11
	s_waitcnt lgkmcnt(0)
	v_cmp_eq_f32_e32 vcc, v9, v10
	s_ff1_i32_b64 s18, vcc
	s_cmp_lg_u64 vcc, 0
	s_cselect_b32 s18, s18, 0
	s_and_b64 vcc, exec, s[8:9]
	v_readlane_b32 s18, v8, s18
	s_cbranch_vccz .LBB285_12
; %bb.18:                               ;   in Loop: Header=BB285_13 Depth=1
	s_ashr_i32 s19, s18, 31
	s_lshl_b64 s[20:21], s[18:19], 1
	s_add_u32 s20, s10, s20
	s_addc_u32 s21, s11, s21
	global_load_ushort v8, v6, s[20:21]
	s_waitcnt vmcnt(0)
	v_lshlrev_b32_e32 v8, 16, v8
	v_sub_f32_e32 v10, v10, v8
	s_branch .LBB285_12
.LBB285_19:
	v_mov_b32_e32 v2, 0
	v_mov_b32_e32 v4, 0
.LBB285_20:
	v_cmp_gt_i32_e32 vcc, s17, v0
	s_and_saveexec_b64 s[0:1], vcc
	s_cbranch_execz .LBB285_23
; %bb.21:
	s_load_dword s2, s[4:5], 0x34
	v_max_f32_e32 v1, v4, v4
	v_max_f32_e32 v1, 0x1e3ce508, v1
	s_load_dword s3, s[4:5], 0x44
	s_waitcnt lgkmcnt(0)
	v_div_scale_f32 v4, s[0:1], v1, v1, s2
	s_load_dwordx2 s[0:1], s[4:5], 0x20
	v_rcp_f32_e32 v5, v4
	v_div_scale_f32 v6, vcc, s2, v1, s2
	s_and_b32 s3, s3, 0xffff
	v_fma_f32 v7, -v4, v5, 1.0
	v_fmac_f32_e32 v5, v7, v5
	v_mul_f32_e32 v7, v6, v5
	v_fma_f32 v8, -v4, v7, v6
	v_fmac_f32_e32 v7, v8, v5
	v_fma_f32 v4, -v4, v7, v6
	v_div_fmas_f32 v4, v4, v5, v7
	v_div_fixup_f32 v1, v4, v1, s2
	s_ashr_i32 s2, s6, 31
	s_waitcnt lgkmcnt(0)
	s_mul_i32 s1, s6, s1
	s_mul_hi_u32 s4, s6, s0
	s_add_i32 s1, s4, s1
	s_mul_i32 s2, s2, s0
	s_add_i32 s4, s1, s2
	v_mul_f32_e32 v1, v3, v1
	s_mul_i32 s2, s6, s0
	s_mov_b64 s[0:1], 0
	v_mov_b32_e32 v3, s4
	v_mov_b32_e32 v4, s13
	;; [unrolled: 1-line block ×3, first 2 shown]
.LBB285_22:                             ; =>This Inner Loop Header: Depth=1
	v_ashrrev_i32_e32 v7, 31, v0
	v_add_co_u32_e32 v6, vcc, s2, v0
	v_addc_co_u32_e32 v7, vcc, v3, v7, vcc
	v_add_u32_e32 v0, s3, v0
	v_cmp_le_i32_e32 vcc, s17, v0
	v_lshlrev_b64 v[6:7], 2, v[6:7]
	s_or_b64 s[0:1], vcc, s[0:1]
	v_add_co_u32_e32 v8, vcc, s12, v6
	v_addc_co_u32_e32 v9, vcc, v4, v7, vcc
	v_add_co_u32_e32 v6, vcc, s14, v6
	v_addc_co_u32_e32 v7, vcc, v5, v7, vcc
	global_store_dword v[8:9], v1, off
	global_store_dword v[6:7], v2, off
	s_andn2_b64 exec, exec, s[0:1]
	s_cbranch_execnz .LBB285_22
.LBB285_23:
	s_endpgm
	.section	.rodata,"a",@progbits
	.p2align	6, 0x0
	.amdhsa_kernel _ZN5aiter20topk_softplus_kernelI12hip_bfloat16S1_Dv1_fLb1ELi1EEEvPKT_PKT0_PfPimiiif
		.amdhsa_group_segment_fixed_size 0
		.amdhsa_private_segment_fixed_size 0
		.amdhsa_kernarg_size 312
		.amdhsa_user_sgpr_count 6
		.amdhsa_user_sgpr_private_segment_buffer 1
		.amdhsa_user_sgpr_dispatch_ptr 0
		.amdhsa_user_sgpr_queue_ptr 0
		.amdhsa_user_sgpr_kernarg_segment_ptr 1
		.amdhsa_user_sgpr_dispatch_id 0
		.amdhsa_user_sgpr_flat_scratch_init 0
		.amdhsa_user_sgpr_kernarg_preload_length 0
		.amdhsa_user_sgpr_kernarg_preload_offset 0
		.amdhsa_user_sgpr_private_segment_size 0
		.amdhsa_uses_dynamic_stack 0
		.amdhsa_system_sgpr_private_segment_wavefront_offset 0
		.amdhsa_system_sgpr_workgroup_id_x 1
		.amdhsa_system_sgpr_workgroup_id_y 0
		.amdhsa_system_sgpr_workgroup_id_z 0
		.amdhsa_system_sgpr_workgroup_info 0
		.amdhsa_system_vgpr_workitem_id 0
		.amdhsa_next_free_vgpr 13
		.amdhsa_next_free_sgpr 24
		.amdhsa_accum_offset 16
		.amdhsa_reserve_vcc 1
		.amdhsa_reserve_flat_scratch 0
		.amdhsa_float_round_mode_32 0
		.amdhsa_float_round_mode_16_64 0
		.amdhsa_float_denorm_mode_32 3
		.amdhsa_float_denorm_mode_16_64 3
		.amdhsa_dx10_clamp 1
		.amdhsa_ieee_mode 1
		.amdhsa_fp16_overflow 0
		.amdhsa_tg_split 0
		.amdhsa_exception_fp_ieee_invalid_op 0
		.amdhsa_exception_fp_denorm_src 0
		.amdhsa_exception_fp_ieee_div_zero 0
		.amdhsa_exception_fp_ieee_overflow 0
		.amdhsa_exception_fp_ieee_underflow 0
		.amdhsa_exception_fp_ieee_inexact 0
		.amdhsa_exception_int_div_zero 0
	.end_amdhsa_kernel
	.section	.text._ZN5aiter20topk_softplus_kernelI12hip_bfloat16S1_Dv1_fLb1ELi1EEEvPKT_PKT0_PfPimiiif,"axG",@progbits,_ZN5aiter20topk_softplus_kernelI12hip_bfloat16S1_Dv1_fLb1ELi1EEEvPKT_PKT0_PfPimiiif,comdat
.Lfunc_end285:
	.size	_ZN5aiter20topk_softplus_kernelI12hip_bfloat16S1_Dv1_fLb1ELi1EEEvPKT_PKT0_PfPimiiif, .Lfunc_end285-_ZN5aiter20topk_softplus_kernelI12hip_bfloat16S1_Dv1_fLb1ELi1EEEvPKT_PKT0_PfPimiiif
                                        ; -- End function
	.section	.AMDGPU.csdata,"",@progbits
; Kernel info:
; codeLenInByte = 1284
; NumSgprs: 28
; NumVgprs: 13
; NumAgprs: 0
; TotalNumVgprs: 13
; ScratchSize: 0
; MemoryBound: 0
; FloatMode: 240
; IeeeMode: 1
; LDSByteSize: 0 bytes/workgroup (compile time only)
; SGPRBlocks: 3
; VGPRBlocks: 1
; NumSGPRsForWavesPerEU: 28
; NumVGPRsForWavesPerEU: 13
; AccumOffset: 16
; Occupancy: 8
; WaveLimiterHint : 0
; COMPUTE_PGM_RSRC2:SCRATCH_EN: 0
; COMPUTE_PGM_RSRC2:USER_SGPR: 6
; COMPUTE_PGM_RSRC2:TRAP_HANDLER: 0
; COMPUTE_PGM_RSRC2:TGID_X_EN: 1
; COMPUTE_PGM_RSRC2:TGID_Y_EN: 0
; COMPUTE_PGM_RSRC2:TGID_Z_EN: 0
; COMPUTE_PGM_RSRC2:TIDIG_COMP_CNT: 0
; COMPUTE_PGM_RSRC3_GFX90A:ACCUM_OFFSET: 3
; COMPUTE_PGM_RSRC3_GFX90A:TG_SPLIT: 0
	.section	.text._ZN5aiter20topk_softplus_kernelI12hip_bfloat16S1_Dv1_fLb0ELi1EEEvPKT_PKT0_PfPimiiif,"axG",@progbits,_ZN5aiter20topk_softplus_kernelI12hip_bfloat16S1_Dv1_fLb0ELi1EEEvPKT_PKT0_PfPimiiif,comdat
	.protected	_ZN5aiter20topk_softplus_kernelI12hip_bfloat16S1_Dv1_fLb0ELi1EEEvPKT_PKT0_PfPimiiif ; -- Begin function _ZN5aiter20topk_softplus_kernelI12hip_bfloat16S1_Dv1_fLb0ELi1EEEvPKT_PKT0_PfPimiiif
	.globl	_ZN5aiter20topk_softplus_kernelI12hip_bfloat16S1_Dv1_fLb0ELi1EEEvPKT_PKT0_PfPimiiif
	.p2align	8
	.type	_ZN5aiter20topk_softplus_kernelI12hip_bfloat16S1_Dv1_fLb0ELi1EEEvPKT_PKT0_PfPimiiif,@function
_ZN5aiter20topk_softplus_kernelI12hip_bfloat16S1_Dv1_fLb0ELi1EEEvPKT_PKT0_PfPimiiif: ; @_ZN5aiter20topk_softplus_kernelI12hip_bfloat16S1_Dv1_fLb0ELi1EEEvPKT_PKT0_PfPimiiif
; %bb.0:
	s_load_dwordx2 s[16:17], s[4:5], 0x28
	s_load_dwordx8 s[8:15], s[4:5], 0x0
	v_lshl_add_u32 v1, v0, 2, 0
	s_waitcnt lgkmcnt(0)
	s_mul_i32 s2, s6, s16
	s_ashr_i32 s3, s2, 31
	s_lshl_b64 s[2:3], s[2:3], 1
	s_add_u32 s7, s8, s2
	v_cmp_gt_i32_e64 s[0:1], s16, v0
	s_addc_u32 s20, s9, s3
	s_and_saveexec_b64 s[8:9], s[0:1]
	s_cbranch_execz .LBB286_5
; %bb.1:
	s_load_dword s21, s[4:5], 0x44
	s_cmp_lg_u64 s[10:11], 0
	s_cselect_b64 s[2:3], -1, 0
	v_cndmask_b32_e64 v2, 0, 1, s[2:3]
	s_mov_b64 s[18:19], 0
	s_waitcnt lgkmcnt(0)
	s_and_b32 s21, s21, 0xffff
	v_lshl_add_u32 v6, v0, 2, 0
	s_lshl_b32 s22, s21, 2
	v_mov_b32_e32 v7, s20
	s_mov_b32 s23, 0xc2fc0000
	v_mov_b32_e32 v8, 0x42800000
	v_mov_b32_e32 v9, 0x1f800000
	v_cmp_ne_u32_e64 s[2:3], 1, v2
	v_mov_b32_e32 v2, v0
	s_branch .LBB286_3
.LBB286_2:                              ;   in Loop: Header=BB286_3 Depth=1
	v_add_u32_e32 v2, s21, v2
	v_cmp_le_i32_e32 vcc, s16, v2
	ds_write_b32 v6, v3
	s_or_b64 s[18:19], vcc, s[18:19]
	v_add_u32_e32 v6, s22, v6
	s_andn2_b64 exec, exec, s[18:19]
	s_cbranch_execz .LBB286_5
.LBB286_3:                              ; =>This Inner Loop Header: Depth=1
	v_ashrrev_i32_e32 v3, 31, v2
	v_lshlrev_b64 v[4:5], 1, v[2:3]
	v_add_co_u32_e32 v10, vcc, s7, v4
	v_addc_co_u32_e32 v11, vcc, v7, v5, vcc
	global_load_ushort v3, v[10:11], off
	s_waitcnt vmcnt(0)
	v_cvt_f32_u32_e32 v3, v3
	v_mul_f32_e32 v10, 0xbfb8aa3b, v3
	v_cmp_gt_f32_e32 vcc, s23, v10
	v_cndmask_b32_e32 v10, 0, v8, vcc
	v_fmac_f32_e32 v10, 0xbfb8aa3b, v3
	v_exp_f32_e32 v3, v10
	v_cndmask_b32_e32 v10, 1.0, v9, vcc
	s_and_b64 vcc, exec, s[2:3]
	v_fma_f32 v3, v3, v10, 1.0
	v_rcp_f32_e32 v3, v3
	s_cbranch_vccnz .LBB286_2
; %bb.4:                                ;   in Loop: Header=BB286_3 Depth=1
	v_mov_b32_e32 v10, s11
	v_add_co_u32_e32 v4, vcc, s10, v4
	v_addc_co_u32_e32 v5, vcc, v10, v5, vcc
	global_load_ushort v4, v[4:5], off
	s_waitcnt vmcnt(0)
	v_lshlrev_b32_e32 v4, 16, v4
	v_add_f32_e32 v3, v3, v4
	s_branch .LBB286_2
.LBB286_5:
	s_or_b64 exec, exec, s[8:9]
	v_add_u32_e32 v2, s16, v0
	v_cmp_gt_i32_e32 vcc, s16, v2
	s_and_saveexec_b64 s[8:9], vcc
	s_cbranch_execz .LBB286_10
; %bb.6:
	s_load_dword s21, s[4:5], 0x44
	s_cmp_lg_u64 s[10:11], 0
	s_cselect_b64 s[2:3], -1, 0
	v_cndmask_b32_e64 v3, 0, 1, s[2:3]
	s_mov_b64 s[18:19], 0
	s_waitcnt lgkmcnt(0)
	s_and_b32 s21, s21, 0xffff
	v_lshl_add_u32 v6, v2, 2, 0
	s_lshl_b32 s22, s21, 2
	v_mov_b32_e32 v7, s20
	s_mov_b32 s20, 0xc2fc0000
	v_mov_b32_e32 v8, 0x42800000
	v_mov_b32_e32 v9, 0x1f800000
	v_cmp_ne_u32_e64 s[2:3], 1, v3
	s_branch .LBB286_8
.LBB286_7:                              ;   in Loop: Header=BB286_8 Depth=1
	v_add_u32_e32 v2, s21, v2
	v_cmp_le_i32_e32 vcc, s16, v2
	s_or_b64 s[18:19], vcc, s[18:19]
	v_add_u32_e32 v6, s22, v6
	s_andn2_b64 exec, exec, s[18:19]
	s_cbranch_execz .LBB286_10
.LBB286_8:                              ; =>This Inner Loop Header: Depth=1
	v_ashrrev_i32_e32 v3, 31, v2
	v_lshlrev_b64 v[4:5], 1, v[2:3]
	v_add_co_u32_e32 v10, vcc, s7, v4
	v_addc_co_u32_e32 v11, vcc, v7, v5, vcc
	global_load_ushort v3, v[10:11], off
	s_waitcnt vmcnt(0)
	v_lshlrev_b32_e32 v3, 16, v3
	v_mul_f32_e32 v10, 0xbfb8aa3b, v3
	v_cmp_gt_f32_e32 vcc, s20, v10
	v_cndmask_b32_e32 v10, 0, v8, vcc
	v_fmac_f32_e32 v10, 0xbfb8aa3b, v3
	v_exp_f32_e32 v3, v10
	v_cndmask_b32_e32 v10, 1.0, v9, vcc
	s_and_b64 vcc, exec, s[2:3]
	v_fma_f32 v3, v3, v10, 1.0
	v_rcp_f32_e32 v3, v3
	ds_write_b32 v6, v3
	s_cbranch_vccnz .LBB286_7
; %bb.9:                                ;   in Loop: Header=BB286_8 Depth=1
	v_mov_b32_e32 v10, s11
	v_add_co_u32_e32 v4, vcc, s10, v4
	v_addc_co_u32_e32 v5, vcc, v10, v5, vcc
	global_load_ushort v4, v[4:5], off
	s_waitcnt vmcnt(0)
	v_lshlrev_b32_e32 v4, 16, v4
	v_add_f32_e32 v3, v3, v4
	ds_write_b32 v6, v3
	s_branch .LBB286_7
.LBB286_10:
	s_or_b64 exec, exec, s[8:9]
	s_cmp_lt_i32 s17, 1
	s_waitcnt lgkmcnt(0)
	s_barrier
	s_cbranch_scc1 .LBB286_19
; %bb.11:
	s_add_u32 s2, s4, 56
	s_addc_u32 s3, s5, 0
	v_mbcnt_lo_u32_b32 v3, -1, 0
	s_cmp_lg_u64 s[10:11], 0
	v_mbcnt_hi_u32_b32 v3, -1, v3
	v_bfrev_b32_e32 v5, 0.5
	s_cselect_b64 s[8:9], -1, 0
	s_mov_b32 s7, 0
	v_mov_b32_e32 v2, 0
	v_mov_b32_e32 v4, 0
	v_lshl_or_b32 v5, v3, 2, v5
	v_mov_b32_e32 v6, 0xff800000
	v_mov_b32_e32 v3, 0
	s_branch .LBB286_13
.LBB286_12:                             ;   in Loop: Header=BB286_13 Depth=1
	s_lshl_b32 s19, s18, 2
	s_add_i32 s19, s19, 0
	v_mov_b32_e32 v7, s19
	ds_write_b32 v7, v6
	v_mov_b32_e32 v7, s18
	v_cmp_eq_u32_e32 vcc, s7, v0
	s_add_i32 s7, s7, 1
	v_cndmask_b32_e32 v2, v2, v7, vcc
	s_cmp_eq_u32 s7, s17
	v_cndmask_b32_e32 v3, v3, v9, vcc
	s_cbranch_scc1 .LBB286_20
.LBB286_13:                             ; =>This Loop Header: Depth=1
                                        ;     Child Loop BB286_15 Depth 2
	v_mov_b32_e32 v7, s7
	v_mov_b32_e32 v8, 0xff800000
	s_and_saveexec_b64 s[18:19], s[0:1]
	s_cbranch_execz .LBB286_17
; %bb.14:                               ;   in Loop: Header=BB286_13 Depth=1
	s_load_dword s22, s[2:3], 0xc
	s_mov_b64 s[20:21], 0
	v_mov_b32_e32 v7, s7
	v_mov_b32_e32 v8, 0xff800000
	;; [unrolled: 1-line block ×3, first 2 shown]
	s_waitcnt lgkmcnt(0)
	s_and_b32 s22, s22, 0xffff
	s_lshl_b32 s23, s22, 2
	v_mov_b32_e32 v10, v0
.LBB286_15:                             ;   Parent Loop BB286_13 Depth=1
                                        ; =>  This Inner Loop Header: Depth=2
	ds_read_b32 v11, v9
	v_add_u32_e32 v9, s23, v9
	s_waitcnt lgkmcnt(0)
	v_cmp_gt_f32_e32 vcc, v11, v8
	v_cndmask_b32_e32 v7, v7, v10, vcc
	v_add_u32_e32 v10, s22, v10
	v_cndmask_b32_e32 v8, v8, v11, vcc
	v_cmp_le_i32_e32 vcc, s16, v10
	s_or_b64 s[20:21], vcc, s[20:21]
	s_andn2_b64 exec, exec, s[20:21]
	s_cbranch_execnz .LBB286_15
; %bb.16:                               ;   in Loop: Header=BB286_13 Depth=1
	s_or_b64 exec, exec, s[20:21]
.LBB286_17:                             ;   in Loop: Header=BB286_13 Depth=1
	s_or_b64 exec, exec, s[18:19]
	;;#ASMSTART
	v_max_f32 v9, v8, v8 quad_perm:[1,0,3,2] row_mask:0xf bank_mask:0xf bound_ctrl:1
	;;#ASMEND
	;;#ASMSTART
	v_max_f32 v10, v9, v9 quad_perm:[2,3,0,1] row_mask:0xf bank_mask:0xf bound_ctrl:1
	;;#ASMEND
	;;#ASMSTART
	v_max_f32 v9, v10, v10 row_half_mirror row_mask:0xf bank_mask:0xf bound_ctrl:1
	;;#ASMEND
	;;#ASMSTART
	v_max_f32 v10, v9, v9 row_mirror row_mask:0xf bank_mask:0xf bound_ctrl:1
	;;#ASMEND
	;;#ASMSTART
	v_max_f32 v9, v10, v10 row_ror:4 row_mask:0xf bank_mask:0xf bound_ctrl:1
	;;#ASMEND
	;;#ASMSTART
	v_max_f32 v10, v9, v9 row_ror:8 row_mask:0xf bank_mask:0xf bound_ctrl:1
	;;#ASMEND
	;;#ASMSTART
	v_max_f32 v9, v10, v10 row_bcast:15 row_mask:0xf bank_mask:0xf bound_ctrl:1
	;;#ASMEND
	;;#ASMSTART
	v_max_f32 v10, v9, v9 row_bcast:31 row_mask:0xf bank_mask:0xf bound_ctrl:1
	;;#ASMEND
	ds_bpermute_b32 v9, v5, v10
	s_waitcnt lgkmcnt(0)
	v_cmp_eq_f32_e32 vcc, v8, v9
	s_ff1_i32_b64 s18, vcc
	s_cmp_lg_u64 vcc, 0
	s_cselect_b32 s18, s18, 0
	s_and_b64 vcc, exec, s[8:9]
	v_readlane_b32 s18, v7, s18
	s_cbranch_vccz .LBB286_12
; %bb.18:                               ;   in Loop: Header=BB286_13 Depth=1
	s_ashr_i32 s19, s18, 31
	s_lshl_b64 s[20:21], s[18:19], 1
	s_add_u32 s20, s10, s20
	s_addc_u32 s21, s11, s21
	global_load_ushort v7, v4, s[20:21]
	s_waitcnt vmcnt(0)
	v_lshlrev_b32_e32 v7, 16, v7
	v_sub_f32_e32 v9, v9, v7
	s_branch .LBB286_12
.LBB286_19:
	v_mov_b32_e32 v3, 0
	v_mov_b32_e32 v2, 0
.LBB286_20:
	v_cmp_gt_i32_e32 vcc, s17, v0
	s_and_saveexec_b64 s[0:1], vcc
	s_cbranch_execz .LBB286_23
; %bb.21:
	s_load_dword s2, s[4:5], 0x34
	s_load_dwordx2 s[0:1], s[4:5], 0x20
	s_ashr_i32 s3, s6, 31
	s_load_dword s4, s[4:5], 0x44
	v_mov_b32_e32 v4, s13
	s_waitcnt lgkmcnt(0)
	v_mul_f32_e32 v1, s2, v3
	s_mul_i32 s1, s6, s1
	s_mul_hi_u32 s2, s6, s0
	s_add_i32 s1, s2, s1
	s_mul_i32 s3, s3, s0
	s_add_i32 s5, s1, s3
	s_mul_i32 s2, s6, s0
	s_and_b32 s3, s4, 0xffff
	s_mov_b64 s[0:1], 0
	v_mov_b32_e32 v3, s5
	v_mov_b32_e32 v5, s15
.LBB286_22:                             ; =>This Inner Loop Header: Depth=1
	v_ashrrev_i32_e32 v7, 31, v0
	v_add_co_u32_e32 v6, vcc, s2, v0
	v_addc_co_u32_e32 v7, vcc, v3, v7, vcc
	v_add_u32_e32 v0, s3, v0
	v_cmp_le_i32_e32 vcc, s17, v0
	v_lshlrev_b64 v[6:7], 2, v[6:7]
	s_or_b64 s[0:1], vcc, s[0:1]
	v_add_co_u32_e32 v8, vcc, s12, v6
	v_addc_co_u32_e32 v9, vcc, v4, v7, vcc
	v_add_co_u32_e32 v6, vcc, s14, v6
	v_addc_co_u32_e32 v7, vcc, v5, v7, vcc
	global_store_dword v[8:9], v1, off
	global_store_dword v[6:7], v2, off
	s_andn2_b64 exec, exec, s[0:1]
	s_cbranch_execnz .LBB286_22
.LBB286_23:
	s_endpgm
	.section	.rodata,"a",@progbits
	.p2align	6, 0x0
	.amdhsa_kernel _ZN5aiter20topk_softplus_kernelI12hip_bfloat16S1_Dv1_fLb0ELi1EEEvPKT_PKT0_PfPimiiif
		.amdhsa_group_segment_fixed_size 0
		.amdhsa_private_segment_fixed_size 0
		.amdhsa_kernarg_size 312
		.amdhsa_user_sgpr_count 6
		.amdhsa_user_sgpr_private_segment_buffer 1
		.amdhsa_user_sgpr_dispatch_ptr 0
		.amdhsa_user_sgpr_queue_ptr 0
		.amdhsa_user_sgpr_kernarg_segment_ptr 1
		.amdhsa_user_sgpr_dispatch_id 0
		.amdhsa_user_sgpr_flat_scratch_init 0
		.amdhsa_user_sgpr_kernarg_preload_length 0
		.amdhsa_user_sgpr_kernarg_preload_offset 0
		.amdhsa_user_sgpr_private_segment_size 0
		.amdhsa_uses_dynamic_stack 0
		.amdhsa_system_sgpr_private_segment_wavefront_offset 0
		.amdhsa_system_sgpr_workgroup_id_x 1
		.amdhsa_system_sgpr_workgroup_id_y 0
		.amdhsa_system_sgpr_workgroup_id_z 0
		.amdhsa_system_sgpr_workgroup_info 0
		.amdhsa_system_vgpr_workitem_id 0
		.amdhsa_next_free_vgpr 12
		.amdhsa_next_free_sgpr 24
		.amdhsa_accum_offset 12
		.amdhsa_reserve_vcc 1
		.amdhsa_reserve_flat_scratch 0
		.amdhsa_float_round_mode_32 0
		.amdhsa_float_round_mode_16_64 0
		.amdhsa_float_denorm_mode_32 3
		.amdhsa_float_denorm_mode_16_64 3
		.amdhsa_dx10_clamp 1
		.amdhsa_ieee_mode 1
		.amdhsa_fp16_overflow 0
		.amdhsa_tg_split 0
		.amdhsa_exception_fp_ieee_invalid_op 0
		.amdhsa_exception_fp_denorm_src 0
		.amdhsa_exception_fp_ieee_div_zero 0
		.amdhsa_exception_fp_ieee_overflow 0
		.amdhsa_exception_fp_ieee_underflow 0
		.amdhsa_exception_fp_ieee_inexact 0
		.amdhsa_exception_int_div_zero 0
	.end_amdhsa_kernel
	.section	.text._ZN5aiter20topk_softplus_kernelI12hip_bfloat16S1_Dv1_fLb0ELi1EEEvPKT_PKT0_PfPimiiif,"axG",@progbits,_ZN5aiter20topk_softplus_kernelI12hip_bfloat16S1_Dv1_fLb0ELi1EEEvPKT_PKT0_PfPimiiif,comdat
.Lfunc_end286:
	.size	_ZN5aiter20topk_softplus_kernelI12hip_bfloat16S1_Dv1_fLb0ELi1EEEvPKT_PKT0_PfPimiiif, .Lfunc_end286-_ZN5aiter20topk_softplus_kernelI12hip_bfloat16S1_Dv1_fLb0ELi1EEEvPKT_PKT0_PfPimiiif
                                        ; -- End function
	.section	.AMDGPU.csdata,"",@progbits
; Kernel info:
; codeLenInByte = 1184
; NumSgprs: 28
; NumVgprs: 12
; NumAgprs: 0
; TotalNumVgprs: 12
; ScratchSize: 0
; MemoryBound: 0
; FloatMode: 240
; IeeeMode: 1
; LDSByteSize: 0 bytes/workgroup (compile time only)
; SGPRBlocks: 3
; VGPRBlocks: 1
; NumSGPRsForWavesPerEU: 28
; NumVGPRsForWavesPerEU: 12
; AccumOffset: 12
; Occupancy: 8
; WaveLimiterHint : 0
; COMPUTE_PGM_RSRC2:SCRATCH_EN: 0
; COMPUTE_PGM_RSRC2:USER_SGPR: 6
; COMPUTE_PGM_RSRC2:TRAP_HANDLER: 0
; COMPUTE_PGM_RSRC2:TGID_X_EN: 1
; COMPUTE_PGM_RSRC2:TGID_Y_EN: 0
; COMPUTE_PGM_RSRC2:TGID_Z_EN: 0
; COMPUTE_PGM_RSRC2:TIDIG_COMP_CNT: 0
; COMPUTE_PGM_RSRC3_GFX90A:ACCUM_OFFSET: 2
; COMPUTE_PGM_RSRC3_GFX90A:TG_SPLIT: 0
	.section	.text._ZN5aiter20topk_softplus_kernelI12hip_bfloat16S1_Dv4_fLb1ELi2EEEvPKT_PKT0_PfPimiiif,"axG",@progbits,_ZN5aiter20topk_softplus_kernelI12hip_bfloat16S1_Dv4_fLb1ELi2EEEvPKT_PKT0_PfPimiiif,comdat
	.protected	_ZN5aiter20topk_softplus_kernelI12hip_bfloat16S1_Dv4_fLb1ELi2EEEvPKT_PKT0_PfPimiiif ; -- Begin function _ZN5aiter20topk_softplus_kernelI12hip_bfloat16S1_Dv4_fLb1ELi2EEEvPKT_PKT0_PfPimiiif
	.globl	_ZN5aiter20topk_softplus_kernelI12hip_bfloat16S1_Dv4_fLb1ELi2EEEvPKT_PKT0_PfPimiiif
	.p2align	8
	.type	_ZN5aiter20topk_softplus_kernelI12hip_bfloat16S1_Dv4_fLb1ELi2EEEvPKT_PKT0_PfPimiiif,@function
_ZN5aiter20topk_softplus_kernelI12hip_bfloat16S1_Dv4_fLb1ELi2EEEvPKT_PKT0_PfPimiiif: ; @_ZN5aiter20topk_softplus_kernelI12hip_bfloat16S1_Dv4_fLb1ELi2EEEvPKT_PKT0_PfPimiiif
; %bb.0:
	s_load_dwordx2 s[16:17], s[4:5], 0x28
	s_load_dwordx8 s[8:15], s[4:5], 0x0
	v_lshl_add_u32 v1, v0, 4, 0
	s_waitcnt lgkmcnt(0)
	s_ashr_i32 s0, s16, 31
	s_lshr_b32 s0, s0, 30
	s_add_i32 s0, s16, s0
	s_mul_i32 s2, s6, s16
	s_ashr_i32 s7, s0, 2
	s_ashr_i32 s3, s2, 31
	v_cmp_gt_i32_e64 s[0:1], s7, v0
	s_and_saveexec_b64 s[18:19], s[0:1]
	s_cbranch_execz .LBB287_3
; %bb.1:
	s_load_dword s22, s[4:5], 0x44
	s_lshl_b64 s[20:21], s[2:3], 1
	v_lshlrev_b32_e32 v2, 3, v0
	s_mov_b32 s25, 0
	v_lshl_add_u32 v4, v0, 4, 0
	s_waitcnt lgkmcnt(0)
	s_and_b32 s22, s22, 0xffff
	s_add_u32 s20, s8, s20
	s_addc_u32 s21, s9, s21
	v_mov_b32_e32 v3, s21
	v_add_co_u32_e32 v2, vcc, s20, v2
	v_addc_co_u32_e32 v3, vcc, 0, v3, vcc
	s_lshl_b32 s23, s22, 3
	s_lshl_b32 s24, s22, 4
	s_mov_b64 s[20:21], 0
	v_mov_b32_e32 v5, s25
	v_mov_b32_e32 v6, v0
.LBB287_2:                              ; =>This Inner Loop Header: Depth=1
	global_load_dwordx2 v[12:13], v[2:3], off
	v_add_co_u32_e32 v2, vcc, s23, v2
	v_add_u32_e32 v6, s22, v6
	v_addc_co_u32_e32 v3, vcc, v3, v5, vcc
	v_cmp_le_i32_e32 vcc, s7, v6
	s_or_b64 s[20:21], vcc, s[20:21]
	s_waitcnt vmcnt(0)
	v_cvt_f32_u32_sdwa v9, v12 dst_sel:DWORD dst_unused:UNUSED_PAD src0_sel:WORD_1
	v_cvt_f32_u32_sdwa v8, v12 dst_sel:DWORD dst_unused:UNUSED_PAD src0_sel:WORD_0
	v_cvt_f32_u32_sdwa v11, v13 dst_sel:DWORD dst_unused:UNUSED_PAD src0_sel:WORD_1
	v_cvt_f32_u32_sdwa v10, v13 dst_sel:DWORD dst_unused:UNUSED_PAD src0_sel:WORD_0
	ds_write_b128 v4, v[8:11]
	v_add_u32_e32 v4, s24, v4
	s_andn2_b64 exec, exec, s[20:21]
	s_cbranch_execnz .LBB287_2
.LBB287_3:
	s_or_b64 exec, exec, s[18:19]
	v_lshl_add_u32 v2, s7, 2, v0
	v_cmp_gt_i32_e32 vcc, s16, v2
	s_and_saveexec_b64 s[18:19], vcc
	s_cbranch_execz .LBB287_6
; %bb.4:
	s_load_dword s20, s[4:5], 0x44
	s_lshl_b64 s[2:3], s[2:3], 1
	s_add_u32 s8, s8, s2
	s_addc_u32 s21, s9, s3
	s_lshl_b32 s2, s7, 4
	s_waitcnt lgkmcnt(0)
	s_and_b32 s9, s20, 0xffff
	s_add_i32 s2, s2, 0
	v_lshl_add_u32 v4, v0, 2, s2
	s_lshl_b32 s20, s9, 2
	s_mov_b64 s[2:3], 0
	v_mov_b32_e32 v5, s21
.LBB287_5:                              ; =>This Inner Loop Header: Depth=1
	v_ashrrev_i32_e32 v3, 31, v2
	v_lshlrev_b64 v[6:7], 1, v[2:3]
	v_add_co_u32_e32 v6, vcc, s8, v6
	v_addc_co_u32_e32 v7, vcc, v5, v7, vcc
	global_load_ushort v3, v[6:7], off
	v_add_u32_e32 v2, s9, v2
	v_cmp_le_i32_e32 vcc, s16, v2
	s_or_b64 s[2:3], vcc, s[2:3]
	s_waitcnt vmcnt(0)
	v_lshlrev_b32_e32 v3, 16, v3
	ds_write_b32 v4, v3
	v_add_u32_e32 v4, s20, v4
	s_andn2_b64 exec, exec, s[2:3]
	s_cbranch_execnz .LBB287_5
.LBB287_6:
	s_or_b64 exec, exec, s[18:19]
	v_cmp_gt_i32_e32 vcc, s16, v0
	v_mov_b32_e32 v2, 0xff800000
	s_waitcnt lgkmcnt(0)
	s_barrier
	s_and_saveexec_b64 s[8:9], vcc
	s_cbranch_execz .LBB287_10
; %bb.7:
	s_load_dword s2, s[4:5], 0x44
	v_lshl_add_u32 v3, v0, 2, 0
	s_mov_b64 s[18:19], 0
	v_mov_b32_e32 v2, 0xff800000
	v_mov_b32_e32 v4, v0
	s_waitcnt lgkmcnt(0)
	s_and_b32 s20, s2, 0xffff
	s_lshl_b32 s21, s20, 2
.LBB287_8:                              ; =>This Inner Loop Header: Depth=1
	ds_read_b32 v5, v3
	v_add_u32_e32 v4, s20, v4
	v_max_f32_e32 v2, v2, v2
	v_cmp_le_i32_e64 s[2:3], s16, v4
	v_add_u32_e32 v3, s21, v3
	s_waitcnt lgkmcnt(0)
	v_max_f32_e32 v5, v5, v5
	s_or_b64 s[18:19], s[2:3], s[18:19]
	v_max_f32_e32 v2, v2, v5
	s_andn2_b64 exec, exec, s[18:19]
	s_cbranch_execnz .LBB287_8
; %bb.9:
	s_or_b64 exec, exec, s[18:19]
.LBB287_10:
	s_or_b64 exec, exec, s[8:9]
	;;#ASMSTART
	v_max_f32 v3, v2, v2 quad_perm:[1,0,3,2] row_mask:0xf bank_mask:0xf bound_ctrl:1
	;;#ASMEND
	;;#ASMSTART
	v_max_f32 v2, v3, v3 quad_perm:[2,3,0,1] row_mask:0xf bank_mask:0xf bound_ctrl:1
	;;#ASMEND
	;;#ASMSTART
	v_max_f32 v3, v2, v2 row_half_mirror row_mask:0xf bank_mask:0xf bound_ctrl:1
	;;#ASMEND
	;;#ASMSTART
	v_max_f32 v2, v3, v3 row_mirror row_mask:0xf bank_mask:0xf bound_ctrl:1
	;;#ASMEND
	;;#ASMSTART
	v_max_f32 v3, v2, v2 row_ror:4 row_mask:0xf bank_mask:0xf bound_ctrl:1
	;;#ASMEND
	;;#ASMSTART
	v_max_f32 v2, v3, v3 row_ror:8 row_mask:0xf bank_mask:0xf bound_ctrl:1
	;;#ASMEND
	;;#ASMSTART
	v_max_f32 v3, v2, v2 row_bcast:15 row_mask:0xf bank_mask:0xf bound_ctrl:1
	;;#ASMEND
	;;#ASMSTART
	v_max_f32 v2, v3, v3 row_bcast:31 row_mask:0xf bank_mask:0xf bound_ctrl:1
	;;#ASMEND
	v_mbcnt_lo_u32_b32 v3, -1, 0
	v_mbcnt_hi_u32_b32 v3, -1, v3
	v_bfrev_b32_e32 v4, 0.5
	v_lshl_or_b32 v4, v3, 2, v4
	ds_bpermute_b32 v3, v4, v2
	v_mov_b32_e32 v2, 0
	s_and_saveexec_b64 s[18:19], vcc
	s_cbranch_execz .LBB287_14
; %bb.11:
	s_load_dword s2, s[4:5], 0x44
	v_lshl_add_u32 v5, v0, 2, 0
	s_mov_b64 s[20:21], 0
	v_mov_b32_e32 v2, 0
	s_mov_b32 s22, 0xc2fc0000
	s_waitcnt lgkmcnt(0)
	s_and_b32 s23, s2, 0xffff
	s_lshl_b32 s24, s23, 2
	v_mov_b32_e32 v6, 0x42800000
	v_mov_b32_e32 v7, 0x1f800000
	;; [unrolled: 1-line block ×3, first 2 shown]
.LBB287_12:                             ; =>This Inner Loop Header: Depth=1
	ds_read_b32 v9, v5
	v_add_u32_e32 v8, s23, v8
	v_cmp_le_i32_e64 s[8:9], s16, v8
	s_or_b64 s[20:21], s[8:9], s[20:21]
	s_waitcnt lgkmcnt(0)
	v_sub_f32_e32 v9, v9, v3
	v_mul_f32_e32 v10, 0x3fb8aa3b, v9
	v_cmp_gt_f32_e64 s[2:3], s22, v10
	v_cndmask_b32_e64 v10, 0, v6, s[2:3]
	v_fmac_f32_e32 v10, 0x3fb8aa3b, v9
	v_exp_f32_e32 v9, v10
	v_cndmask_b32_e64 v10, 1.0, v7, s[2:3]
	v_mul_f32_e32 v11, v9, v10
	v_fmac_f32_e32 v2, v9, v10
	ds_write_b32 v5, v11
	v_add_u32_e32 v5, s24, v5
	s_andn2_b64 exec, exec, s[20:21]
	s_cbranch_execnz .LBB287_12
; %bb.13:
	s_or_b64 exec, exec, s[20:21]
.LBB287_14:
	s_or_b64 exec, exec, s[18:19]
	s_waitcnt lgkmcnt(0)
	v_mov_b32_dpp v3, v2 quad_perm:[1,0,3,2] row_mask:0xf bank_mask:0xf
	v_add_f32_e32 v2, v2, v3
	s_nop 1
	v_mov_b32_dpp v3, v2 quad_perm:[2,3,0,1] row_mask:0xf bank_mask:0xf
	v_add_f32_e32 v2, v2, v3
	s_nop 1
	v_mov_b32_dpp v3, v2 row_half_mirror row_mask:0xf bank_mask:0xf
	v_add_f32_e32 v2, v2, v3
	s_nop 1
	v_mov_b32_dpp v3, v2 row_mirror row_mask:0xf bank_mask:0xf
	v_add_f32_e32 v2, v2, v3
	s_nop 1
	v_mov_b32_dpp v3, v2 row_bcast:15 row_mask:0xf bank_mask:0xf
	v_add_f32_e32 v2, v2, v3
	s_nop 1
	v_mov_b32_dpp v3, v2 row_bcast:31 row_mask:0xf bank_mask:0xf
	v_add_f32_e32 v2, v2, v3
	ds_bpermute_b32 v2, v4, v2
	s_and_saveexec_b64 s[8:9], vcc
	s_cbranch_execz .LBB287_19
; %bb.15:
	s_load_dword s20, s[4:5], 0x44
	s_waitcnt lgkmcnt(0)
	v_rcp_f32_e32 v5, v2
	s_cmp_lg_u64 s[10:11], 0
	s_cselect_b64 s[2:3], -1, 0
	v_cndmask_b32_e64 v2, 0, 1, s[2:3]
	s_and_b32 s20, s20, 0xffff
	s_mov_b64 s[18:19], 0
	v_lshl_add_u32 v6, v0, 2, 0
	s_lshl_b32 s21, s20, 2
	v_cmp_ne_u32_e64 s[2:3], 1, v2
	v_mov_b32_e32 v2, v0
	s_branch .LBB287_17
.LBB287_16:                             ;   in Loop: Header=BB287_17 Depth=1
	v_add_u32_e32 v2, s20, v2
	v_cmp_le_i32_e32 vcc, s16, v2
	s_or_b64 s[18:19], vcc, s[18:19]
	v_add_u32_e32 v6, s21, v6
	s_andn2_b64 exec, exec, s[18:19]
	s_cbranch_execz .LBB287_19
.LBB287_17:                             ; =>This Inner Loop Header: Depth=1
	ds_read_b32 v3, v6
	s_and_b64 vcc, exec, s[2:3]
	s_waitcnt lgkmcnt(0)
	v_mul_f32_e32 v7, v5, v3
	ds_write_b32 v6, v7
	s_cbranch_vccnz .LBB287_16
; %bb.18:                               ;   in Loop: Header=BB287_17 Depth=1
	v_ashrrev_i32_e32 v3, 31, v2
	v_lshlrev_b64 v[8:9], 1, v[2:3]
	v_mov_b32_e32 v3, s11
	v_add_co_u32_e32 v8, vcc, s10, v8
	v_addc_co_u32_e32 v9, vcc, v3, v9, vcc
	global_load_ushort v3, v[8:9], off
	s_waitcnt vmcnt(0)
	v_lshlrev_b32_e32 v3, 16, v3
	v_add_f32_e32 v3, v7, v3
	ds_write_b32 v6, v3
	s_branch .LBB287_16
.LBB287_19:
	s_or_b64 exec, exec, s[8:9]
	s_cmp_lt_i32 s17, 1
	v_mov_b32_e32 v3, 0
	s_waitcnt lgkmcnt(0)
	s_barrier
	s_cbranch_scc1 .LBB287_28
; %bb.20:
	s_add_u32 s2, s4, 56
	s_addc_u32 s3, s5, 0
	s_cmp_lg_u64 s[10:11], 0
	s_cselect_b64 s[8:9], -1, 0
	v_lshlrev_b32_e32 v6, 2, v0
	s_mov_b32 s16, 0
	v_mov_b32_e32 v3, 0
	v_mov_b32_e32 v7, 0
	;; [unrolled: 1-line block ×5, first 2 shown]
	s_branch .LBB287_22
.LBB287_21:                             ;   in Loop: Header=BB287_22 Depth=1
	s_lshl_b32 s19, s18, 2
	s_add_i32 s19, s19, 0
	v_mov_b32_e32 v9, s19
	ds_write_b32 v9, v8
	v_mov_b32_e32 v9, s18
	v_cmp_eq_u32_e32 vcc, s16, v0
	s_add_i32 s16, s16, 1
	v_cndmask_b32_e32 v2, v2, v9, vcc
	v_cndmask_b32_e32 v3, v3, v11, vcc
	s_cmp_eq_u32 s16, s17
	v_add_f32_e32 v5, v5, v11
	s_cbranch_scc1 .LBB287_29
.LBB287_22:                             ; =>This Loop Header: Depth=1
                                        ;     Child Loop BB287_24 Depth 2
	v_mov_b32_e32 v9, s16
	v_mov_b32_e32 v10, 0xff800000
	s_and_saveexec_b64 s[18:19], s[0:1]
	s_cbranch_execz .LBB287_26
; %bb.23:                               ;   in Loop: Header=BB287_22 Depth=1
	s_load_dword s22, s[2:3], 0xc
	s_mov_b64 s[20:21], 0
	v_mov_b32_e32 v9, s16
	v_mov_b32_e32 v10, 0xff800000
	;; [unrolled: 1-line block ×3, first 2 shown]
	s_waitcnt lgkmcnt(0)
	s_and_b32 s22, s22, 0xffff
	s_lshl_b32 s23, s22, 2
	s_lshl_b32 s24, s22, 4
	v_mov_b32_e32 v12, v6
	v_mov_b32_e32 v13, v0
.LBB287_24:                             ;   Parent Loop BB287_22 Depth=1
                                        ; =>  This Inner Loop Header: Depth=2
	ds_read_b128 v[14:17], v11
	v_add_u32_e32 v13, s22, v13
	v_cmp_le_i32_e32 vcc, s7, v13
	s_or_b64 s[20:21], vcc, s[20:21]
	v_add_u32_e32 v18, 1, v12
	s_waitcnt lgkmcnt(0)
	v_cmp_gt_f32_e32 vcc, v14, v10
	v_cndmask_b32_e32 v10, v10, v14, vcc
	v_cndmask_b32_e32 v9, v9, v12, vcc
	v_cmp_gt_f32_e32 vcc, v15, v10
	v_cndmask_b32_e32 v10, v10, v15, vcc
	v_cndmask_b32_e32 v9, v9, v18, vcc
	v_cmp_gt_f32_e32 vcc, v16, v10
	v_add_u32_e32 v19, 2, v12
	v_cndmask_b32_e32 v10, v10, v16, vcc
	v_add_u32_e32 v20, 3, v12
	v_cndmask_b32_e32 v9, v9, v19, vcc
	v_cmp_gt_f32_e32 vcc, v17, v10
	v_add_u32_e32 v11, s24, v11
	v_add_u32_e32 v12, s23, v12
	v_cndmask_b32_e32 v10, v10, v17, vcc
	v_cndmask_b32_e32 v9, v9, v20, vcc
	s_andn2_b64 exec, exec, s[20:21]
	s_cbranch_execnz .LBB287_24
; %bb.25:                               ;   in Loop: Header=BB287_22 Depth=1
	s_or_b64 exec, exec, s[20:21]
.LBB287_26:                             ;   in Loop: Header=BB287_22 Depth=1
	s_or_b64 exec, exec, s[18:19]
	;;#ASMSTART
	v_max_f32 v11, v10, v10 quad_perm:[1,0,3,2] row_mask:0xf bank_mask:0xf bound_ctrl:1
	;;#ASMEND
	;;#ASMSTART
	v_max_f32 v12, v11, v11 quad_perm:[2,3,0,1] row_mask:0xf bank_mask:0xf bound_ctrl:1
	;;#ASMEND
	;;#ASMSTART
	v_max_f32 v11, v12, v12 row_half_mirror row_mask:0xf bank_mask:0xf bound_ctrl:1
	;;#ASMEND
	;;#ASMSTART
	v_max_f32 v12, v11, v11 row_mirror row_mask:0xf bank_mask:0xf bound_ctrl:1
	;;#ASMEND
	;;#ASMSTART
	v_max_f32 v11, v12, v12 row_ror:4 row_mask:0xf bank_mask:0xf bound_ctrl:1
	;;#ASMEND
	;;#ASMSTART
	v_max_f32 v12, v11, v11 row_ror:8 row_mask:0xf bank_mask:0xf bound_ctrl:1
	;;#ASMEND
	;;#ASMSTART
	v_max_f32 v11, v12, v12 row_bcast:15 row_mask:0xf bank_mask:0xf bound_ctrl:1
	;;#ASMEND
	;;#ASMSTART
	v_max_f32 v12, v11, v11 row_bcast:31 row_mask:0xf bank_mask:0xf bound_ctrl:1
	;;#ASMEND
	ds_bpermute_b32 v11, v4, v12
	s_waitcnt lgkmcnt(0)
	v_cmp_eq_f32_e32 vcc, v10, v11
	s_ff1_i32_b64 s18, vcc
	s_cmp_lg_u64 vcc, 0
	s_cselect_b32 s18, s18, 0
	s_and_b64 vcc, exec, s[8:9]
	v_readlane_b32 s18, v9, s18
	s_cbranch_vccz .LBB287_21
; %bb.27:                               ;   in Loop: Header=BB287_22 Depth=1
	s_ashr_i32 s19, s18, 31
	s_lshl_b64 s[20:21], s[18:19], 1
	s_add_u32 s20, s10, s20
	s_addc_u32 s21, s11, s21
	global_load_ushort v9, v7, s[20:21]
	s_waitcnt vmcnt(0)
	v_lshlrev_b32_e32 v9, 16, v9
	v_sub_f32_e32 v11, v11, v9
	s_branch .LBB287_21
.LBB287_28:
	v_mov_b32_e32 v2, 0
	v_mov_b32_e32 v5, 0
.LBB287_29:
	v_cmp_gt_i32_e32 vcc, s17, v0
	s_and_saveexec_b64 s[0:1], vcc
	s_cbranch_execz .LBB287_32
; %bb.30:
	s_load_dword s2, s[4:5], 0x34
	v_max_f32_e32 v1, v5, v5
	v_max_f32_e32 v1, 0x1e3ce508, v1
	s_load_dword s3, s[4:5], 0x44
	s_waitcnt lgkmcnt(0)
	v_div_scale_f32 v4, s[0:1], v1, v1, s2
	s_load_dwordx2 s[0:1], s[4:5], 0x20
	v_rcp_f32_e32 v5, v4
	v_div_scale_f32 v6, vcc, s2, v1, s2
	s_and_b32 s3, s3, 0xffff
	v_fma_f32 v7, -v4, v5, 1.0
	v_fmac_f32_e32 v5, v7, v5
	v_mul_f32_e32 v7, v6, v5
	v_fma_f32 v8, -v4, v7, v6
	v_fmac_f32_e32 v7, v8, v5
	v_fma_f32 v4, -v4, v7, v6
	v_div_fmas_f32 v4, v4, v5, v7
	v_div_fixup_f32 v1, v4, v1, s2
	s_ashr_i32 s2, s6, 31
	s_waitcnt lgkmcnt(0)
	s_mul_i32 s1, s6, s1
	s_mul_hi_u32 s4, s6, s0
	s_add_i32 s1, s4, s1
	s_mul_i32 s2, s2, s0
	s_add_i32 s4, s1, s2
	v_mul_f32_e32 v1, v3, v1
	s_mul_i32 s2, s6, s0
	s_mov_b64 s[0:1], 0
	v_mov_b32_e32 v3, s4
	v_mov_b32_e32 v4, s13
	;; [unrolled: 1-line block ×3, first 2 shown]
.LBB287_31:                             ; =>This Inner Loop Header: Depth=1
	v_ashrrev_i32_e32 v7, 31, v0
	v_add_co_u32_e32 v6, vcc, s2, v0
	v_addc_co_u32_e32 v7, vcc, v3, v7, vcc
	v_add_u32_e32 v0, s3, v0
	v_cmp_le_i32_e32 vcc, s17, v0
	v_lshlrev_b64 v[6:7], 2, v[6:7]
	s_or_b64 s[0:1], vcc, s[0:1]
	v_add_co_u32_e32 v8, vcc, s12, v6
	v_addc_co_u32_e32 v9, vcc, v4, v7, vcc
	v_add_co_u32_e32 v6, vcc, s14, v6
	v_addc_co_u32_e32 v7, vcc, v5, v7, vcc
	global_store_dword v[8:9], v1, off
	global_store_dword v[6:7], v2, off
	s_andn2_b64 exec, exec, s[0:1]
	s_cbranch_execnz .LBB287_31
.LBB287_32:
	s_endpgm
	.section	.rodata,"a",@progbits
	.p2align	6, 0x0
	.amdhsa_kernel _ZN5aiter20topk_softplus_kernelI12hip_bfloat16S1_Dv4_fLb1ELi2EEEvPKT_PKT0_PfPimiiif
		.amdhsa_group_segment_fixed_size 0
		.amdhsa_private_segment_fixed_size 0
		.amdhsa_kernarg_size 312
		.amdhsa_user_sgpr_count 6
		.amdhsa_user_sgpr_private_segment_buffer 1
		.amdhsa_user_sgpr_dispatch_ptr 0
		.amdhsa_user_sgpr_queue_ptr 0
		.amdhsa_user_sgpr_kernarg_segment_ptr 1
		.amdhsa_user_sgpr_dispatch_id 0
		.amdhsa_user_sgpr_flat_scratch_init 0
		.amdhsa_user_sgpr_kernarg_preload_length 0
		.amdhsa_user_sgpr_kernarg_preload_offset 0
		.amdhsa_user_sgpr_private_segment_size 0
		.amdhsa_uses_dynamic_stack 0
		.amdhsa_system_sgpr_private_segment_wavefront_offset 0
		.amdhsa_system_sgpr_workgroup_id_x 1
		.amdhsa_system_sgpr_workgroup_id_y 0
		.amdhsa_system_sgpr_workgroup_id_z 0
		.amdhsa_system_sgpr_workgroup_info 0
		.amdhsa_system_vgpr_workitem_id 0
		.amdhsa_next_free_vgpr 21
		.amdhsa_next_free_sgpr 26
		.amdhsa_accum_offset 24
		.amdhsa_reserve_vcc 1
		.amdhsa_reserve_flat_scratch 0
		.amdhsa_float_round_mode_32 0
		.amdhsa_float_round_mode_16_64 0
		.amdhsa_float_denorm_mode_32 3
		.amdhsa_float_denorm_mode_16_64 3
		.amdhsa_dx10_clamp 1
		.amdhsa_ieee_mode 1
		.amdhsa_fp16_overflow 0
		.amdhsa_tg_split 0
		.amdhsa_exception_fp_ieee_invalid_op 0
		.amdhsa_exception_fp_denorm_src 0
		.amdhsa_exception_fp_ieee_div_zero 0
		.amdhsa_exception_fp_ieee_overflow 0
		.amdhsa_exception_fp_ieee_underflow 0
		.amdhsa_exception_fp_ieee_inexact 0
		.amdhsa_exception_int_div_zero 0
	.end_amdhsa_kernel
	.section	.text._ZN5aiter20topk_softplus_kernelI12hip_bfloat16S1_Dv4_fLb1ELi2EEEvPKT_PKT0_PfPimiiif,"axG",@progbits,_ZN5aiter20topk_softplus_kernelI12hip_bfloat16S1_Dv4_fLb1ELi2EEEvPKT_PKT0_PfPimiiif,comdat
.Lfunc_end287:
	.size	_ZN5aiter20topk_softplus_kernelI12hip_bfloat16S1_Dv4_fLb1ELi2EEEvPKT_PKT0_PfPimiiif, .Lfunc_end287-_ZN5aiter20topk_softplus_kernelI12hip_bfloat16S1_Dv4_fLb1ELi2EEEvPKT_PKT0_PfPimiiif
                                        ; -- End function
	.section	.AMDGPU.csdata,"",@progbits
; Kernel info:
; codeLenInByte = 1840
; NumSgprs: 30
; NumVgprs: 21
; NumAgprs: 0
; TotalNumVgprs: 21
; ScratchSize: 0
; MemoryBound: 0
; FloatMode: 240
; IeeeMode: 1
; LDSByteSize: 0 bytes/workgroup (compile time only)
; SGPRBlocks: 3
; VGPRBlocks: 2
; NumSGPRsForWavesPerEU: 30
; NumVGPRsForWavesPerEU: 21
; AccumOffset: 24
; Occupancy: 8
; WaveLimiterHint : 0
; COMPUTE_PGM_RSRC2:SCRATCH_EN: 0
; COMPUTE_PGM_RSRC2:USER_SGPR: 6
; COMPUTE_PGM_RSRC2:TRAP_HANDLER: 0
; COMPUTE_PGM_RSRC2:TGID_X_EN: 1
; COMPUTE_PGM_RSRC2:TGID_Y_EN: 0
; COMPUTE_PGM_RSRC2:TGID_Z_EN: 0
; COMPUTE_PGM_RSRC2:TIDIG_COMP_CNT: 0
; COMPUTE_PGM_RSRC3_GFX90A:ACCUM_OFFSET: 5
; COMPUTE_PGM_RSRC3_GFX90A:TG_SPLIT: 0
	.section	.text._ZN5aiter20topk_softplus_kernelI12hip_bfloat16S1_Dv4_fLb0ELi2EEEvPKT_PKT0_PfPimiiif,"axG",@progbits,_ZN5aiter20topk_softplus_kernelI12hip_bfloat16S1_Dv4_fLb0ELi2EEEvPKT_PKT0_PfPimiiif,comdat
	.protected	_ZN5aiter20topk_softplus_kernelI12hip_bfloat16S1_Dv4_fLb0ELi2EEEvPKT_PKT0_PfPimiiif ; -- Begin function _ZN5aiter20topk_softplus_kernelI12hip_bfloat16S1_Dv4_fLb0ELi2EEEvPKT_PKT0_PfPimiiif
	.globl	_ZN5aiter20topk_softplus_kernelI12hip_bfloat16S1_Dv4_fLb0ELi2EEEvPKT_PKT0_PfPimiiif
	.p2align	8
	.type	_ZN5aiter20topk_softplus_kernelI12hip_bfloat16S1_Dv4_fLb0ELi2EEEvPKT_PKT0_PfPimiiif,@function
_ZN5aiter20topk_softplus_kernelI12hip_bfloat16S1_Dv4_fLb0ELi2EEEvPKT_PKT0_PfPimiiif: ; @_ZN5aiter20topk_softplus_kernelI12hip_bfloat16S1_Dv4_fLb0ELi2EEEvPKT_PKT0_PfPimiiif
; %bb.0:
	s_load_dwordx2 s[16:17], s[4:5], 0x28
	s_load_dwordx8 s[8:15], s[4:5], 0x0
	v_lshl_add_u32 v1, v0, 4, 0
	s_waitcnt lgkmcnt(0)
	s_ashr_i32 s0, s16, 31
	s_lshr_b32 s0, s0, 30
	s_add_i32 s0, s16, s0
	s_mul_i32 s2, s6, s16
	s_ashr_i32 s7, s0, 2
	s_ashr_i32 s3, s2, 31
	v_cmp_gt_i32_e64 s[0:1], s7, v0
	s_and_saveexec_b64 s[18:19], s[0:1]
	s_cbranch_execz .LBB288_3
; %bb.1:
	s_load_dword s22, s[4:5], 0x44
	s_lshl_b64 s[20:21], s[2:3], 1
	v_lshlrev_b32_e32 v2, 3, v0
	s_mov_b32 s25, 0
	v_lshl_add_u32 v4, v0, 4, 0
	s_waitcnt lgkmcnt(0)
	s_and_b32 s22, s22, 0xffff
	s_add_u32 s20, s8, s20
	s_addc_u32 s21, s9, s21
	v_mov_b32_e32 v3, s21
	v_add_co_u32_e32 v2, vcc, s20, v2
	v_addc_co_u32_e32 v3, vcc, 0, v3, vcc
	s_lshl_b32 s23, s22, 3
	s_lshl_b32 s24, s22, 4
	s_mov_b64 s[20:21], 0
	v_mov_b32_e32 v5, s25
	v_mov_b32_e32 v6, v0
.LBB288_2:                              ; =>This Inner Loop Header: Depth=1
	global_load_dwordx2 v[12:13], v[2:3], off
	v_add_co_u32_e32 v2, vcc, s23, v2
	v_add_u32_e32 v6, s22, v6
	v_addc_co_u32_e32 v3, vcc, v3, v5, vcc
	v_cmp_le_i32_e32 vcc, s7, v6
	s_or_b64 s[20:21], vcc, s[20:21]
	s_waitcnt vmcnt(0)
	v_cvt_f32_u32_sdwa v9, v12 dst_sel:DWORD dst_unused:UNUSED_PAD src0_sel:WORD_1
	v_cvt_f32_u32_sdwa v8, v12 dst_sel:DWORD dst_unused:UNUSED_PAD src0_sel:WORD_0
	v_cvt_f32_u32_sdwa v11, v13 dst_sel:DWORD dst_unused:UNUSED_PAD src0_sel:WORD_1
	v_cvt_f32_u32_sdwa v10, v13 dst_sel:DWORD dst_unused:UNUSED_PAD src0_sel:WORD_0
	ds_write_b128 v4, v[8:11]
	v_add_u32_e32 v4, s24, v4
	s_andn2_b64 exec, exec, s[20:21]
	s_cbranch_execnz .LBB288_2
.LBB288_3:
	s_or_b64 exec, exec, s[18:19]
	v_lshl_add_u32 v2, s7, 2, v0
	v_cmp_gt_i32_e32 vcc, s16, v2
	s_and_saveexec_b64 s[18:19], vcc
	s_cbranch_execz .LBB288_6
; %bb.4:
	s_load_dword s20, s[4:5], 0x44
	s_lshl_b64 s[2:3], s[2:3], 1
	s_add_u32 s8, s8, s2
	s_addc_u32 s21, s9, s3
	s_lshl_b32 s2, s7, 4
	s_waitcnt lgkmcnt(0)
	s_and_b32 s9, s20, 0xffff
	s_add_i32 s2, s2, 0
	v_lshl_add_u32 v4, v0, 2, s2
	s_lshl_b32 s20, s9, 2
	s_mov_b64 s[2:3], 0
	v_mov_b32_e32 v5, s21
.LBB288_5:                              ; =>This Inner Loop Header: Depth=1
	v_ashrrev_i32_e32 v3, 31, v2
	v_lshlrev_b64 v[6:7], 1, v[2:3]
	v_add_co_u32_e32 v6, vcc, s8, v6
	v_addc_co_u32_e32 v7, vcc, v5, v7, vcc
	global_load_ushort v3, v[6:7], off
	v_add_u32_e32 v2, s9, v2
	v_cmp_le_i32_e32 vcc, s16, v2
	s_or_b64 s[2:3], vcc, s[2:3]
	s_waitcnt vmcnt(0)
	v_lshlrev_b32_e32 v3, 16, v3
	ds_write_b32 v4, v3
	v_add_u32_e32 v4, s20, v4
	s_andn2_b64 exec, exec, s[2:3]
	s_cbranch_execnz .LBB288_5
.LBB288_6:
	s_or_b64 exec, exec, s[18:19]
	v_cmp_gt_i32_e32 vcc, s16, v0
	v_mov_b32_e32 v2, 0xff800000
	s_waitcnt lgkmcnt(0)
	s_barrier
	s_and_saveexec_b64 s[8:9], vcc
	s_cbranch_execz .LBB288_10
; %bb.7:
	s_load_dword s2, s[4:5], 0x44
	v_lshl_add_u32 v3, v0, 2, 0
	s_mov_b64 s[18:19], 0
	v_mov_b32_e32 v2, 0xff800000
	v_mov_b32_e32 v4, v0
	s_waitcnt lgkmcnt(0)
	s_and_b32 s20, s2, 0xffff
	s_lshl_b32 s21, s20, 2
.LBB288_8:                              ; =>This Inner Loop Header: Depth=1
	ds_read_b32 v5, v3
	v_add_u32_e32 v4, s20, v4
	v_max_f32_e32 v2, v2, v2
	v_cmp_le_i32_e64 s[2:3], s16, v4
	v_add_u32_e32 v3, s21, v3
	s_waitcnt lgkmcnt(0)
	v_max_f32_e32 v5, v5, v5
	s_or_b64 s[18:19], s[2:3], s[18:19]
	v_max_f32_e32 v2, v2, v5
	s_andn2_b64 exec, exec, s[18:19]
	s_cbranch_execnz .LBB288_8
; %bb.9:
	s_or_b64 exec, exec, s[18:19]
.LBB288_10:
	s_or_b64 exec, exec, s[8:9]
	;;#ASMSTART
	v_max_f32 v3, v2, v2 quad_perm:[1,0,3,2] row_mask:0xf bank_mask:0xf bound_ctrl:1
	;;#ASMEND
	;;#ASMSTART
	v_max_f32 v2, v3, v3 quad_perm:[2,3,0,1] row_mask:0xf bank_mask:0xf bound_ctrl:1
	;;#ASMEND
	;;#ASMSTART
	v_max_f32 v3, v2, v2 row_half_mirror row_mask:0xf bank_mask:0xf bound_ctrl:1
	;;#ASMEND
	;;#ASMSTART
	v_max_f32 v2, v3, v3 row_mirror row_mask:0xf bank_mask:0xf bound_ctrl:1
	;;#ASMEND
	;;#ASMSTART
	v_max_f32 v3, v2, v2 row_ror:4 row_mask:0xf bank_mask:0xf bound_ctrl:1
	;;#ASMEND
	;;#ASMSTART
	v_max_f32 v2, v3, v3 row_ror:8 row_mask:0xf bank_mask:0xf bound_ctrl:1
	;;#ASMEND
	;;#ASMSTART
	v_max_f32 v3, v2, v2 row_bcast:15 row_mask:0xf bank_mask:0xf bound_ctrl:1
	;;#ASMEND
	;;#ASMSTART
	v_max_f32 v2, v3, v3 row_bcast:31 row_mask:0xf bank_mask:0xf bound_ctrl:1
	;;#ASMEND
	v_mbcnt_lo_u32_b32 v3, -1, 0
	v_mbcnt_hi_u32_b32 v3, -1, v3
	v_bfrev_b32_e32 v4, 0.5
	v_lshl_or_b32 v4, v3, 2, v4
	ds_bpermute_b32 v3, v4, v2
	v_mov_b32_e32 v2, 0
	s_and_saveexec_b64 s[18:19], vcc
	s_cbranch_execz .LBB288_14
; %bb.11:
	s_load_dword s2, s[4:5], 0x44
	v_lshl_add_u32 v5, v0, 2, 0
	s_mov_b64 s[20:21], 0
	v_mov_b32_e32 v2, 0
	s_mov_b32 s22, 0xc2fc0000
	s_waitcnt lgkmcnt(0)
	s_and_b32 s23, s2, 0xffff
	s_lshl_b32 s24, s23, 2
	v_mov_b32_e32 v6, 0x42800000
	v_mov_b32_e32 v7, 0x1f800000
	;; [unrolled: 1-line block ×3, first 2 shown]
.LBB288_12:                             ; =>This Inner Loop Header: Depth=1
	ds_read_b32 v9, v5
	v_add_u32_e32 v8, s23, v8
	v_cmp_le_i32_e64 s[8:9], s16, v8
	s_or_b64 s[20:21], s[8:9], s[20:21]
	s_waitcnt lgkmcnt(0)
	v_sub_f32_e32 v9, v9, v3
	v_mul_f32_e32 v10, 0x3fb8aa3b, v9
	v_cmp_gt_f32_e64 s[2:3], s22, v10
	v_cndmask_b32_e64 v10, 0, v6, s[2:3]
	v_fmac_f32_e32 v10, 0x3fb8aa3b, v9
	v_exp_f32_e32 v9, v10
	v_cndmask_b32_e64 v10, 1.0, v7, s[2:3]
	v_mul_f32_e32 v11, v9, v10
	v_fmac_f32_e32 v2, v9, v10
	ds_write_b32 v5, v11
	v_add_u32_e32 v5, s24, v5
	s_andn2_b64 exec, exec, s[20:21]
	s_cbranch_execnz .LBB288_12
; %bb.13:
	s_or_b64 exec, exec, s[20:21]
.LBB288_14:
	s_or_b64 exec, exec, s[18:19]
	s_waitcnt lgkmcnt(0)
	v_mov_b32_dpp v3, v2 quad_perm:[1,0,3,2] row_mask:0xf bank_mask:0xf
	v_add_f32_e32 v2, v2, v3
	s_nop 1
	v_mov_b32_dpp v3, v2 quad_perm:[2,3,0,1] row_mask:0xf bank_mask:0xf
	v_add_f32_e32 v2, v2, v3
	s_nop 1
	v_mov_b32_dpp v3, v2 row_half_mirror row_mask:0xf bank_mask:0xf
	v_add_f32_e32 v2, v2, v3
	s_nop 1
	v_mov_b32_dpp v3, v2 row_mirror row_mask:0xf bank_mask:0xf
	v_add_f32_e32 v2, v2, v3
	s_nop 1
	v_mov_b32_dpp v3, v2 row_bcast:15 row_mask:0xf bank_mask:0xf
	v_add_f32_e32 v2, v2, v3
	s_nop 1
	v_mov_b32_dpp v3, v2 row_bcast:31 row_mask:0xf bank_mask:0xf
	v_add_f32_e32 v2, v2, v3
	ds_bpermute_b32 v2, v4, v2
	s_and_saveexec_b64 s[8:9], vcc
	s_cbranch_execz .LBB288_19
; %bb.15:
	s_load_dword s20, s[4:5], 0x44
	s_waitcnt lgkmcnt(0)
	v_rcp_f32_e32 v5, v2
	s_cmp_lg_u64 s[10:11], 0
	s_cselect_b64 s[2:3], -1, 0
	v_cndmask_b32_e64 v2, 0, 1, s[2:3]
	s_and_b32 s20, s20, 0xffff
	s_mov_b64 s[18:19], 0
	v_lshl_add_u32 v6, v0, 2, 0
	s_lshl_b32 s21, s20, 2
	v_cmp_ne_u32_e64 s[2:3], 1, v2
	v_mov_b32_e32 v2, v0
	s_branch .LBB288_17
.LBB288_16:                             ;   in Loop: Header=BB288_17 Depth=1
	v_add_u32_e32 v2, s20, v2
	v_cmp_le_i32_e32 vcc, s16, v2
	s_or_b64 s[18:19], vcc, s[18:19]
	v_add_u32_e32 v6, s21, v6
	s_andn2_b64 exec, exec, s[18:19]
	s_cbranch_execz .LBB288_19
.LBB288_17:                             ; =>This Inner Loop Header: Depth=1
	ds_read_b32 v3, v6
	s_and_b64 vcc, exec, s[2:3]
	s_waitcnt lgkmcnt(0)
	v_mul_f32_e32 v7, v5, v3
	ds_write_b32 v6, v7
	s_cbranch_vccnz .LBB288_16
; %bb.18:                               ;   in Loop: Header=BB288_17 Depth=1
	v_ashrrev_i32_e32 v3, 31, v2
	v_lshlrev_b64 v[8:9], 1, v[2:3]
	v_mov_b32_e32 v3, s11
	v_add_co_u32_e32 v8, vcc, s10, v8
	v_addc_co_u32_e32 v9, vcc, v3, v9, vcc
	global_load_ushort v3, v[8:9], off
	s_waitcnt vmcnt(0)
	v_lshlrev_b32_e32 v3, 16, v3
	v_add_f32_e32 v3, v7, v3
	ds_write_b32 v6, v3
	s_branch .LBB288_16
.LBB288_19:
	s_or_b64 exec, exec, s[8:9]
	s_cmp_lt_i32 s17, 1
	s_waitcnt lgkmcnt(0)
	s_barrier
	s_cbranch_scc1 .LBB288_28
; %bb.20:
	s_add_u32 s2, s4, 56
	s_addc_u32 s3, s5, 0
	s_cmp_lg_u64 s[10:11], 0
	s_cselect_b64 s[8:9], -1, 0
	v_lshlrev_b32_e32 v5, 2, v0
	s_mov_b32 s16, 0
	v_mov_b32_e32 v2, 0
	v_mov_b32_e32 v6, 0
	;; [unrolled: 1-line block ×4, first 2 shown]
	s_branch .LBB288_22
.LBB288_21:                             ;   in Loop: Header=BB288_22 Depth=1
	s_lshl_b32 s19, s18, 2
	s_add_i32 s19, s19, 0
	v_mov_b32_e32 v8, s19
	ds_write_b32 v8, v7
	v_mov_b32_e32 v8, s18
	v_cmp_eq_u32_e32 vcc, s16, v0
	s_add_i32 s16, s16, 1
	v_cndmask_b32_e32 v2, v2, v8, vcc
	s_cmp_eq_u32 s16, s17
	v_cndmask_b32_e32 v3, v3, v10, vcc
	s_cbranch_scc1 .LBB288_29
.LBB288_22:                             ; =>This Loop Header: Depth=1
                                        ;     Child Loop BB288_24 Depth 2
	v_mov_b32_e32 v8, s16
	v_mov_b32_e32 v9, 0xff800000
	s_and_saveexec_b64 s[18:19], s[0:1]
	s_cbranch_execz .LBB288_26
; %bb.23:                               ;   in Loop: Header=BB288_22 Depth=1
	s_load_dword s22, s[2:3], 0xc
	s_mov_b64 s[20:21], 0
	v_mov_b32_e32 v8, s16
	v_mov_b32_e32 v9, 0xff800000
	;; [unrolled: 1-line block ×3, first 2 shown]
	s_waitcnt lgkmcnt(0)
	s_and_b32 s22, s22, 0xffff
	s_lshl_b32 s23, s22, 2
	s_lshl_b32 s24, s22, 4
	v_mov_b32_e32 v11, v5
	v_mov_b32_e32 v12, v0
.LBB288_24:                             ;   Parent Loop BB288_22 Depth=1
                                        ; =>  This Inner Loop Header: Depth=2
	ds_read_b128 v[14:17], v10
	v_add_u32_e32 v12, s22, v12
	v_cmp_le_i32_e32 vcc, s7, v12
	s_or_b64 s[20:21], vcc, s[20:21]
	v_add_u32_e32 v13, 1, v11
	s_waitcnt lgkmcnt(0)
	v_cmp_gt_f32_e32 vcc, v14, v9
	v_cndmask_b32_e32 v9, v9, v14, vcc
	v_cndmask_b32_e32 v8, v8, v11, vcc
	v_cmp_gt_f32_e32 vcc, v15, v9
	v_cndmask_b32_e32 v9, v9, v15, vcc
	v_cndmask_b32_e32 v8, v8, v13, vcc
	v_cmp_gt_f32_e32 vcc, v16, v9
	v_add_u32_e32 v18, 2, v11
	v_cndmask_b32_e32 v9, v9, v16, vcc
	v_add_u32_e32 v19, 3, v11
	v_cndmask_b32_e32 v8, v8, v18, vcc
	v_cmp_gt_f32_e32 vcc, v17, v9
	v_add_u32_e32 v10, s24, v10
	v_add_u32_e32 v11, s23, v11
	v_cndmask_b32_e32 v9, v9, v17, vcc
	v_cndmask_b32_e32 v8, v8, v19, vcc
	s_andn2_b64 exec, exec, s[20:21]
	s_cbranch_execnz .LBB288_24
; %bb.25:                               ;   in Loop: Header=BB288_22 Depth=1
	s_or_b64 exec, exec, s[20:21]
.LBB288_26:                             ;   in Loop: Header=BB288_22 Depth=1
	s_or_b64 exec, exec, s[18:19]
	;;#ASMSTART
	v_max_f32 v10, v9, v9 quad_perm:[1,0,3,2] row_mask:0xf bank_mask:0xf bound_ctrl:1
	;;#ASMEND
	;;#ASMSTART
	v_max_f32 v11, v10, v10 quad_perm:[2,3,0,1] row_mask:0xf bank_mask:0xf bound_ctrl:1
	;;#ASMEND
	;;#ASMSTART
	v_max_f32 v10, v11, v11 row_half_mirror row_mask:0xf bank_mask:0xf bound_ctrl:1
	;;#ASMEND
	;;#ASMSTART
	v_max_f32 v11, v10, v10 row_mirror row_mask:0xf bank_mask:0xf bound_ctrl:1
	;;#ASMEND
	;;#ASMSTART
	v_max_f32 v10, v11, v11 row_ror:4 row_mask:0xf bank_mask:0xf bound_ctrl:1
	;;#ASMEND
	;;#ASMSTART
	v_max_f32 v11, v10, v10 row_ror:8 row_mask:0xf bank_mask:0xf bound_ctrl:1
	;;#ASMEND
	;;#ASMSTART
	v_max_f32 v10, v11, v11 row_bcast:15 row_mask:0xf bank_mask:0xf bound_ctrl:1
	;;#ASMEND
	;;#ASMSTART
	v_max_f32 v11, v10, v10 row_bcast:31 row_mask:0xf bank_mask:0xf bound_ctrl:1
	;;#ASMEND
	ds_bpermute_b32 v10, v4, v11
	s_waitcnt lgkmcnt(0)
	v_cmp_eq_f32_e32 vcc, v9, v10
	s_ff1_i32_b64 s18, vcc
	s_cmp_lg_u64 vcc, 0
	s_cselect_b32 s18, s18, 0
	s_and_b64 vcc, exec, s[8:9]
	v_readlane_b32 s18, v8, s18
	s_cbranch_vccz .LBB288_21
; %bb.27:                               ;   in Loop: Header=BB288_22 Depth=1
	s_ashr_i32 s19, s18, 31
	s_lshl_b64 s[20:21], s[18:19], 1
	s_add_u32 s20, s10, s20
	s_addc_u32 s21, s11, s21
	global_load_ushort v8, v6, s[20:21]
	s_waitcnt vmcnt(0)
	v_lshlrev_b32_e32 v8, 16, v8
	v_sub_f32_e32 v10, v10, v8
	s_branch .LBB288_21
.LBB288_28:
	v_mov_b32_e32 v3, 0
	v_mov_b32_e32 v2, 0
.LBB288_29:
	v_cmp_gt_i32_e32 vcc, s17, v0
	s_and_saveexec_b64 s[0:1], vcc
	s_cbranch_execz .LBB288_32
; %bb.30:
	s_load_dword s2, s[4:5], 0x34
	s_load_dwordx2 s[0:1], s[4:5], 0x20
	s_ashr_i32 s3, s6, 31
	s_load_dword s4, s[4:5], 0x44
	v_mov_b32_e32 v4, s13
	s_waitcnt lgkmcnt(0)
	v_mul_f32_e32 v1, s2, v3
	s_mul_i32 s1, s6, s1
	s_mul_hi_u32 s2, s6, s0
	s_add_i32 s1, s2, s1
	s_mul_i32 s3, s3, s0
	s_add_i32 s5, s1, s3
	s_mul_i32 s2, s6, s0
	s_and_b32 s3, s4, 0xffff
	s_mov_b64 s[0:1], 0
	v_mov_b32_e32 v3, s5
	v_mov_b32_e32 v5, s15
.LBB288_31:                             ; =>This Inner Loop Header: Depth=1
	v_ashrrev_i32_e32 v7, 31, v0
	v_add_co_u32_e32 v6, vcc, s2, v0
	v_addc_co_u32_e32 v7, vcc, v3, v7, vcc
	v_add_u32_e32 v0, s3, v0
	v_cmp_le_i32_e32 vcc, s17, v0
	v_lshlrev_b64 v[6:7], 2, v[6:7]
	s_or_b64 s[0:1], vcc, s[0:1]
	v_add_co_u32_e32 v8, vcc, s12, v6
	v_addc_co_u32_e32 v9, vcc, v4, v7, vcc
	v_add_co_u32_e32 v6, vcc, s14, v6
	v_addc_co_u32_e32 v7, vcc, v5, v7, vcc
	global_store_dword v[8:9], v1, off
	global_store_dword v[6:7], v2, off
	s_andn2_b64 exec, exec, s[0:1]
	s_cbranch_execnz .LBB288_31
.LBB288_32:
	s_endpgm
	.section	.rodata,"a",@progbits
	.p2align	6, 0x0
	.amdhsa_kernel _ZN5aiter20topk_softplus_kernelI12hip_bfloat16S1_Dv4_fLb0ELi2EEEvPKT_PKT0_PfPimiiif
		.amdhsa_group_segment_fixed_size 0
		.amdhsa_private_segment_fixed_size 0
		.amdhsa_kernarg_size 312
		.amdhsa_user_sgpr_count 6
		.amdhsa_user_sgpr_private_segment_buffer 1
		.amdhsa_user_sgpr_dispatch_ptr 0
		.amdhsa_user_sgpr_queue_ptr 0
		.amdhsa_user_sgpr_kernarg_segment_ptr 1
		.amdhsa_user_sgpr_dispatch_id 0
		.amdhsa_user_sgpr_flat_scratch_init 0
		.amdhsa_user_sgpr_kernarg_preload_length 0
		.amdhsa_user_sgpr_kernarg_preload_offset 0
		.amdhsa_user_sgpr_private_segment_size 0
		.amdhsa_uses_dynamic_stack 0
		.amdhsa_system_sgpr_private_segment_wavefront_offset 0
		.amdhsa_system_sgpr_workgroup_id_x 1
		.amdhsa_system_sgpr_workgroup_id_y 0
		.amdhsa_system_sgpr_workgroup_id_z 0
		.amdhsa_system_sgpr_workgroup_info 0
		.amdhsa_system_vgpr_workitem_id 0
		.amdhsa_next_free_vgpr 20
		.amdhsa_next_free_sgpr 26
		.amdhsa_accum_offset 20
		.amdhsa_reserve_vcc 1
		.amdhsa_reserve_flat_scratch 0
		.amdhsa_float_round_mode_32 0
		.amdhsa_float_round_mode_16_64 0
		.amdhsa_float_denorm_mode_32 3
		.amdhsa_float_denorm_mode_16_64 3
		.amdhsa_dx10_clamp 1
		.amdhsa_ieee_mode 1
		.amdhsa_fp16_overflow 0
		.amdhsa_tg_split 0
		.amdhsa_exception_fp_ieee_invalid_op 0
		.amdhsa_exception_fp_denorm_src 0
		.amdhsa_exception_fp_ieee_div_zero 0
		.amdhsa_exception_fp_ieee_overflow 0
		.amdhsa_exception_fp_ieee_underflow 0
		.amdhsa_exception_fp_ieee_inexact 0
		.amdhsa_exception_int_div_zero 0
	.end_amdhsa_kernel
	.section	.text._ZN5aiter20topk_softplus_kernelI12hip_bfloat16S1_Dv4_fLb0ELi2EEEvPKT_PKT0_PfPimiiif,"axG",@progbits,_ZN5aiter20topk_softplus_kernelI12hip_bfloat16S1_Dv4_fLb0ELi2EEEvPKT_PKT0_PfPimiiif,comdat
.Lfunc_end288:
	.size	_ZN5aiter20topk_softplus_kernelI12hip_bfloat16S1_Dv4_fLb0ELi2EEEvPKT_PKT0_PfPimiiif, .Lfunc_end288-_ZN5aiter20topk_softplus_kernelI12hip_bfloat16S1_Dv4_fLb0ELi2EEEvPKT_PKT0_PfPimiiif
                                        ; -- End function
	.section	.AMDGPU.csdata,"",@progbits
; Kernel info:
; codeLenInByte = 1740
; NumSgprs: 30
; NumVgprs: 20
; NumAgprs: 0
; TotalNumVgprs: 20
; ScratchSize: 0
; MemoryBound: 0
; FloatMode: 240
; IeeeMode: 1
; LDSByteSize: 0 bytes/workgroup (compile time only)
; SGPRBlocks: 3
; VGPRBlocks: 2
; NumSGPRsForWavesPerEU: 30
; NumVGPRsForWavesPerEU: 20
; AccumOffset: 20
; Occupancy: 8
; WaveLimiterHint : 0
; COMPUTE_PGM_RSRC2:SCRATCH_EN: 0
; COMPUTE_PGM_RSRC2:USER_SGPR: 6
; COMPUTE_PGM_RSRC2:TRAP_HANDLER: 0
; COMPUTE_PGM_RSRC2:TGID_X_EN: 1
; COMPUTE_PGM_RSRC2:TGID_Y_EN: 0
; COMPUTE_PGM_RSRC2:TGID_Z_EN: 0
; COMPUTE_PGM_RSRC2:TIDIG_COMP_CNT: 0
; COMPUTE_PGM_RSRC3_GFX90A:ACCUM_OFFSET: 4
; COMPUTE_PGM_RSRC3_GFX90A:TG_SPLIT: 0
	.section	.text._ZN5aiter20topk_softplus_kernelI12hip_bfloat16S1_Dv2_fLb1ELi2EEEvPKT_PKT0_PfPimiiif,"axG",@progbits,_ZN5aiter20topk_softplus_kernelI12hip_bfloat16S1_Dv2_fLb1ELi2EEEvPKT_PKT0_PfPimiiif,comdat
	.protected	_ZN5aiter20topk_softplus_kernelI12hip_bfloat16S1_Dv2_fLb1ELi2EEEvPKT_PKT0_PfPimiiif ; -- Begin function _ZN5aiter20topk_softplus_kernelI12hip_bfloat16S1_Dv2_fLb1ELi2EEEvPKT_PKT0_PfPimiiif
	.globl	_ZN5aiter20topk_softplus_kernelI12hip_bfloat16S1_Dv2_fLb1ELi2EEEvPKT_PKT0_PfPimiiif
	.p2align	8
	.type	_ZN5aiter20topk_softplus_kernelI12hip_bfloat16S1_Dv2_fLb1ELi2EEEvPKT_PKT0_PfPimiiif,@function
_ZN5aiter20topk_softplus_kernelI12hip_bfloat16S1_Dv2_fLb1ELi2EEEvPKT_PKT0_PfPimiiif: ; @_ZN5aiter20topk_softplus_kernelI12hip_bfloat16S1_Dv2_fLb1ELi2EEEvPKT_PKT0_PfPimiiif
; %bb.0:
	s_load_dwordx2 s[16:17], s[4:5], 0x28
	s_load_dwordx8 s[8:15], s[4:5], 0x0
	v_lshl_add_u32 v1, v0, 3, 0
	s_waitcnt lgkmcnt(0)
	s_lshr_b32 s0, s16, 31
	s_add_i32 s0, s16, s0
	s_mul_i32 s2, s6, s16
	s_ashr_i32 s7, s0, 1
	s_ashr_i32 s3, s2, 31
	v_cmp_gt_i32_e64 s[0:1], s7, v0
	s_and_saveexec_b64 s[18:19], s[0:1]
	s_cbranch_execz .LBB289_3
; %bb.1:
	s_load_dword s22, s[4:5], 0x44
	s_lshl_b64 s[20:21], s[2:3], 1
	v_lshlrev_b32_e32 v2, 2, v0
	s_mov_b32 s25, 0
	v_lshl_add_u32 v4, v0, 3, 0
	s_waitcnt lgkmcnt(0)
	s_and_b32 s22, s22, 0xffff
	s_add_u32 s20, s8, s20
	s_addc_u32 s21, s9, s21
	v_mov_b32_e32 v3, s21
	v_add_co_u32_e32 v2, vcc, s20, v2
	v_addc_co_u32_e32 v3, vcc, 0, v3, vcc
	s_lshl_b32 s23, s22, 2
	s_lshl_b32 s24, s22, 3
	s_mov_b64 s[20:21], 0
	v_mov_b32_e32 v5, s25
	v_mov_b32_e32 v6, v0
.LBB289_2:                              ; =>This Inner Loop Header: Depth=1
	global_load_dword v7, v[2:3], off
	v_add_co_u32_e32 v2, vcc, s23, v2
	v_add_u32_e32 v6, s22, v6
	v_addc_co_u32_e32 v3, vcc, v3, v5, vcc
	v_cmp_le_i32_e32 vcc, s7, v6
	s_or_b64 s[20:21], vcc, s[20:21]
	s_waitcnt vmcnt(0)
	v_cvt_f32_u32_sdwa v9, v7 dst_sel:DWORD dst_unused:UNUSED_PAD src0_sel:WORD_1
	v_cvt_f32_u32_sdwa v8, v7 dst_sel:DWORD dst_unused:UNUSED_PAD src0_sel:WORD_0
	ds_write_b64 v4, v[8:9]
	v_add_u32_e32 v4, s24, v4
	s_andn2_b64 exec, exec, s[20:21]
	s_cbranch_execnz .LBB289_2
.LBB289_3:
	s_or_b64 exec, exec, s[18:19]
	v_lshl_add_u32 v2, s7, 1, v0
	v_cmp_gt_i32_e32 vcc, s16, v2
	s_and_saveexec_b64 s[18:19], vcc
	s_cbranch_execz .LBB289_6
; %bb.4:
	s_load_dword s20, s[4:5], 0x44
	s_lshl_b64 s[2:3], s[2:3], 1
	s_add_u32 s8, s8, s2
	s_addc_u32 s21, s9, s3
	s_lshl_b32 s2, s7, 3
	s_waitcnt lgkmcnt(0)
	s_and_b32 s9, s20, 0xffff
	s_add_i32 s2, s2, 0
	v_lshl_add_u32 v4, v0, 2, s2
	s_lshl_b32 s20, s9, 2
	s_mov_b64 s[2:3], 0
	v_mov_b32_e32 v5, s21
.LBB289_5:                              ; =>This Inner Loop Header: Depth=1
	v_ashrrev_i32_e32 v3, 31, v2
	v_lshlrev_b64 v[6:7], 1, v[2:3]
	v_add_co_u32_e32 v6, vcc, s8, v6
	v_addc_co_u32_e32 v7, vcc, v5, v7, vcc
	global_load_ushort v3, v[6:7], off
	v_add_u32_e32 v2, s9, v2
	v_cmp_le_i32_e32 vcc, s16, v2
	s_or_b64 s[2:3], vcc, s[2:3]
	s_waitcnt vmcnt(0)
	v_lshlrev_b32_e32 v3, 16, v3
	ds_write_b32 v4, v3
	v_add_u32_e32 v4, s20, v4
	s_andn2_b64 exec, exec, s[2:3]
	s_cbranch_execnz .LBB289_5
.LBB289_6:
	s_or_b64 exec, exec, s[18:19]
	v_cmp_gt_i32_e32 vcc, s16, v0
	v_mov_b32_e32 v2, 0xff800000
	s_waitcnt lgkmcnt(0)
	s_barrier
	s_and_saveexec_b64 s[8:9], vcc
	s_cbranch_execz .LBB289_10
; %bb.7:
	s_load_dword s2, s[4:5], 0x44
	v_lshl_add_u32 v3, v0, 2, 0
	s_mov_b64 s[18:19], 0
	v_mov_b32_e32 v2, 0xff800000
	v_mov_b32_e32 v4, v0
	s_waitcnt lgkmcnt(0)
	s_and_b32 s20, s2, 0xffff
	s_lshl_b32 s21, s20, 2
.LBB289_8:                              ; =>This Inner Loop Header: Depth=1
	ds_read_b32 v5, v3
	v_add_u32_e32 v4, s20, v4
	v_max_f32_e32 v2, v2, v2
	v_cmp_le_i32_e64 s[2:3], s16, v4
	v_add_u32_e32 v3, s21, v3
	s_waitcnt lgkmcnt(0)
	v_max_f32_e32 v5, v5, v5
	s_or_b64 s[18:19], s[2:3], s[18:19]
	v_max_f32_e32 v2, v2, v5
	s_andn2_b64 exec, exec, s[18:19]
	s_cbranch_execnz .LBB289_8
; %bb.9:
	s_or_b64 exec, exec, s[18:19]
.LBB289_10:
	s_or_b64 exec, exec, s[8:9]
	;;#ASMSTART
	v_max_f32 v3, v2, v2 quad_perm:[1,0,3,2] row_mask:0xf bank_mask:0xf bound_ctrl:1
	;;#ASMEND
	;;#ASMSTART
	v_max_f32 v2, v3, v3 quad_perm:[2,3,0,1] row_mask:0xf bank_mask:0xf bound_ctrl:1
	;;#ASMEND
	;;#ASMSTART
	v_max_f32 v3, v2, v2 row_half_mirror row_mask:0xf bank_mask:0xf bound_ctrl:1
	;;#ASMEND
	;;#ASMSTART
	v_max_f32 v2, v3, v3 row_mirror row_mask:0xf bank_mask:0xf bound_ctrl:1
	;;#ASMEND
	;;#ASMSTART
	v_max_f32 v3, v2, v2 row_ror:4 row_mask:0xf bank_mask:0xf bound_ctrl:1
	;;#ASMEND
	;;#ASMSTART
	v_max_f32 v2, v3, v3 row_ror:8 row_mask:0xf bank_mask:0xf bound_ctrl:1
	;;#ASMEND
	;;#ASMSTART
	v_max_f32 v3, v2, v2 row_bcast:15 row_mask:0xf bank_mask:0xf bound_ctrl:1
	;;#ASMEND
	;;#ASMSTART
	v_max_f32 v2, v3, v3 row_bcast:31 row_mask:0xf bank_mask:0xf bound_ctrl:1
	;;#ASMEND
	v_mbcnt_lo_u32_b32 v3, -1, 0
	v_mbcnt_hi_u32_b32 v3, -1, v3
	v_bfrev_b32_e32 v4, 0.5
	v_lshl_or_b32 v4, v3, 2, v4
	ds_bpermute_b32 v3, v4, v2
	v_mov_b32_e32 v2, 0
	s_and_saveexec_b64 s[18:19], vcc
	s_cbranch_execz .LBB289_14
; %bb.11:
	s_load_dword s2, s[4:5], 0x44
	v_lshl_add_u32 v5, v0, 2, 0
	s_mov_b64 s[20:21], 0
	v_mov_b32_e32 v2, 0
	s_mov_b32 s22, 0xc2fc0000
	s_waitcnt lgkmcnt(0)
	s_and_b32 s23, s2, 0xffff
	s_lshl_b32 s24, s23, 2
	v_mov_b32_e32 v6, 0x42800000
	v_mov_b32_e32 v7, 0x1f800000
	;; [unrolled: 1-line block ×3, first 2 shown]
.LBB289_12:                             ; =>This Inner Loop Header: Depth=1
	ds_read_b32 v9, v5
	v_add_u32_e32 v8, s23, v8
	v_cmp_le_i32_e64 s[8:9], s16, v8
	s_or_b64 s[20:21], s[8:9], s[20:21]
	s_waitcnt lgkmcnt(0)
	v_sub_f32_e32 v9, v9, v3
	v_mul_f32_e32 v10, 0x3fb8aa3b, v9
	v_cmp_gt_f32_e64 s[2:3], s22, v10
	v_cndmask_b32_e64 v10, 0, v6, s[2:3]
	v_fmac_f32_e32 v10, 0x3fb8aa3b, v9
	v_exp_f32_e32 v9, v10
	v_cndmask_b32_e64 v10, 1.0, v7, s[2:3]
	v_mul_f32_e32 v11, v9, v10
	v_fmac_f32_e32 v2, v9, v10
	ds_write_b32 v5, v11
	v_add_u32_e32 v5, s24, v5
	s_andn2_b64 exec, exec, s[20:21]
	s_cbranch_execnz .LBB289_12
; %bb.13:
	s_or_b64 exec, exec, s[20:21]
.LBB289_14:
	s_or_b64 exec, exec, s[18:19]
	s_waitcnt lgkmcnt(0)
	v_mov_b32_dpp v3, v2 quad_perm:[1,0,3,2] row_mask:0xf bank_mask:0xf
	v_add_f32_e32 v2, v2, v3
	s_nop 1
	v_mov_b32_dpp v3, v2 quad_perm:[2,3,0,1] row_mask:0xf bank_mask:0xf
	v_add_f32_e32 v2, v2, v3
	s_nop 1
	v_mov_b32_dpp v3, v2 row_half_mirror row_mask:0xf bank_mask:0xf
	v_add_f32_e32 v2, v2, v3
	s_nop 1
	v_mov_b32_dpp v3, v2 row_mirror row_mask:0xf bank_mask:0xf
	v_add_f32_e32 v2, v2, v3
	s_nop 1
	v_mov_b32_dpp v3, v2 row_bcast:15 row_mask:0xf bank_mask:0xf
	v_add_f32_e32 v2, v2, v3
	s_nop 1
	v_mov_b32_dpp v3, v2 row_bcast:31 row_mask:0xf bank_mask:0xf
	v_add_f32_e32 v2, v2, v3
	ds_bpermute_b32 v2, v4, v2
	s_and_saveexec_b64 s[8:9], vcc
	s_cbranch_execz .LBB289_19
; %bb.15:
	s_load_dword s20, s[4:5], 0x44
	s_waitcnt lgkmcnt(0)
	v_rcp_f32_e32 v5, v2
	s_cmp_lg_u64 s[10:11], 0
	s_cselect_b64 s[2:3], -1, 0
	v_cndmask_b32_e64 v2, 0, 1, s[2:3]
	s_and_b32 s20, s20, 0xffff
	s_mov_b64 s[18:19], 0
	v_lshl_add_u32 v6, v0, 2, 0
	s_lshl_b32 s21, s20, 2
	v_cmp_ne_u32_e64 s[2:3], 1, v2
	v_mov_b32_e32 v2, v0
	s_branch .LBB289_17
.LBB289_16:                             ;   in Loop: Header=BB289_17 Depth=1
	v_add_u32_e32 v2, s20, v2
	v_cmp_le_i32_e32 vcc, s16, v2
	s_or_b64 s[18:19], vcc, s[18:19]
	v_add_u32_e32 v6, s21, v6
	s_andn2_b64 exec, exec, s[18:19]
	s_cbranch_execz .LBB289_19
.LBB289_17:                             ; =>This Inner Loop Header: Depth=1
	ds_read_b32 v3, v6
	s_and_b64 vcc, exec, s[2:3]
	s_waitcnt lgkmcnt(0)
	v_mul_f32_e32 v7, v5, v3
	ds_write_b32 v6, v7
	s_cbranch_vccnz .LBB289_16
; %bb.18:                               ;   in Loop: Header=BB289_17 Depth=1
	v_ashrrev_i32_e32 v3, 31, v2
	v_lshlrev_b64 v[8:9], 1, v[2:3]
	v_mov_b32_e32 v3, s11
	v_add_co_u32_e32 v8, vcc, s10, v8
	v_addc_co_u32_e32 v9, vcc, v3, v9, vcc
	global_load_ushort v3, v[8:9], off
	s_waitcnt vmcnt(0)
	v_lshlrev_b32_e32 v3, 16, v3
	v_add_f32_e32 v3, v7, v3
	ds_write_b32 v6, v3
	s_branch .LBB289_16
.LBB289_19:
	s_or_b64 exec, exec, s[8:9]
	s_cmp_lt_i32 s17, 1
	v_mov_b32_e32 v3, 0
	s_waitcnt lgkmcnt(0)
	s_barrier
	s_cbranch_scc1 .LBB289_28
; %bb.20:
	s_add_u32 s2, s4, 56
	s_addc_u32 s3, s5, 0
	s_cmp_lg_u64 s[10:11], 0
	s_cselect_b64 s[8:9], -1, 0
	v_lshlrev_b32_e32 v6, 1, v0
	s_mov_b32 s16, 0
	v_mov_b32_e32 v3, 0
	v_mov_b32_e32 v7, 0
	;; [unrolled: 1-line block ×5, first 2 shown]
	s_branch .LBB289_22
.LBB289_21:                             ;   in Loop: Header=BB289_22 Depth=1
	s_lshl_b32 s19, s18, 2
	s_add_i32 s19, s19, 0
	v_mov_b32_e32 v9, s19
	ds_write_b32 v9, v8
	v_mov_b32_e32 v9, s18
	v_cmp_eq_u32_e32 vcc, s16, v0
	s_add_i32 s16, s16, 1
	v_cndmask_b32_e32 v2, v2, v9, vcc
	v_cndmask_b32_e32 v3, v3, v11, vcc
	s_cmp_eq_u32 s16, s17
	v_add_f32_e32 v5, v5, v11
	s_cbranch_scc1 .LBB289_29
.LBB289_22:                             ; =>This Loop Header: Depth=1
                                        ;     Child Loop BB289_24 Depth 2
	v_mov_b32_e32 v9, s16
	v_mov_b32_e32 v10, 0xff800000
	s_and_saveexec_b64 s[18:19], s[0:1]
	s_cbranch_execz .LBB289_26
; %bb.23:                               ;   in Loop: Header=BB289_22 Depth=1
	s_load_dword s22, s[2:3], 0xc
	s_mov_b64 s[20:21], 0
	v_mov_b32_e32 v9, s16
	v_mov_b32_e32 v10, 0xff800000
	;; [unrolled: 1-line block ×3, first 2 shown]
	s_waitcnt lgkmcnt(0)
	s_and_b32 s22, s22, 0xffff
	s_lshl_b32 s23, s22, 1
	s_lshl_b32 s24, s22, 3
	v_mov_b32_e32 v12, v6
	v_mov_b32_e32 v13, v0
.LBB289_24:                             ;   Parent Loop BB289_22 Depth=1
                                        ; =>  This Inner Loop Header: Depth=2
	ds_read_b64 v[14:15], v11
	v_add_u32_e32 v13, s22, v13
	v_cmp_le_i32_e32 vcc, s7, v13
	s_or_b64 s[20:21], vcc, s[20:21]
	v_add_u32_e32 v16, 1, v12
	s_waitcnt lgkmcnt(0)
	v_cmp_gt_f32_e32 vcc, v14, v10
	v_cndmask_b32_e32 v10, v10, v14, vcc
	v_cndmask_b32_e32 v9, v9, v12, vcc
	v_cmp_gt_f32_e32 vcc, v15, v10
	v_add_u32_e32 v11, s24, v11
	v_cndmask_b32_e32 v10, v10, v15, vcc
	v_add_u32_e32 v12, s23, v12
	v_cndmask_b32_e32 v9, v9, v16, vcc
	s_andn2_b64 exec, exec, s[20:21]
	s_cbranch_execnz .LBB289_24
; %bb.25:                               ;   in Loop: Header=BB289_22 Depth=1
	s_or_b64 exec, exec, s[20:21]
.LBB289_26:                             ;   in Loop: Header=BB289_22 Depth=1
	s_or_b64 exec, exec, s[18:19]
	;;#ASMSTART
	v_max_f32 v11, v10, v10 quad_perm:[1,0,3,2] row_mask:0xf bank_mask:0xf bound_ctrl:1
	;;#ASMEND
	;;#ASMSTART
	v_max_f32 v12, v11, v11 quad_perm:[2,3,0,1] row_mask:0xf bank_mask:0xf bound_ctrl:1
	;;#ASMEND
	;;#ASMSTART
	v_max_f32 v11, v12, v12 row_half_mirror row_mask:0xf bank_mask:0xf bound_ctrl:1
	;;#ASMEND
	;;#ASMSTART
	v_max_f32 v12, v11, v11 row_mirror row_mask:0xf bank_mask:0xf bound_ctrl:1
	;;#ASMEND
	;;#ASMSTART
	v_max_f32 v11, v12, v12 row_ror:4 row_mask:0xf bank_mask:0xf bound_ctrl:1
	;;#ASMEND
	;;#ASMSTART
	v_max_f32 v12, v11, v11 row_ror:8 row_mask:0xf bank_mask:0xf bound_ctrl:1
	;;#ASMEND
	;;#ASMSTART
	v_max_f32 v11, v12, v12 row_bcast:15 row_mask:0xf bank_mask:0xf bound_ctrl:1
	;;#ASMEND
	;;#ASMSTART
	v_max_f32 v12, v11, v11 row_bcast:31 row_mask:0xf bank_mask:0xf bound_ctrl:1
	;;#ASMEND
	ds_bpermute_b32 v11, v4, v12
	s_waitcnt lgkmcnt(0)
	v_cmp_eq_f32_e32 vcc, v10, v11
	s_ff1_i32_b64 s18, vcc
	s_cmp_lg_u64 vcc, 0
	s_cselect_b32 s18, s18, 0
	s_and_b64 vcc, exec, s[8:9]
	v_readlane_b32 s18, v9, s18
	s_cbranch_vccz .LBB289_21
; %bb.27:                               ;   in Loop: Header=BB289_22 Depth=1
	s_ashr_i32 s19, s18, 31
	s_lshl_b64 s[20:21], s[18:19], 1
	s_add_u32 s20, s10, s20
	s_addc_u32 s21, s11, s21
	global_load_ushort v9, v7, s[20:21]
	s_waitcnt vmcnt(0)
	v_lshlrev_b32_e32 v9, 16, v9
	v_sub_f32_e32 v11, v11, v9
	s_branch .LBB289_21
.LBB289_28:
	v_mov_b32_e32 v2, 0
	v_mov_b32_e32 v5, 0
.LBB289_29:
	v_cmp_gt_i32_e32 vcc, s17, v0
	s_and_saveexec_b64 s[0:1], vcc
	s_cbranch_execz .LBB289_32
; %bb.30:
	s_load_dword s2, s[4:5], 0x34
	v_max_f32_e32 v1, v5, v5
	v_max_f32_e32 v1, 0x1e3ce508, v1
	s_load_dword s3, s[4:5], 0x44
	s_waitcnt lgkmcnt(0)
	v_div_scale_f32 v4, s[0:1], v1, v1, s2
	s_load_dwordx2 s[0:1], s[4:5], 0x20
	v_rcp_f32_e32 v5, v4
	v_div_scale_f32 v6, vcc, s2, v1, s2
	s_and_b32 s3, s3, 0xffff
	v_fma_f32 v7, -v4, v5, 1.0
	v_fmac_f32_e32 v5, v7, v5
	v_mul_f32_e32 v7, v6, v5
	v_fma_f32 v8, -v4, v7, v6
	v_fmac_f32_e32 v7, v8, v5
	v_fma_f32 v4, -v4, v7, v6
	v_div_fmas_f32 v4, v4, v5, v7
	v_div_fixup_f32 v1, v4, v1, s2
	s_ashr_i32 s2, s6, 31
	s_waitcnt lgkmcnt(0)
	s_mul_i32 s1, s6, s1
	s_mul_hi_u32 s4, s6, s0
	s_add_i32 s1, s4, s1
	s_mul_i32 s2, s2, s0
	s_add_i32 s4, s1, s2
	v_mul_f32_e32 v1, v3, v1
	s_mul_i32 s2, s6, s0
	s_mov_b64 s[0:1], 0
	v_mov_b32_e32 v3, s4
	v_mov_b32_e32 v4, s13
	v_mov_b32_e32 v5, s15
.LBB289_31:                             ; =>This Inner Loop Header: Depth=1
	v_ashrrev_i32_e32 v7, 31, v0
	v_add_co_u32_e32 v6, vcc, s2, v0
	v_addc_co_u32_e32 v7, vcc, v3, v7, vcc
	v_add_u32_e32 v0, s3, v0
	v_cmp_le_i32_e32 vcc, s17, v0
	v_lshlrev_b64 v[6:7], 2, v[6:7]
	s_or_b64 s[0:1], vcc, s[0:1]
	v_add_co_u32_e32 v8, vcc, s12, v6
	v_addc_co_u32_e32 v9, vcc, v4, v7, vcc
	v_add_co_u32_e32 v6, vcc, s14, v6
	v_addc_co_u32_e32 v7, vcc, v5, v7, vcc
	global_store_dword v[8:9], v1, off
	global_store_dword v[6:7], v2, off
	s_andn2_b64 exec, exec, s[0:1]
	s_cbranch_execnz .LBB289_31
.LBB289_32:
	s_endpgm
	.section	.rodata,"a",@progbits
	.p2align	6, 0x0
	.amdhsa_kernel _ZN5aiter20topk_softplus_kernelI12hip_bfloat16S1_Dv2_fLb1ELi2EEEvPKT_PKT0_PfPimiiif
		.amdhsa_group_segment_fixed_size 0
		.amdhsa_private_segment_fixed_size 0
		.amdhsa_kernarg_size 312
		.amdhsa_user_sgpr_count 6
		.amdhsa_user_sgpr_private_segment_buffer 1
		.amdhsa_user_sgpr_dispatch_ptr 0
		.amdhsa_user_sgpr_queue_ptr 0
		.amdhsa_user_sgpr_kernarg_segment_ptr 1
		.amdhsa_user_sgpr_dispatch_id 0
		.amdhsa_user_sgpr_flat_scratch_init 0
		.amdhsa_user_sgpr_kernarg_preload_length 0
		.amdhsa_user_sgpr_kernarg_preload_offset 0
		.amdhsa_user_sgpr_private_segment_size 0
		.amdhsa_uses_dynamic_stack 0
		.amdhsa_system_sgpr_private_segment_wavefront_offset 0
		.amdhsa_system_sgpr_workgroup_id_x 1
		.amdhsa_system_sgpr_workgroup_id_y 0
		.amdhsa_system_sgpr_workgroup_id_z 0
		.amdhsa_system_sgpr_workgroup_info 0
		.amdhsa_system_vgpr_workitem_id 0
		.amdhsa_next_free_vgpr 17
		.amdhsa_next_free_sgpr 26
		.amdhsa_accum_offset 20
		.amdhsa_reserve_vcc 1
		.amdhsa_reserve_flat_scratch 0
		.amdhsa_float_round_mode_32 0
		.amdhsa_float_round_mode_16_64 0
		.amdhsa_float_denorm_mode_32 3
		.amdhsa_float_denorm_mode_16_64 3
		.amdhsa_dx10_clamp 1
		.amdhsa_ieee_mode 1
		.amdhsa_fp16_overflow 0
		.amdhsa_tg_split 0
		.amdhsa_exception_fp_ieee_invalid_op 0
		.amdhsa_exception_fp_denorm_src 0
		.amdhsa_exception_fp_ieee_div_zero 0
		.amdhsa_exception_fp_ieee_overflow 0
		.amdhsa_exception_fp_ieee_underflow 0
		.amdhsa_exception_fp_ieee_inexact 0
		.amdhsa_exception_int_div_zero 0
	.end_amdhsa_kernel
	.section	.text._ZN5aiter20topk_softplus_kernelI12hip_bfloat16S1_Dv2_fLb1ELi2EEEvPKT_PKT0_PfPimiiif,"axG",@progbits,_ZN5aiter20topk_softplus_kernelI12hip_bfloat16S1_Dv2_fLb1ELi2EEEvPKT_PKT0_PfPimiiif,comdat
.Lfunc_end289:
	.size	_ZN5aiter20topk_softplus_kernelI12hip_bfloat16S1_Dv2_fLb1ELi2EEEvPKT_PKT0_PfPimiiif, .Lfunc_end289-_ZN5aiter20topk_softplus_kernelI12hip_bfloat16S1_Dv2_fLb1ELi2EEEvPKT_PKT0_PfPimiiif
                                        ; -- End function
	.section	.AMDGPU.csdata,"",@progbits
; Kernel info:
; codeLenInByte = 1788
; NumSgprs: 30
; NumVgprs: 17
; NumAgprs: 0
; TotalNumVgprs: 17
; ScratchSize: 0
; MemoryBound: 0
; FloatMode: 240
; IeeeMode: 1
; LDSByteSize: 0 bytes/workgroup (compile time only)
; SGPRBlocks: 3
; VGPRBlocks: 2
; NumSGPRsForWavesPerEU: 30
; NumVGPRsForWavesPerEU: 17
; AccumOffset: 20
; Occupancy: 8
; WaveLimiterHint : 0
; COMPUTE_PGM_RSRC2:SCRATCH_EN: 0
; COMPUTE_PGM_RSRC2:USER_SGPR: 6
; COMPUTE_PGM_RSRC2:TRAP_HANDLER: 0
; COMPUTE_PGM_RSRC2:TGID_X_EN: 1
; COMPUTE_PGM_RSRC2:TGID_Y_EN: 0
; COMPUTE_PGM_RSRC2:TGID_Z_EN: 0
; COMPUTE_PGM_RSRC2:TIDIG_COMP_CNT: 0
; COMPUTE_PGM_RSRC3_GFX90A:ACCUM_OFFSET: 4
; COMPUTE_PGM_RSRC3_GFX90A:TG_SPLIT: 0
	.section	.text._ZN5aiter20topk_softplus_kernelI12hip_bfloat16S1_Dv2_fLb0ELi2EEEvPKT_PKT0_PfPimiiif,"axG",@progbits,_ZN5aiter20topk_softplus_kernelI12hip_bfloat16S1_Dv2_fLb0ELi2EEEvPKT_PKT0_PfPimiiif,comdat
	.protected	_ZN5aiter20topk_softplus_kernelI12hip_bfloat16S1_Dv2_fLb0ELi2EEEvPKT_PKT0_PfPimiiif ; -- Begin function _ZN5aiter20topk_softplus_kernelI12hip_bfloat16S1_Dv2_fLb0ELi2EEEvPKT_PKT0_PfPimiiif
	.globl	_ZN5aiter20topk_softplus_kernelI12hip_bfloat16S1_Dv2_fLb0ELi2EEEvPKT_PKT0_PfPimiiif
	.p2align	8
	.type	_ZN5aiter20topk_softplus_kernelI12hip_bfloat16S1_Dv2_fLb0ELi2EEEvPKT_PKT0_PfPimiiif,@function
_ZN5aiter20topk_softplus_kernelI12hip_bfloat16S1_Dv2_fLb0ELi2EEEvPKT_PKT0_PfPimiiif: ; @_ZN5aiter20topk_softplus_kernelI12hip_bfloat16S1_Dv2_fLb0ELi2EEEvPKT_PKT0_PfPimiiif
; %bb.0:
	s_load_dwordx2 s[16:17], s[4:5], 0x28
	s_load_dwordx8 s[8:15], s[4:5], 0x0
	v_lshl_add_u32 v1, v0, 3, 0
	s_waitcnt lgkmcnt(0)
	s_lshr_b32 s0, s16, 31
	s_add_i32 s0, s16, s0
	s_mul_i32 s2, s6, s16
	s_ashr_i32 s7, s0, 1
	s_ashr_i32 s3, s2, 31
	v_cmp_gt_i32_e64 s[0:1], s7, v0
	s_and_saveexec_b64 s[18:19], s[0:1]
	s_cbranch_execz .LBB290_3
; %bb.1:
	s_load_dword s22, s[4:5], 0x44
	s_lshl_b64 s[20:21], s[2:3], 1
	v_lshlrev_b32_e32 v2, 2, v0
	s_mov_b32 s25, 0
	v_lshl_add_u32 v4, v0, 3, 0
	s_waitcnt lgkmcnt(0)
	s_and_b32 s22, s22, 0xffff
	s_add_u32 s20, s8, s20
	s_addc_u32 s21, s9, s21
	v_mov_b32_e32 v3, s21
	v_add_co_u32_e32 v2, vcc, s20, v2
	v_addc_co_u32_e32 v3, vcc, 0, v3, vcc
	s_lshl_b32 s23, s22, 2
	s_lshl_b32 s24, s22, 3
	s_mov_b64 s[20:21], 0
	v_mov_b32_e32 v5, s25
	v_mov_b32_e32 v6, v0
.LBB290_2:                              ; =>This Inner Loop Header: Depth=1
	global_load_dword v7, v[2:3], off
	v_add_co_u32_e32 v2, vcc, s23, v2
	v_add_u32_e32 v6, s22, v6
	v_addc_co_u32_e32 v3, vcc, v3, v5, vcc
	v_cmp_le_i32_e32 vcc, s7, v6
	s_or_b64 s[20:21], vcc, s[20:21]
	s_waitcnt vmcnt(0)
	v_cvt_f32_u32_sdwa v9, v7 dst_sel:DWORD dst_unused:UNUSED_PAD src0_sel:WORD_1
	v_cvt_f32_u32_sdwa v8, v7 dst_sel:DWORD dst_unused:UNUSED_PAD src0_sel:WORD_0
	ds_write_b64 v4, v[8:9]
	v_add_u32_e32 v4, s24, v4
	s_andn2_b64 exec, exec, s[20:21]
	s_cbranch_execnz .LBB290_2
.LBB290_3:
	s_or_b64 exec, exec, s[18:19]
	v_lshl_add_u32 v2, s7, 1, v0
	v_cmp_gt_i32_e32 vcc, s16, v2
	s_and_saveexec_b64 s[18:19], vcc
	s_cbranch_execz .LBB290_6
; %bb.4:
	s_load_dword s20, s[4:5], 0x44
	s_lshl_b64 s[2:3], s[2:3], 1
	s_add_u32 s8, s8, s2
	s_addc_u32 s21, s9, s3
	s_lshl_b32 s2, s7, 3
	s_waitcnt lgkmcnt(0)
	s_and_b32 s9, s20, 0xffff
	s_add_i32 s2, s2, 0
	v_lshl_add_u32 v4, v0, 2, s2
	s_lshl_b32 s20, s9, 2
	s_mov_b64 s[2:3], 0
	v_mov_b32_e32 v5, s21
.LBB290_5:                              ; =>This Inner Loop Header: Depth=1
	v_ashrrev_i32_e32 v3, 31, v2
	v_lshlrev_b64 v[6:7], 1, v[2:3]
	v_add_co_u32_e32 v6, vcc, s8, v6
	v_addc_co_u32_e32 v7, vcc, v5, v7, vcc
	global_load_ushort v3, v[6:7], off
	v_add_u32_e32 v2, s9, v2
	v_cmp_le_i32_e32 vcc, s16, v2
	s_or_b64 s[2:3], vcc, s[2:3]
	s_waitcnt vmcnt(0)
	v_lshlrev_b32_e32 v3, 16, v3
	ds_write_b32 v4, v3
	v_add_u32_e32 v4, s20, v4
	s_andn2_b64 exec, exec, s[2:3]
	s_cbranch_execnz .LBB290_5
.LBB290_6:
	s_or_b64 exec, exec, s[18:19]
	v_cmp_gt_i32_e32 vcc, s16, v0
	v_mov_b32_e32 v2, 0xff800000
	s_waitcnt lgkmcnt(0)
	s_barrier
	s_and_saveexec_b64 s[8:9], vcc
	s_cbranch_execz .LBB290_10
; %bb.7:
	s_load_dword s2, s[4:5], 0x44
	v_lshl_add_u32 v3, v0, 2, 0
	s_mov_b64 s[18:19], 0
	v_mov_b32_e32 v2, 0xff800000
	v_mov_b32_e32 v4, v0
	s_waitcnt lgkmcnt(0)
	s_and_b32 s20, s2, 0xffff
	s_lshl_b32 s21, s20, 2
.LBB290_8:                              ; =>This Inner Loop Header: Depth=1
	ds_read_b32 v5, v3
	v_add_u32_e32 v4, s20, v4
	v_max_f32_e32 v2, v2, v2
	v_cmp_le_i32_e64 s[2:3], s16, v4
	v_add_u32_e32 v3, s21, v3
	s_waitcnt lgkmcnt(0)
	v_max_f32_e32 v5, v5, v5
	s_or_b64 s[18:19], s[2:3], s[18:19]
	v_max_f32_e32 v2, v2, v5
	s_andn2_b64 exec, exec, s[18:19]
	s_cbranch_execnz .LBB290_8
; %bb.9:
	s_or_b64 exec, exec, s[18:19]
.LBB290_10:
	s_or_b64 exec, exec, s[8:9]
	;;#ASMSTART
	v_max_f32 v3, v2, v2 quad_perm:[1,0,3,2] row_mask:0xf bank_mask:0xf bound_ctrl:1
	;;#ASMEND
	;;#ASMSTART
	v_max_f32 v2, v3, v3 quad_perm:[2,3,0,1] row_mask:0xf bank_mask:0xf bound_ctrl:1
	;;#ASMEND
	;;#ASMSTART
	v_max_f32 v3, v2, v2 row_half_mirror row_mask:0xf bank_mask:0xf bound_ctrl:1
	;;#ASMEND
	;;#ASMSTART
	v_max_f32 v2, v3, v3 row_mirror row_mask:0xf bank_mask:0xf bound_ctrl:1
	;;#ASMEND
	;;#ASMSTART
	v_max_f32 v3, v2, v2 row_ror:4 row_mask:0xf bank_mask:0xf bound_ctrl:1
	;;#ASMEND
	;;#ASMSTART
	v_max_f32 v2, v3, v3 row_ror:8 row_mask:0xf bank_mask:0xf bound_ctrl:1
	;;#ASMEND
	;;#ASMSTART
	v_max_f32 v3, v2, v2 row_bcast:15 row_mask:0xf bank_mask:0xf bound_ctrl:1
	;;#ASMEND
	;;#ASMSTART
	v_max_f32 v2, v3, v3 row_bcast:31 row_mask:0xf bank_mask:0xf bound_ctrl:1
	;;#ASMEND
	v_mbcnt_lo_u32_b32 v3, -1, 0
	v_mbcnt_hi_u32_b32 v3, -1, v3
	v_bfrev_b32_e32 v4, 0.5
	v_lshl_or_b32 v4, v3, 2, v4
	ds_bpermute_b32 v3, v4, v2
	v_mov_b32_e32 v2, 0
	s_and_saveexec_b64 s[18:19], vcc
	s_cbranch_execz .LBB290_14
; %bb.11:
	s_load_dword s2, s[4:5], 0x44
	v_lshl_add_u32 v5, v0, 2, 0
	s_mov_b64 s[20:21], 0
	v_mov_b32_e32 v2, 0
	s_mov_b32 s22, 0xc2fc0000
	s_waitcnt lgkmcnt(0)
	s_and_b32 s23, s2, 0xffff
	s_lshl_b32 s24, s23, 2
	v_mov_b32_e32 v6, 0x42800000
	v_mov_b32_e32 v7, 0x1f800000
	;; [unrolled: 1-line block ×3, first 2 shown]
.LBB290_12:                             ; =>This Inner Loop Header: Depth=1
	ds_read_b32 v9, v5
	v_add_u32_e32 v8, s23, v8
	v_cmp_le_i32_e64 s[8:9], s16, v8
	s_or_b64 s[20:21], s[8:9], s[20:21]
	s_waitcnt lgkmcnt(0)
	v_sub_f32_e32 v9, v9, v3
	v_mul_f32_e32 v10, 0x3fb8aa3b, v9
	v_cmp_gt_f32_e64 s[2:3], s22, v10
	v_cndmask_b32_e64 v10, 0, v6, s[2:3]
	v_fmac_f32_e32 v10, 0x3fb8aa3b, v9
	v_exp_f32_e32 v9, v10
	v_cndmask_b32_e64 v10, 1.0, v7, s[2:3]
	v_mul_f32_e32 v11, v9, v10
	v_fmac_f32_e32 v2, v9, v10
	ds_write_b32 v5, v11
	v_add_u32_e32 v5, s24, v5
	s_andn2_b64 exec, exec, s[20:21]
	s_cbranch_execnz .LBB290_12
; %bb.13:
	s_or_b64 exec, exec, s[20:21]
.LBB290_14:
	s_or_b64 exec, exec, s[18:19]
	s_waitcnt lgkmcnt(0)
	v_mov_b32_dpp v3, v2 quad_perm:[1,0,3,2] row_mask:0xf bank_mask:0xf
	v_add_f32_e32 v2, v2, v3
	s_nop 1
	v_mov_b32_dpp v3, v2 quad_perm:[2,3,0,1] row_mask:0xf bank_mask:0xf
	v_add_f32_e32 v2, v2, v3
	s_nop 1
	v_mov_b32_dpp v3, v2 row_half_mirror row_mask:0xf bank_mask:0xf
	v_add_f32_e32 v2, v2, v3
	s_nop 1
	v_mov_b32_dpp v3, v2 row_mirror row_mask:0xf bank_mask:0xf
	v_add_f32_e32 v2, v2, v3
	s_nop 1
	v_mov_b32_dpp v3, v2 row_bcast:15 row_mask:0xf bank_mask:0xf
	v_add_f32_e32 v2, v2, v3
	s_nop 1
	v_mov_b32_dpp v3, v2 row_bcast:31 row_mask:0xf bank_mask:0xf
	v_add_f32_e32 v2, v2, v3
	ds_bpermute_b32 v2, v4, v2
	s_and_saveexec_b64 s[8:9], vcc
	s_cbranch_execz .LBB290_19
; %bb.15:
	s_load_dword s20, s[4:5], 0x44
	s_waitcnt lgkmcnt(0)
	v_rcp_f32_e32 v5, v2
	s_cmp_lg_u64 s[10:11], 0
	s_cselect_b64 s[2:3], -1, 0
	v_cndmask_b32_e64 v2, 0, 1, s[2:3]
	s_and_b32 s20, s20, 0xffff
	s_mov_b64 s[18:19], 0
	v_lshl_add_u32 v6, v0, 2, 0
	s_lshl_b32 s21, s20, 2
	v_cmp_ne_u32_e64 s[2:3], 1, v2
	v_mov_b32_e32 v2, v0
	s_branch .LBB290_17
.LBB290_16:                             ;   in Loop: Header=BB290_17 Depth=1
	v_add_u32_e32 v2, s20, v2
	v_cmp_le_i32_e32 vcc, s16, v2
	s_or_b64 s[18:19], vcc, s[18:19]
	v_add_u32_e32 v6, s21, v6
	s_andn2_b64 exec, exec, s[18:19]
	s_cbranch_execz .LBB290_19
.LBB290_17:                             ; =>This Inner Loop Header: Depth=1
	ds_read_b32 v3, v6
	s_and_b64 vcc, exec, s[2:3]
	s_waitcnt lgkmcnt(0)
	v_mul_f32_e32 v7, v5, v3
	ds_write_b32 v6, v7
	s_cbranch_vccnz .LBB290_16
; %bb.18:                               ;   in Loop: Header=BB290_17 Depth=1
	v_ashrrev_i32_e32 v3, 31, v2
	v_lshlrev_b64 v[8:9], 1, v[2:3]
	v_mov_b32_e32 v3, s11
	v_add_co_u32_e32 v8, vcc, s10, v8
	v_addc_co_u32_e32 v9, vcc, v3, v9, vcc
	global_load_ushort v3, v[8:9], off
	s_waitcnt vmcnt(0)
	v_lshlrev_b32_e32 v3, 16, v3
	v_add_f32_e32 v3, v7, v3
	ds_write_b32 v6, v3
	s_branch .LBB290_16
.LBB290_19:
	s_or_b64 exec, exec, s[8:9]
	s_cmp_lt_i32 s17, 1
	s_waitcnt lgkmcnt(0)
	s_barrier
	s_cbranch_scc1 .LBB290_28
; %bb.20:
	s_add_u32 s2, s4, 56
	s_addc_u32 s3, s5, 0
	s_cmp_lg_u64 s[10:11], 0
	s_cselect_b64 s[8:9], -1, 0
	v_lshlrev_b32_e32 v5, 1, v0
	s_mov_b32 s16, 0
	v_mov_b32_e32 v2, 0
	v_mov_b32_e32 v6, 0
	;; [unrolled: 1-line block ×4, first 2 shown]
	s_branch .LBB290_22
.LBB290_21:                             ;   in Loop: Header=BB290_22 Depth=1
	s_lshl_b32 s19, s18, 2
	s_add_i32 s19, s19, 0
	v_mov_b32_e32 v8, s19
	ds_write_b32 v8, v7
	v_mov_b32_e32 v8, s18
	v_cmp_eq_u32_e32 vcc, s16, v0
	s_add_i32 s16, s16, 1
	v_cndmask_b32_e32 v2, v2, v8, vcc
	s_cmp_eq_u32 s16, s17
	v_cndmask_b32_e32 v3, v3, v10, vcc
	s_cbranch_scc1 .LBB290_29
.LBB290_22:                             ; =>This Loop Header: Depth=1
                                        ;     Child Loop BB290_24 Depth 2
	v_mov_b32_e32 v8, s16
	v_mov_b32_e32 v9, 0xff800000
	s_and_saveexec_b64 s[18:19], s[0:1]
	s_cbranch_execz .LBB290_26
; %bb.23:                               ;   in Loop: Header=BB290_22 Depth=1
	s_load_dword s22, s[2:3], 0xc
	s_mov_b64 s[20:21], 0
	v_mov_b32_e32 v8, s16
	v_mov_b32_e32 v9, 0xff800000
	;; [unrolled: 1-line block ×3, first 2 shown]
	s_waitcnt lgkmcnt(0)
	s_and_b32 s22, s22, 0xffff
	s_lshl_b32 s23, s22, 1
	s_lshl_b32 s24, s22, 3
	v_mov_b32_e32 v11, v5
	v_mov_b32_e32 v12, v0
.LBB290_24:                             ;   Parent Loop BB290_22 Depth=1
                                        ; =>  This Inner Loop Header: Depth=2
	ds_read_b64 v[14:15], v10
	v_add_u32_e32 v12, s22, v12
	v_cmp_le_i32_e32 vcc, s7, v12
	s_or_b64 s[20:21], vcc, s[20:21]
	v_add_u32_e32 v13, 1, v11
	s_waitcnt lgkmcnt(0)
	v_cmp_gt_f32_e32 vcc, v14, v9
	v_cndmask_b32_e32 v9, v9, v14, vcc
	v_cndmask_b32_e32 v8, v8, v11, vcc
	v_cmp_gt_f32_e32 vcc, v15, v9
	v_add_u32_e32 v10, s24, v10
	v_cndmask_b32_e32 v9, v9, v15, vcc
	v_add_u32_e32 v11, s23, v11
	v_cndmask_b32_e32 v8, v8, v13, vcc
	s_andn2_b64 exec, exec, s[20:21]
	s_cbranch_execnz .LBB290_24
; %bb.25:                               ;   in Loop: Header=BB290_22 Depth=1
	s_or_b64 exec, exec, s[20:21]
.LBB290_26:                             ;   in Loop: Header=BB290_22 Depth=1
	s_or_b64 exec, exec, s[18:19]
	;;#ASMSTART
	v_max_f32 v10, v9, v9 quad_perm:[1,0,3,2] row_mask:0xf bank_mask:0xf bound_ctrl:1
	;;#ASMEND
	;;#ASMSTART
	v_max_f32 v11, v10, v10 quad_perm:[2,3,0,1] row_mask:0xf bank_mask:0xf bound_ctrl:1
	;;#ASMEND
	;;#ASMSTART
	v_max_f32 v10, v11, v11 row_half_mirror row_mask:0xf bank_mask:0xf bound_ctrl:1
	;;#ASMEND
	;;#ASMSTART
	v_max_f32 v11, v10, v10 row_mirror row_mask:0xf bank_mask:0xf bound_ctrl:1
	;;#ASMEND
	;;#ASMSTART
	v_max_f32 v10, v11, v11 row_ror:4 row_mask:0xf bank_mask:0xf bound_ctrl:1
	;;#ASMEND
	;;#ASMSTART
	v_max_f32 v11, v10, v10 row_ror:8 row_mask:0xf bank_mask:0xf bound_ctrl:1
	;;#ASMEND
	;;#ASMSTART
	v_max_f32 v10, v11, v11 row_bcast:15 row_mask:0xf bank_mask:0xf bound_ctrl:1
	;;#ASMEND
	;;#ASMSTART
	v_max_f32 v11, v10, v10 row_bcast:31 row_mask:0xf bank_mask:0xf bound_ctrl:1
	;;#ASMEND
	ds_bpermute_b32 v10, v4, v11
	s_waitcnt lgkmcnt(0)
	v_cmp_eq_f32_e32 vcc, v9, v10
	s_ff1_i32_b64 s18, vcc
	s_cmp_lg_u64 vcc, 0
	s_cselect_b32 s18, s18, 0
	s_and_b64 vcc, exec, s[8:9]
	v_readlane_b32 s18, v8, s18
	s_cbranch_vccz .LBB290_21
; %bb.27:                               ;   in Loop: Header=BB290_22 Depth=1
	s_ashr_i32 s19, s18, 31
	s_lshl_b64 s[20:21], s[18:19], 1
	s_add_u32 s20, s10, s20
	s_addc_u32 s21, s11, s21
	global_load_ushort v8, v6, s[20:21]
	s_waitcnt vmcnt(0)
	v_lshlrev_b32_e32 v8, 16, v8
	v_sub_f32_e32 v10, v10, v8
	s_branch .LBB290_21
.LBB290_28:
	v_mov_b32_e32 v3, 0
	v_mov_b32_e32 v2, 0
.LBB290_29:
	v_cmp_gt_i32_e32 vcc, s17, v0
	s_and_saveexec_b64 s[0:1], vcc
	s_cbranch_execz .LBB290_32
; %bb.30:
	s_load_dword s2, s[4:5], 0x34
	s_load_dwordx2 s[0:1], s[4:5], 0x20
	s_ashr_i32 s3, s6, 31
	s_load_dword s4, s[4:5], 0x44
	v_mov_b32_e32 v4, s13
	s_waitcnt lgkmcnt(0)
	v_mul_f32_e32 v1, s2, v3
	s_mul_i32 s1, s6, s1
	s_mul_hi_u32 s2, s6, s0
	s_add_i32 s1, s2, s1
	s_mul_i32 s3, s3, s0
	s_add_i32 s5, s1, s3
	s_mul_i32 s2, s6, s0
	s_and_b32 s3, s4, 0xffff
	s_mov_b64 s[0:1], 0
	v_mov_b32_e32 v3, s5
	v_mov_b32_e32 v5, s15
.LBB290_31:                             ; =>This Inner Loop Header: Depth=1
	v_ashrrev_i32_e32 v7, 31, v0
	v_add_co_u32_e32 v6, vcc, s2, v0
	v_addc_co_u32_e32 v7, vcc, v3, v7, vcc
	v_add_u32_e32 v0, s3, v0
	v_cmp_le_i32_e32 vcc, s17, v0
	v_lshlrev_b64 v[6:7], 2, v[6:7]
	s_or_b64 s[0:1], vcc, s[0:1]
	v_add_co_u32_e32 v8, vcc, s12, v6
	v_addc_co_u32_e32 v9, vcc, v4, v7, vcc
	v_add_co_u32_e32 v6, vcc, s14, v6
	v_addc_co_u32_e32 v7, vcc, v5, v7, vcc
	global_store_dword v[8:9], v1, off
	global_store_dword v[6:7], v2, off
	s_andn2_b64 exec, exec, s[0:1]
	s_cbranch_execnz .LBB290_31
.LBB290_32:
	s_endpgm
	.section	.rodata,"a",@progbits
	.p2align	6, 0x0
	.amdhsa_kernel _ZN5aiter20topk_softplus_kernelI12hip_bfloat16S1_Dv2_fLb0ELi2EEEvPKT_PKT0_PfPimiiif
		.amdhsa_group_segment_fixed_size 0
		.amdhsa_private_segment_fixed_size 0
		.amdhsa_kernarg_size 312
		.amdhsa_user_sgpr_count 6
		.amdhsa_user_sgpr_private_segment_buffer 1
		.amdhsa_user_sgpr_dispatch_ptr 0
		.amdhsa_user_sgpr_queue_ptr 0
		.amdhsa_user_sgpr_kernarg_segment_ptr 1
		.amdhsa_user_sgpr_dispatch_id 0
		.amdhsa_user_sgpr_flat_scratch_init 0
		.amdhsa_user_sgpr_kernarg_preload_length 0
		.amdhsa_user_sgpr_kernarg_preload_offset 0
		.amdhsa_user_sgpr_private_segment_size 0
		.amdhsa_uses_dynamic_stack 0
		.amdhsa_system_sgpr_private_segment_wavefront_offset 0
		.amdhsa_system_sgpr_workgroup_id_x 1
		.amdhsa_system_sgpr_workgroup_id_y 0
		.amdhsa_system_sgpr_workgroup_id_z 0
		.amdhsa_system_sgpr_workgroup_info 0
		.amdhsa_system_vgpr_workitem_id 0
		.amdhsa_next_free_vgpr 16
		.amdhsa_next_free_sgpr 26
		.amdhsa_accum_offset 16
		.amdhsa_reserve_vcc 1
		.amdhsa_reserve_flat_scratch 0
		.amdhsa_float_round_mode_32 0
		.amdhsa_float_round_mode_16_64 0
		.amdhsa_float_denorm_mode_32 3
		.amdhsa_float_denorm_mode_16_64 3
		.amdhsa_dx10_clamp 1
		.amdhsa_ieee_mode 1
		.amdhsa_fp16_overflow 0
		.amdhsa_tg_split 0
		.amdhsa_exception_fp_ieee_invalid_op 0
		.amdhsa_exception_fp_denorm_src 0
		.amdhsa_exception_fp_ieee_div_zero 0
		.amdhsa_exception_fp_ieee_overflow 0
		.amdhsa_exception_fp_ieee_underflow 0
		.amdhsa_exception_fp_ieee_inexact 0
		.amdhsa_exception_int_div_zero 0
	.end_amdhsa_kernel
	.section	.text._ZN5aiter20topk_softplus_kernelI12hip_bfloat16S1_Dv2_fLb0ELi2EEEvPKT_PKT0_PfPimiiif,"axG",@progbits,_ZN5aiter20topk_softplus_kernelI12hip_bfloat16S1_Dv2_fLb0ELi2EEEvPKT_PKT0_PfPimiiif,comdat
.Lfunc_end290:
	.size	_ZN5aiter20topk_softplus_kernelI12hip_bfloat16S1_Dv2_fLb0ELi2EEEvPKT_PKT0_PfPimiiif, .Lfunc_end290-_ZN5aiter20topk_softplus_kernelI12hip_bfloat16S1_Dv2_fLb0ELi2EEEvPKT_PKT0_PfPimiiif
                                        ; -- End function
	.section	.AMDGPU.csdata,"",@progbits
; Kernel info:
; codeLenInByte = 1688
; NumSgprs: 30
; NumVgprs: 16
; NumAgprs: 0
; TotalNumVgprs: 16
; ScratchSize: 0
; MemoryBound: 0
; FloatMode: 240
; IeeeMode: 1
; LDSByteSize: 0 bytes/workgroup (compile time only)
; SGPRBlocks: 3
; VGPRBlocks: 1
; NumSGPRsForWavesPerEU: 30
; NumVGPRsForWavesPerEU: 16
; AccumOffset: 16
; Occupancy: 8
; WaveLimiterHint : 0
; COMPUTE_PGM_RSRC2:SCRATCH_EN: 0
; COMPUTE_PGM_RSRC2:USER_SGPR: 6
; COMPUTE_PGM_RSRC2:TRAP_HANDLER: 0
; COMPUTE_PGM_RSRC2:TGID_X_EN: 1
; COMPUTE_PGM_RSRC2:TGID_Y_EN: 0
; COMPUTE_PGM_RSRC2:TGID_Z_EN: 0
; COMPUTE_PGM_RSRC2:TIDIG_COMP_CNT: 0
; COMPUTE_PGM_RSRC3_GFX90A:ACCUM_OFFSET: 3
; COMPUTE_PGM_RSRC3_GFX90A:TG_SPLIT: 0
	.section	.text._ZN5aiter20topk_softplus_kernelI12hip_bfloat16S1_Dv1_fLb1ELi2EEEvPKT_PKT0_PfPimiiif,"axG",@progbits,_ZN5aiter20topk_softplus_kernelI12hip_bfloat16S1_Dv1_fLb1ELi2EEEvPKT_PKT0_PfPimiiif,comdat
	.protected	_ZN5aiter20topk_softplus_kernelI12hip_bfloat16S1_Dv1_fLb1ELi2EEEvPKT_PKT0_PfPimiiif ; -- Begin function _ZN5aiter20topk_softplus_kernelI12hip_bfloat16S1_Dv1_fLb1ELi2EEEvPKT_PKT0_PfPimiiif
	.globl	_ZN5aiter20topk_softplus_kernelI12hip_bfloat16S1_Dv1_fLb1ELi2EEEvPKT_PKT0_PfPimiiif
	.p2align	8
	.type	_ZN5aiter20topk_softplus_kernelI12hip_bfloat16S1_Dv1_fLb1ELi2EEEvPKT_PKT0_PfPimiiif,@function
_ZN5aiter20topk_softplus_kernelI12hip_bfloat16S1_Dv1_fLb1ELi2EEEvPKT_PKT0_PfPimiiif: ; @_ZN5aiter20topk_softplus_kernelI12hip_bfloat16S1_Dv1_fLb1ELi2EEEvPKT_PKT0_PfPimiiif
; %bb.0:
	s_load_dwordx2 s[16:17], s[4:5], 0x28
	s_load_dwordx8 s[8:15], s[4:5], 0x0
	v_lshl_add_u32 v1, v0, 2, 0
	s_waitcnt lgkmcnt(0)
	s_mul_i32 s2, s6, s16
	s_ashr_i32 s3, s2, 31
	s_lshl_b64 s[2:3], s[2:3], 1
	s_add_u32 s7, s8, s2
	v_cmp_gt_i32_e64 s[0:1], s16, v0
	s_addc_u32 s18, s9, s3
	s_and_saveexec_b64 s[2:3], s[0:1]
	s_cbranch_execz .LBB291_3
; %bb.1:
	s_load_dword s19, s[4:5], 0x44
	v_lshl_add_u32 v4, v0, 2, 0
	s_mov_b64 s[8:9], 0
	v_mov_b32_e32 v5, s18
	v_mov_b32_e32 v2, v0
	s_waitcnt lgkmcnt(0)
	s_and_b32 s19, s19, 0xffff
	s_lshl_b32 s20, s19, 2
.LBB291_2:                              ; =>This Inner Loop Header: Depth=1
	v_ashrrev_i32_e32 v3, 31, v2
	v_lshlrev_b64 v[6:7], 1, v[2:3]
	v_add_co_u32_e32 v6, vcc, s7, v6
	v_addc_co_u32_e32 v7, vcc, v5, v7, vcc
	global_load_ushort v3, v[6:7], off
	v_add_u32_e32 v2, s19, v2
	v_cmp_le_i32_e32 vcc, s16, v2
	s_or_b64 s[8:9], vcc, s[8:9]
	s_waitcnt vmcnt(0)
	v_cvt_f32_u32_e32 v3, v3
	ds_write_b32 v4, v3
	v_add_u32_e32 v4, s20, v4
	s_andn2_b64 exec, exec, s[8:9]
	s_cbranch_execnz .LBB291_2
.LBB291_3:
	s_or_b64 exec, exec, s[2:3]
	v_add_u32_e32 v2, s16, v0
	v_cmp_gt_i32_e32 vcc, s16, v2
	s_and_saveexec_b64 s[2:3], vcc
	s_cbranch_execz .LBB291_6
; %bb.4:
	s_load_dword s19, s[4:5], 0x44
	v_lshl_add_u32 v4, v2, 2, 0
	s_mov_b64 s[8:9], 0
	v_mov_b32_e32 v5, s18
	s_waitcnt lgkmcnt(0)
	s_and_b32 s19, s19, 0xffff
	s_lshl_b32 s20, s19, 2
.LBB291_5:                              ; =>This Inner Loop Header: Depth=1
	v_ashrrev_i32_e32 v3, 31, v2
	v_lshlrev_b64 v[6:7], 1, v[2:3]
	v_add_co_u32_e32 v6, vcc, s7, v6
	v_addc_co_u32_e32 v7, vcc, v5, v7, vcc
	global_load_ushort v3, v[6:7], off
	v_add_u32_e32 v2, s19, v2
	v_cmp_le_i32_e32 vcc, s16, v2
	s_or_b64 s[8:9], vcc, s[8:9]
	s_waitcnt vmcnt(0)
	v_lshlrev_b32_e32 v3, 16, v3
	ds_write_b32 v4, v3
	v_add_u32_e32 v4, s20, v4
	s_andn2_b64 exec, exec, s[8:9]
	s_cbranch_execnz .LBB291_5
.LBB291_6:
	s_or_b64 exec, exec, s[2:3]
	v_mov_b32_e32 v2, 0xff800000
	s_waitcnt lgkmcnt(0)
	s_barrier
	s_and_saveexec_b64 s[2:3], s[0:1]
	s_cbranch_execz .LBB291_10
; %bb.7:
	s_load_dword s7, s[4:5], 0x44
	v_lshl_add_u32 v3, v0, 2, 0
	s_mov_b64 s[8:9], 0
	v_mov_b32_e32 v2, 0xff800000
	v_mov_b32_e32 v4, v0
	s_waitcnt lgkmcnt(0)
	s_and_b32 s7, s7, 0xffff
	s_lshl_b32 s18, s7, 2
.LBB291_8:                              ; =>This Inner Loop Header: Depth=1
	ds_read_b32 v5, v3
	v_add_u32_e32 v4, s7, v4
	v_max_f32_e32 v2, v2, v2
	v_cmp_le_i32_e32 vcc, s16, v4
	v_add_u32_e32 v3, s18, v3
	s_waitcnt lgkmcnt(0)
	v_max_f32_e32 v5, v5, v5
	s_or_b64 s[8:9], vcc, s[8:9]
	v_max_f32_e32 v2, v2, v5
	s_andn2_b64 exec, exec, s[8:9]
	s_cbranch_execnz .LBB291_8
; %bb.9:
	s_or_b64 exec, exec, s[8:9]
.LBB291_10:
	s_or_b64 exec, exec, s[2:3]
	;;#ASMSTART
	v_max_f32 v3, v2, v2 quad_perm:[1,0,3,2] row_mask:0xf bank_mask:0xf bound_ctrl:1
	;;#ASMEND
	;;#ASMSTART
	v_max_f32 v2, v3, v3 quad_perm:[2,3,0,1] row_mask:0xf bank_mask:0xf bound_ctrl:1
	;;#ASMEND
	;;#ASMSTART
	v_max_f32 v3, v2, v2 row_half_mirror row_mask:0xf bank_mask:0xf bound_ctrl:1
	;;#ASMEND
	;;#ASMSTART
	v_max_f32 v2, v3, v3 row_mirror row_mask:0xf bank_mask:0xf bound_ctrl:1
	;;#ASMEND
	;;#ASMSTART
	v_max_f32 v3, v2, v2 row_ror:4 row_mask:0xf bank_mask:0xf bound_ctrl:1
	;;#ASMEND
	;;#ASMSTART
	v_max_f32 v2, v3, v3 row_ror:8 row_mask:0xf bank_mask:0xf bound_ctrl:1
	;;#ASMEND
	;;#ASMSTART
	v_max_f32 v3, v2, v2 row_bcast:15 row_mask:0xf bank_mask:0xf bound_ctrl:1
	;;#ASMEND
	;;#ASMSTART
	v_max_f32 v2, v3, v3 row_bcast:31 row_mask:0xf bank_mask:0xf bound_ctrl:1
	;;#ASMEND
	v_mbcnt_lo_u32_b32 v3, -1, 0
	v_mbcnt_hi_u32_b32 v3, -1, v3
	v_bfrev_b32_e32 v4, 0.5
	v_lshl_or_b32 v4, v3, 2, v4
	ds_bpermute_b32 v3, v4, v2
	v_mov_b32_e32 v2, 0
	s_and_saveexec_b64 s[8:9], s[0:1]
	s_cbranch_execz .LBB291_14
; %bb.11:
	s_load_dword s2, s[4:5], 0x44
	v_lshl_add_u32 v5, v0, 2, 0
	s_mov_b64 s[18:19], 0
	v_mov_b32_e32 v2, 0
	s_mov_b32 s7, 0xc2fc0000
	s_waitcnt lgkmcnt(0)
	s_and_b32 s20, s2, 0xffff
	s_lshl_b32 s21, s20, 2
	v_mov_b32_e32 v6, 0x42800000
	v_mov_b32_e32 v7, 0x1f800000
	;; [unrolled: 1-line block ×3, first 2 shown]
.LBB291_12:                             ; =>This Inner Loop Header: Depth=1
	ds_read_b32 v9, v5
	v_add_u32_e32 v8, s20, v8
	v_cmp_le_i32_e64 s[2:3], s16, v8
	s_or_b64 s[18:19], s[2:3], s[18:19]
	s_waitcnt lgkmcnt(0)
	v_sub_f32_e32 v9, v9, v3
	v_mul_f32_e32 v10, 0x3fb8aa3b, v9
	v_cmp_gt_f32_e32 vcc, s7, v10
	v_cndmask_b32_e32 v10, 0, v6, vcc
	v_fmac_f32_e32 v10, 0x3fb8aa3b, v9
	v_exp_f32_e32 v9, v10
	v_cndmask_b32_e32 v10, 1.0, v7, vcc
	v_mul_f32_e32 v11, v9, v10
	v_fmac_f32_e32 v2, v9, v10
	ds_write_b32 v5, v11
	v_add_u32_e32 v5, s21, v5
	s_andn2_b64 exec, exec, s[18:19]
	s_cbranch_execnz .LBB291_12
; %bb.13:
	s_or_b64 exec, exec, s[18:19]
.LBB291_14:
	s_or_b64 exec, exec, s[8:9]
	s_waitcnt lgkmcnt(0)
	v_mov_b32_dpp v3, v2 quad_perm:[1,0,3,2] row_mask:0xf bank_mask:0xf
	v_add_f32_e32 v2, v2, v3
	s_nop 1
	v_mov_b32_dpp v3, v2 quad_perm:[2,3,0,1] row_mask:0xf bank_mask:0xf
	v_add_f32_e32 v2, v2, v3
	s_nop 1
	v_mov_b32_dpp v3, v2 row_half_mirror row_mask:0xf bank_mask:0xf
	v_add_f32_e32 v2, v2, v3
	s_nop 1
	v_mov_b32_dpp v3, v2 row_mirror row_mask:0xf bank_mask:0xf
	v_add_f32_e32 v2, v2, v3
	s_nop 1
	v_mov_b32_dpp v3, v2 row_bcast:15 row_mask:0xf bank_mask:0xf
	v_add_f32_e32 v2, v2, v3
	s_nop 1
	v_mov_b32_dpp v3, v2 row_bcast:31 row_mask:0xf bank_mask:0xf
	v_add_f32_e32 v2, v2, v3
	ds_bpermute_b32 v2, v4, v2
	s_and_saveexec_b64 s[8:9], s[0:1]
	s_cbranch_execz .LBB291_19
; %bb.15:
	s_load_dword s7, s[4:5], 0x44
	s_waitcnt lgkmcnt(0)
	v_rcp_f32_e32 v5, v2
	s_cmp_lg_u64 s[10:11], 0
	s_cselect_b64 s[2:3], -1, 0
	v_cndmask_b32_e64 v2, 0, 1, s[2:3]
	s_and_b32 s7, s7, 0xffff
	s_mov_b64 s[18:19], 0
	v_lshl_add_u32 v6, v0, 2, 0
	s_lshl_b32 s20, s7, 2
	v_cmp_ne_u32_e64 s[2:3], 1, v2
	v_mov_b32_e32 v2, v0
	s_branch .LBB291_17
.LBB291_16:                             ;   in Loop: Header=BB291_17 Depth=1
	v_add_u32_e32 v2, s7, v2
	v_cmp_le_i32_e32 vcc, s16, v2
	s_or_b64 s[18:19], vcc, s[18:19]
	v_add_u32_e32 v6, s20, v6
	s_andn2_b64 exec, exec, s[18:19]
	s_cbranch_execz .LBB291_19
.LBB291_17:                             ; =>This Inner Loop Header: Depth=1
	ds_read_b32 v3, v6
	s_and_b64 vcc, exec, s[2:3]
	s_waitcnt lgkmcnt(0)
	v_mul_f32_e32 v7, v5, v3
	ds_write_b32 v6, v7
	s_cbranch_vccnz .LBB291_16
; %bb.18:                               ;   in Loop: Header=BB291_17 Depth=1
	v_ashrrev_i32_e32 v3, 31, v2
	v_lshlrev_b64 v[8:9], 1, v[2:3]
	v_mov_b32_e32 v3, s11
	v_add_co_u32_e32 v8, vcc, s10, v8
	v_addc_co_u32_e32 v9, vcc, v3, v9, vcc
	global_load_ushort v3, v[8:9], off
	s_waitcnt vmcnt(0)
	v_lshlrev_b32_e32 v3, 16, v3
	v_add_f32_e32 v3, v7, v3
	ds_write_b32 v6, v3
	s_branch .LBB291_16
.LBB291_19:
	s_or_b64 exec, exec, s[8:9]
	s_cmp_lt_i32 s17, 1
	v_mov_b32_e32 v3, 0
	s_waitcnt lgkmcnt(0)
	s_barrier
	s_cbranch_scc1 .LBB291_28
; %bb.20:
	s_add_u32 s2, s4, 56
	s_addc_u32 s3, s5, 0
	s_cmp_lg_u64 s[10:11], 0
	s_cselect_b64 s[8:9], -1, 0
	s_mov_b32 s7, 0
	v_mov_b32_e32 v3, 0
	v_mov_b32_e32 v6, 0
	;; [unrolled: 1-line block ×5, first 2 shown]
	s_branch .LBB291_22
.LBB291_21:                             ;   in Loop: Header=BB291_22 Depth=1
	s_lshl_b32 s19, s18, 2
	s_add_i32 s19, s19, 0
	v_mov_b32_e32 v8, s19
	ds_write_b32 v8, v7
	v_mov_b32_e32 v8, s18
	v_cmp_eq_u32_e32 vcc, s7, v0
	s_add_i32 s7, s7, 1
	v_cndmask_b32_e32 v2, v2, v8, vcc
	v_cndmask_b32_e32 v3, v3, v10, vcc
	s_cmp_eq_u32 s7, s17
	v_add_f32_e32 v5, v5, v10
	s_cbranch_scc1 .LBB291_29
.LBB291_22:                             ; =>This Loop Header: Depth=1
                                        ;     Child Loop BB291_24 Depth 2
	v_mov_b32_e32 v8, s7
	v_mov_b32_e32 v9, 0xff800000
	s_and_saveexec_b64 s[18:19], s[0:1]
	s_cbranch_execz .LBB291_26
; %bb.23:                               ;   in Loop: Header=BB291_22 Depth=1
	s_load_dword s22, s[2:3], 0xc
	s_mov_b64 s[20:21], 0
	v_mov_b32_e32 v8, s7
	v_mov_b32_e32 v9, 0xff800000
	;; [unrolled: 1-line block ×3, first 2 shown]
	s_waitcnt lgkmcnt(0)
	s_and_b32 s22, s22, 0xffff
	s_lshl_b32 s23, s22, 2
	v_mov_b32_e32 v11, v0
.LBB291_24:                             ;   Parent Loop BB291_22 Depth=1
                                        ; =>  This Inner Loop Header: Depth=2
	ds_read_b32 v12, v10
	v_add_u32_e32 v10, s23, v10
	s_waitcnt lgkmcnt(0)
	v_cmp_gt_f32_e32 vcc, v12, v9
	v_cndmask_b32_e32 v8, v8, v11, vcc
	v_add_u32_e32 v11, s22, v11
	v_cndmask_b32_e32 v9, v9, v12, vcc
	v_cmp_le_i32_e32 vcc, s16, v11
	s_or_b64 s[20:21], vcc, s[20:21]
	s_andn2_b64 exec, exec, s[20:21]
	s_cbranch_execnz .LBB291_24
; %bb.25:                               ;   in Loop: Header=BB291_22 Depth=1
	s_or_b64 exec, exec, s[20:21]
.LBB291_26:                             ;   in Loop: Header=BB291_22 Depth=1
	s_or_b64 exec, exec, s[18:19]
	;;#ASMSTART
	v_max_f32 v10, v9, v9 quad_perm:[1,0,3,2] row_mask:0xf bank_mask:0xf bound_ctrl:1
	;;#ASMEND
	;;#ASMSTART
	v_max_f32 v11, v10, v10 quad_perm:[2,3,0,1] row_mask:0xf bank_mask:0xf bound_ctrl:1
	;;#ASMEND
	;;#ASMSTART
	v_max_f32 v10, v11, v11 row_half_mirror row_mask:0xf bank_mask:0xf bound_ctrl:1
	;;#ASMEND
	;;#ASMSTART
	v_max_f32 v11, v10, v10 row_mirror row_mask:0xf bank_mask:0xf bound_ctrl:1
	;;#ASMEND
	;;#ASMSTART
	v_max_f32 v10, v11, v11 row_ror:4 row_mask:0xf bank_mask:0xf bound_ctrl:1
	;;#ASMEND
	;;#ASMSTART
	v_max_f32 v11, v10, v10 row_ror:8 row_mask:0xf bank_mask:0xf bound_ctrl:1
	;;#ASMEND
	;;#ASMSTART
	v_max_f32 v10, v11, v11 row_bcast:15 row_mask:0xf bank_mask:0xf bound_ctrl:1
	;;#ASMEND
	;;#ASMSTART
	v_max_f32 v11, v10, v10 row_bcast:31 row_mask:0xf bank_mask:0xf bound_ctrl:1
	;;#ASMEND
	ds_bpermute_b32 v10, v4, v11
	s_waitcnt lgkmcnt(0)
	v_cmp_eq_f32_e32 vcc, v9, v10
	s_ff1_i32_b64 s18, vcc
	s_cmp_lg_u64 vcc, 0
	s_cselect_b32 s18, s18, 0
	s_and_b64 vcc, exec, s[8:9]
	v_readlane_b32 s18, v8, s18
	s_cbranch_vccz .LBB291_21
; %bb.27:                               ;   in Loop: Header=BB291_22 Depth=1
	s_ashr_i32 s19, s18, 31
	s_lshl_b64 s[20:21], s[18:19], 1
	s_add_u32 s20, s10, s20
	s_addc_u32 s21, s11, s21
	global_load_ushort v8, v6, s[20:21]
	s_waitcnt vmcnt(0)
	v_lshlrev_b32_e32 v8, 16, v8
	v_sub_f32_e32 v10, v10, v8
	s_branch .LBB291_21
.LBB291_28:
	v_mov_b32_e32 v2, 0
	v_mov_b32_e32 v5, 0
.LBB291_29:
	v_cmp_gt_i32_e32 vcc, s17, v0
	s_and_saveexec_b64 s[0:1], vcc
	s_cbranch_execz .LBB291_32
; %bb.30:
	s_load_dword s2, s[4:5], 0x34
	v_max_f32_e32 v1, v5, v5
	v_max_f32_e32 v1, 0x1e3ce508, v1
	s_load_dword s3, s[4:5], 0x44
	s_waitcnt lgkmcnt(0)
	v_div_scale_f32 v4, s[0:1], v1, v1, s2
	s_load_dwordx2 s[0:1], s[4:5], 0x20
	v_rcp_f32_e32 v5, v4
	v_div_scale_f32 v6, vcc, s2, v1, s2
	s_and_b32 s3, s3, 0xffff
	v_fma_f32 v7, -v4, v5, 1.0
	v_fmac_f32_e32 v5, v7, v5
	v_mul_f32_e32 v7, v6, v5
	v_fma_f32 v8, -v4, v7, v6
	v_fmac_f32_e32 v7, v8, v5
	v_fma_f32 v4, -v4, v7, v6
	v_div_fmas_f32 v4, v4, v5, v7
	v_div_fixup_f32 v1, v4, v1, s2
	s_ashr_i32 s2, s6, 31
	s_waitcnt lgkmcnt(0)
	s_mul_i32 s1, s6, s1
	s_mul_hi_u32 s4, s6, s0
	s_add_i32 s1, s4, s1
	s_mul_i32 s2, s2, s0
	s_add_i32 s4, s1, s2
	v_mul_f32_e32 v1, v3, v1
	s_mul_i32 s2, s6, s0
	s_mov_b64 s[0:1], 0
	v_mov_b32_e32 v3, s4
	v_mov_b32_e32 v4, s13
	;; [unrolled: 1-line block ×3, first 2 shown]
.LBB291_31:                             ; =>This Inner Loop Header: Depth=1
	v_ashrrev_i32_e32 v7, 31, v0
	v_add_co_u32_e32 v6, vcc, s2, v0
	v_addc_co_u32_e32 v7, vcc, v3, v7, vcc
	v_add_u32_e32 v0, s3, v0
	v_cmp_le_i32_e32 vcc, s17, v0
	v_lshlrev_b64 v[6:7], 2, v[6:7]
	s_or_b64 s[0:1], vcc, s[0:1]
	v_add_co_u32_e32 v8, vcc, s12, v6
	v_addc_co_u32_e32 v9, vcc, v4, v7, vcc
	v_add_co_u32_e32 v6, vcc, s14, v6
	v_addc_co_u32_e32 v7, vcc, v5, v7, vcc
	global_store_dword v[8:9], v1, off
	global_store_dword v[6:7], v2, off
	s_andn2_b64 exec, exec, s[0:1]
	s_cbranch_execnz .LBB291_31
.LBB291_32:
	s_endpgm
	.section	.rodata,"a",@progbits
	.p2align	6, 0x0
	.amdhsa_kernel _ZN5aiter20topk_softplus_kernelI12hip_bfloat16S1_Dv1_fLb1ELi2EEEvPKT_PKT0_PfPimiiif
		.amdhsa_group_segment_fixed_size 0
		.amdhsa_private_segment_fixed_size 0
		.amdhsa_kernarg_size 312
		.amdhsa_user_sgpr_count 6
		.amdhsa_user_sgpr_private_segment_buffer 1
		.amdhsa_user_sgpr_dispatch_ptr 0
		.amdhsa_user_sgpr_queue_ptr 0
		.amdhsa_user_sgpr_kernarg_segment_ptr 1
		.amdhsa_user_sgpr_dispatch_id 0
		.amdhsa_user_sgpr_flat_scratch_init 0
		.amdhsa_user_sgpr_kernarg_preload_length 0
		.amdhsa_user_sgpr_kernarg_preload_offset 0
		.amdhsa_user_sgpr_private_segment_size 0
		.amdhsa_uses_dynamic_stack 0
		.amdhsa_system_sgpr_private_segment_wavefront_offset 0
		.amdhsa_system_sgpr_workgroup_id_x 1
		.amdhsa_system_sgpr_workgroup_id_y 0
		.amdhsa_system_sgpr_workgroup_id_z 0
		.amdhsa_system_sgpr_workgroup_info 0
		.amdhsa_system_vgpr_workitem_id 0
		.amdhsa_next_free_vgpr 13
		.amdhsa_next_free_sgpr 24
		.amdhsa_accum_offset 16
		.amdhsa_reserve_vcc 1
		.amdhsa_reserve_flat_scratch 0
		.amdhsa_float_round_mode_32 0
		.amdhsa_float_round_mode_16_64 0
		.amdhsa_float_denorm_mode_32 3
		.amdhsa_float_denorm_mode_16_64 3
		.amdhsa_dx10_clamp 1
		.amdhsa_ieee_mode 1
		.amdhsa_fp16_overflow 0
		.amdhsa_tg_split 0
		.amdhsa_exception_fp_ieee_invalid_op 0
		.amdhsa_exception_fp_denorm_src 0
		.amdhsa_exception_fp_ieee_div_zero 0
		.amdhsa_exception_fp_ieee_overflow 0
		.amdhsa_exception_fp_ieee_underflow 0
		.amdhsa_exception_fp_ieee_inexact 0
		.amdhsa_exception_int_div_zero 0
	.end_amdhsa_kernel
	.section	.text._ZN5aiter20topk_softplus_kernelI12hip_bfloat16S1_Dv1_fLb1ELi2EEEvPKT_PKT0_PfPimiiif,"axG",@progbits,_ZN5aiter20topk_softplus_kernelI12hip_bfloat16S1_Dv1_fLb1ELi2EEEvPKT_PKT0_PfPimiiif,comdat
.Lfunc_end291:
	.size	_ZN5aiter20topk_softplus_kernelI12hip_bfloat16S1_Dv1_fLb1ELi2EEEvPKT_PKT0_PfPimiiif, .Lfunc_end291-_ZN5aiter20topk_softplus_kernelI12hip_bfloat16S1_Dv1_fLb1ELi2EEEvPKT_PKT0_PfPimiiif
                                        ; -- End function
	.section	.AMDGPU.csdata,"",@progbits
; Kernel info:
; codeLenInByte = 1676
; NumSgprs: 28
; NumVgprs: 13
; NumAgprs: 0
; TotalNumVgprs: 13
; ScratchSize: 0
; MemoryBound: 0
; FloatMode: 240
; IeeeMode: 1
; LDSByteSize: 0 bytes/workgroup (compile time only)
; SGPRBlocks: 3
; VGPRBlocks: 1
; NumSGPRsForWavesPerEU: 28
; NumVGPRsForWavesPerEU: 13
; AccumOffset: 16
; Occupancy: 8
; WaveLimiterHint : 0
; COMPUTE_PGM_RSRC2:SCRATCH_EN: 0
; COMPUTE_PGM_RSRC2:USER_SGPR: 6
; COMPUTE_PGM_RSRC2:TRAP_HANDLER: 0
; COMPUTE_PGM_RSRC2:TGID_X_EN: 1
; COMPUTE_PGM_RSRC2:TGID_Y_EN: 0
; COMPUTE_PGM_RSRC2:TGID_Z_EN: 0
; COMPUTE_PGM_RSRC2:TIDIG_COMP_CNT: 0
; COMPUTE_PGM_RSRC3_GFX90A:ACCUM_OFFSET: 3
; COMPUTE_PGM_RSRC3_GFX90A:TG_SPLIT: 0
	.section	.text._ZN5aiter20topk_softplus_kernelI12hip_bfloat16S1_Dv1_fLb0ELi2EEEvPKT_PKT0_PfPimiiif,"axG",@progbits,_ZN5aiter20topk_softplus_kernelI12hip_bfloat16S1_Dv1_fLb0ELi2EEEvPKT_PKT0_PfPimiiif,comdat
	.protected	_ZN5aiter20topk_softplus_kernelI12hip_bfloat16S1_Dv1_fLb0ELi2EEEvPKT_PKT0_PfPimiiif ; -- Begin function _ZN5aiter20topk_softplus_kernelI12hip_bfloat16S1_Dv1_fLb0ELi2EEEvPKT_PKT0_PfPimiiif
	.globl	_ZN5aiter20topk_softplus_kernelI12hip_bfloat16S1_Dv1_fLb0ELi2EEEvPKT_PKT0_PfPimiiif
	.p2align	8
	.type	_ZN5aiter20topk_softplus_kernelI12hip_bfloat16S1_Dv1_fLb0ELi2EEEvPKT_PKT0_PfPimiiif,@function
_ZN5aiter20topk_softplus_kernelI12hip_bfloat16S1_Dv1_fLb0ELi2EEEvPKT_PKT0_PfPimiiif: ; @_ZN5aiter20topk_softplus_kernelI12hip_bfloat16S1_Dv1_fLb0ELi2EEEvPKT_PKT0_PfPimiiif
; %bb.0:
	s_load_dwordx2 s[16:17], s[4:5], 0x28
	s_load_dwordx8 s[8:15], s[4:5], 0x0
	v_lshl_add_u32 v1, v0, 2, 0
	s_waitcnt lgkmcnt(0)
	s_mul_i32 s2, s6, s16
	s_ashr_i32 s3, s2, 31
	s_lshl_b64 s[2:3], s[2:3], 1
	s_add_u32 s7, s8, s2
	v_cmp_gt_i32_e64 s[0:1], s16, v0
	s_addc_u32 s18, s9, s3
	s_and_saveexec_b64 s[2:3], s[0:1]
	s_cbranch_execz .LBB292_3
; %bb.1:
	s_load_dword s19, s[4:5], 0x44
	v_lshl_add_u32 v4, v0, 2, 0
	s_mov_b64 s[8:9], 0
	v_mov_b32_e32 v5, s18
	v_mov_b32_e32 v2, v0
	s_waitcnt lgkmcnt(0)
	s_and_b32 s19, s19, 0xffff
	s_lshl_b32 s20, s19, 2
.LBB292_2:                              ; =>This Inner Loop Header: Depth=1
	v_ashrrev_i32_e32 v3, 31, v2
	v_lshlrev_b64 v[6:7], 1, v[2:3]
	v_add_co_u32_e32 v6, vcc, s7, v6
	v_addc_co_u32_e32 v7, vcc, v5, v7, vcc
	global_load_ushort v3, v[6:7], off
	v_add_u32_e32 v2, s19, v2
	v_cmp_le_i32_e32 vcc, s16, v2
	s_or_b64 s[8:9], vcc, s[8:9]
	s_waitcnt vmcnt(0)
	v_cvt_f32_u32_e32 v3, v3
	ds_write_b32 v4, v3
	v_add_u32_e32 v4, s20, v4
	s_andn2_b64 exec, exec, s[8:9]
	s_cbranch_execnz .LBB292_2
.LBB292_3:
	s_or_b64 exec, exec, s[2:3]
	v_add_u32_e32 v2, s16, v0
	v_cmp_gt_i32_e32 vcc, s16, v2
	s_and_saveexec_b64 s[2:3], vcc
	s_cbranch_execz .LBB292_6
; %bb.4:
	s_load_dword s19, s[4:5], 0x44
	v_lshl_add_u32 v4, v2, 2, 0
	s_mov_b64 s[8:9], 0
	v_mov_b32_e32 v5, s18
	s_waitcnt lgkmcnt(0)
	s_and_b32 s19, s19, 0xffff
	s_lshl_b32 s20, s19, 2
.LBB292_5:                              ; =>This Inner Loop Header: Depth=1
	v_ashrrev_i32_e32 v3, 31, v2
	v_lshlrev_b64 v[6:7], 1, v[2:3]
	v_add_co_u32_e32 v6, vcc, s7, v6
	v_addc_co_u32_e32 v7, vcc, v5, v7, vcc
	global_load_ushort v3, v[6:7], off
	v_add_u32_e32 v2, s19, v2
	v_cmp_le_i32_e32 vcc, s16, v2
	s_or_b64 s[8:9], vcc, s[8:9]
	s_waitcnt vmcnt(0)
	v_lshlrev_b32_e32 v3, 16, v3
	ds_write_b32 v4, v3
	v_add_u32_e32 v4, s20, v4
	s_andn2_b64 exec, exec, s[8:9]
	s_cbranch_execnz .LBB292_5
.LBB292_6:
	s_or_b64 exec, exec, s[2:3]
	v_mov_b32_e32 v2, 0xff800000
	s_waitcnt lgkmcnt(0)
	s_barrier
	s_and_saveexec_b64 s[2:3], s[0:1]
	s_cbranch_execz .LBB292_10
; %bb.7:
	s_load_dword s7, s[4:5], 0x44
	v_lshl_add_u32 v3, v0, 2, 0
	s_mov_b64 s[8:9], 0
	v_mov_b32_e32 v2, 0xff800000
	v_mov_b32_e32 v4, v0
	s_waitcnt lgkmcnt(0)
	s_and_b32 s7, s7, 0xffff
	s_lshl_b32 s18, s7, 2
.LBB292_8:                              ; =>This Inner Loop Header: Depth=1
	ds_read_b32 v5, v3
	v_add_u32_e32 v4, s7, v4
	v_max_f32_e32 v2, v2, v2
	v_cmp_le_i32_e32 vcc, s16, v4
	v_add_u32_e32 v3, s18, v3
	s_waitcnt lgkmcnt(0)
	v_max_f32_e32 v5, v5, v5
	s_or_b64 s[8:9], vcc, s[8:9]
	v_max_f32_e32 v2, v2, v5
	s_andn2_b64 exec, exec, s[8:9]
	s_cbranch_execnz .LBB292_8
; %bb.9:
	s_or_b64 exec, exec, s[8:9]
.LBB292_10:
	s_or_b64 exec, exec, s[2:3]
	;;#ASMSTART
	v_max_f32 v3, v2, v2 quad_perm:[1,0,3,2] row_mask:0xf bank_mask:0xf bound_ctrl:1
	;;#ASMEND
	;;#ASMSTART
	v_max_f32 v2, v3, v3 quad_perm:[2,3,0,1] row_mask:0xf bank_mask:0xf bound_ctrl:1
	;;#ASMEND
	;;#ASMSTART
	v_max_f32 v3, v2, v2 row_half_mirror row_mask:0xf bank_mask:0xf bound_ctrl:1
	;;#ASMEND
	;;#ASMSTART
	v_max_f32 v2, v3, v3 row_mirror row_mask:0xf bank_mask:0xf bound_ctrl:1
	;;#ASMEND
	;;#ASMSTART
	v_max_f32 v3, v2, v2 row_ror:4 row_mask:0xf bank_mask:0xf bound_ctrl:1
	;;#ASMEND
	;;#ASMSTART
	v_max_f32 v2, v3, v3 row_ror:8 row_mask:0xf bank_mask:0xf bound_ctrl:1
	;;#ASMEND
	;;#ASMSTART
	v_max_f32 v3, v2, v2 row_bcast:15 row_mask:0xf bank_mask:0xf bound_ctrl:1
	;;#ASMEND
	;;#ASMSTART
	v_max_f32 v2, v3, v3 row_bcast:31 row_mask:0xf bank_mask:0xf bound_ctrl:1
	;;#ASMEND
	v_mbcnt_lo_u32_b32 v3, -1, 0
	v_mbcnt_hi_u32_b32 v3, -1, v3
	v_bfrev_b32_e32 v4, 0.5
	v_lshl_or_b32 v4, v3, 2, v4
	ds_bpermute_b32 v3, v4, v2
	v_mov_b32_e32 v2, 0
	s_and_saveexec_b64 s[8:9], s[0:1]
	s_cbranch_execz .LBB292_14
; %bb.11:
	s_load_dword s2, s[4:5], 0x44
	v_lshl_add_u32 v5, v0, 2, 0
	s_mov_b64 s[18:19], 0
	v_mov_b32_e32 v2, 0
	s_mov_b32 s7, 0xc2fc0000
	s_waitcnt lgkmcnt(0)
	s_and_b32 s20, s2, 0xffff
	s_lshl_b32 s21, s20, 2
	v_mov_b32_e32 v6, 0x42800000
	v_mov_b32_e32 v7, 0x1f800000
	;; [unrolled: 1-line block ×3, first 2 shown]
.LBB292_12:                             ; =>This Inner Loop Header: Depth=1
	ds_read_b32 v9, v5
	v_add_u32_e32 v8, s20, v8
	v_cmp_le_i32_e64 s[2:3], s16, v8
	s_or_b64 s[18:19], s[2:3], s[18:19]
	s_waitcnt lgkmcnt(0)
	v_sub_f32_e32 v9, v9, v3
	v_mul_f32_e32 v10, 0x3fb8aa3b, v9
	v_cmp_gt_f32_e32 vcc, s7, v10
	v_cndmask_b32_e32 v10, 0, v6, vcc
	v_fmac_f32_e32 v10, 0x3fb8aa3b, v9
	v_exp_f32_e32 v9, v10
	v_cndmask_b32_e32 v10, 1.0, v7, vcc
	v_mul_f32_e32 v11, v9, v10
	v_fmac_f32_e32 v2, v9, v10
	ds_write_b32 v5, v11
	v_add_u32_e32 v5, s21, v5
	s_andn2_b64 exec, exec, s[18:19]
	s_cbranch_execnz .LBB292_12
; %bb.13:
	s_or_b64 exec, exec, s[18:19]
.LBB292_14:
	s_or_b64 exec, exec, s[8:9]
	s_waitcnt lgkmcnt(0)
	v_mov_b32_dpp v3, v2 quad_perm:[1,0,3,2] row_mask:0xf bank_mask:0xf
	v_add_f32_e32 v2, v2, v3
	s_nop 1
	v_mov_b32_dpp v3, v2 quad_perm:[2,3,0,1] row_mask:0xf bank_mask:0xf
	v_add_f32_e32 v2, v2, v3
	s_nop 1
	v_mov_b32_dpp v3, v2 row_half_mirror row_mask:0xf bank_mask:0xf
	v_add_f32_e32 v2, v2, v3
	s_nop 1
	v_mov_b32_dpp v3, v2 row_mirror row_mask:0xf bank_mask:0xf
	v_add_f32_e32 v2, v2, v3
	s_nop 1
	v_mov_b32_dpp v3, v2 row_bcast:15 row_mask:0xf bank_mask:0xf
	v_add_f32_e32 v2, v2, v3
	s_nop 1
	v_mov_b32_dpp v3, v2 row_bcast:31 row_mask:0xf bank_mask:0xf
	v_add_f32_e32 v2, v2, v3
	ds_bpermute_b32 v2, v4, v2
	s_and_saveexec_b64 s[8:9], s[0:1]
	s_cbranch_execz .LBB292_19
; %bb.15:
	s_load_dword s7, s[4:5], 0x44
	s_waitcnt lgkmcnt(0)
	v_rcp_f32_e32 v5, v2
	s_cmp_lg_u64 s[10:11], 0
	s_cselect_b64 s[2:3], -1, 0
	v_cndmask_b32_e64 v2, 0, 1, s[2:3]
	s_and_b32 s7, s7, 0xffff
	s_mov_b64 s[18:19], 0
	v_lshl_add_u32 v6, v0, 2, 0
	s_lshl_b32 s20, s7, 2
	v_cmp_ne_u32_e64 s[2:3], 1, v2
	v_mov_b32_e32 v2, v0
	s_branch .LBB292_17
.LBB292_16:                             ;   in Loop: Header=BB292_17 Depth=1
	v_add_u32_e32 v2, s7, v2
	v_cmp_le_i32_e32 vcc, s16, v2
	s_or_b64 s[18:19], vcc, s[18:19]
	v_add_u32_e32 v6, s20, v6
	s_andn2_b64 exec, exec, s[18:19]
	s_cbranch_execz .LBB292_19
.LBB292_17:                             ; =>This Inner Loop Header: Depth=1
	ds_read_b32 v3, v6
	s_and_b64 vcc, exec, s[2:3]
	s_waitcnt lgkmcnt(0)
	v_mul_f32_e32 v7, v5, v3
	ds_write_b32 v6, v7
	s_cbranch_vccnz .LBB292_16
; %bb.18:                               ;   in Loop: Header=BB292_17 Depth=1
	v_ashrrev_i32_e32 v3, 31, v2
	v_lshlrev_b64 v[8:9], 1, v[2:3]
	v_mov_b32_e32 v3, s11
	v_add_co_u32_e32 v8, vcc, s10, v8
	v_addc_co_u32_e32 v9, vcc, v3, v9, vcc
	global_load_ushort v3, v[8:9], off
	s_waitcnt vmcnt(0)
	v_lshlrev_b32_e32 v3, 16, v3
	v_add_f32_e32 v3, v7, v3
	ds_write_b32 v6, v3
	s_branch .LBB292_16
.LBB292_19:
	s_or_b64 exec, exec, s[8:9]
	s_cmp_lt_i32 s17, 1
	s_waitcnt lgkmcnt(0)
	s_barrier
	s_cbranch_scc1 .LBB292_28
; %bb.20:
	s_add_u32 s2, s4, 56
	s_addc_u32 s3, s5, 0
	s_cmp_lg_u64 s[10:11], 0
	s_cselect_b64 s[8:9], -1, 0
	s_mov_b32 s7, 0
	v_mov_b32_e32 v2, 0
	v_mov_b32_e32 v5, 0
	;; [unrolled: 1-line block ×4, first 2 shown]
	s_branch .LBB292_22
.LBB292_21:                             ;   in Loop: Header=BB292_22 Depth=1
	s_lshl_b32 s19, s18, 2
	s_add_i32 s19, s19, 0
	v_mov_b32_e32 v7, s19
	ds_write_b32 v7, v6
	v_mov_b32_e32 v7, s18
	v_cmp_eq_u32_e32 vcc, s7, v0
	s_add_i32 s7, s7, 1
	v_cndmask_b32_e32 v2, v2, v7, vcc
	s_cmp_eq_u32 s7, s17
	v_cndmask_b32_e32 v3, v3, v9, vcc
	s_cbranch_scc1 .LBB292_29
.LBB292_22:                             ; =>This Loop Header: Depth=1
                                        ;     Child Loop BB292_24 Depth 2
	v_mov_b32_e32 v7, s7
	v_mov_b32_e32 v8, 0xff800000
	s_and_saveexec_b64 s[18:19], s[0:1]
	s_cbranch_execz .LBB292_26
; %bb.23:                               ;   in Loop: Header=BB292_22 Depth=1
	s_load_dword s22, s[2:3], 0xc
	s_mov_b64 s[20:21], 0
	v_mov_b32_e32 v7, s7
	v_mov_b32_e32 v8, 0xff800000
	;; [unrolled: 1-line block ×3, first 2 shown]
	s_waitcnt lgkmcnt(0)
	s_and_b32 s22, s22, 0xffff
	s_lshl_b32 s23, s22, 2
	v_mov_b32_e32 v10, v0
.LBB292_24:                             ;   Parent Loop BB292_22 Depth=1
                                        ; =>  This Inner Loop Header: Depth=2
	ds_read_b32 v11, v9
	v_add_u32_e32 v9, s23, v9
	s_waitcnt lgkmcnt(0)
	v_cmp_gt_f32_e32 vcc, v11, v8
	v_cndmask_b32_e32 v7, v7, v10, vcc
	v_add_u32_e32 v10, s22, v10
	v_cndmask_b32_e32 v8, v8, v11, vcc
	v_cmp_le_i32_e32 vcc, s16, v10
	s_or_b64 s[20:21], vcc, s[20:21]
	s_andn2_b64 exec, exec, s[20:21]
	s_cbranch_execnz .LBB292_24
; %bb.25:                               ;   in Loop: Header=BB292_22 Depth=1
	s_or_b64 exec, exec, s[20:21]
.LBB292_26:                             ;   in Loop: Header=BB292_22 Depth=1
	s_or_b64 exec, exec, s[18:19]
	;;#ASMSTART
	v_max_f32 v9, v8, v8 quad_perm:[1,0,3,2] row_mask:0xf bank_mask:0xf bound_ctrl:1
	;;#ASMEND
	;;#ASMSTART
	v_max_f32 v10, v9, v9 quad_perm:[2,3,0,1] row_mask:0xf bank_mask:0xf bound_ctrl:1
	;;#ASMEND
	;;#ASMSTART
	v_max_f32 v9, v10, v10 row_half_mirror row_mask:0xf bank_mask:0xf bound_ctrl:1
	;;#ASMEND
	;;#ASMSTART
	v_max_f32 v10, v9, v9 row_mirror row_mask:0xf bank_mask:0xf bound_ctrl:1
	;;#ASMEND
	;;#ASMSTART
	v_max_f32 v9, v10, v10 row_ror:4 row_mask:0xf bank_mask:0xf bound_ctrl:1
	;;#ASMEND
	;;#ASMSTART
	v_max_f32 v10, v9, v9 row_ror:8 row_mask:0xf bank_mask:0xf bound_ctrl:1
	;;#ASMEND
	;;#ASMSTART
	v_max_f32 v9, v10, v10 row_bcast:15 row_mask:0xf bank_mask:0xf bound_ctrl:1
	;;#ASMEND
	;;#ASMSTART
	v_max_f32 v10, v9, v9 row_bcast:31 row_mask:0xf bank_mask:0xf bound_ctrl:1
	;;#ASMEND
	ds_bpermute_b32 v9, v4, v10
	s_waitcnt lgkmcnt(0)
	v_cmp_eq_f32_e32 vcc, v8, v9
	s_ff1_i32_b64 s18, vcc
	s_cmp_lg_u64 vcc, 0
	s_cselect_b32 s18, s18, 0
	s_and_b64 vcc, exec, s[8:9]
	v_readlane_b32 s18, v7, s18
	s_cbranch_vccz .LBB292_21
; %bb.27:                               ;   in Loop: Header=BB292_22 Depth=1
	s_ashr_i32 s19, s18, 31
	s_lshl_b64 s[20:21], s[18:19], 1
	s_add_u32 s20, s10, s20
	s_addc_u32 s21, s11, s21
	global_load_ushort v7, v5, s[20:21]
	s_waitcnt vmcnt(0)
	v_lshlrev_b32_e32 v7, 16, v7
	v_sub_f32_e32 v9, v9, v7
	s_branch .LBB292_21
.LBB292_28:
	v_mov_b32_e32 v3, 0
	v_mov_b32_e32 v2, 0
.LBB292_29:
	v_cmp_gt_i32_e32 vcc, s17, v0
	s_and_saveexec_b64 s[0:1], vcc
	s_cbranch_execz .LBB292_32
; %bb.30:
	s_load_dword s2, s[4:5], 0x34
	s_load_dwordx2 s[0:1], s[4:5], 0x20
	s_ashr_i32 s3, s6, 31
	s_load_dword s4, s[4:5], 0x44
	v_mov_b32_e32 v4, s13
	s_waitcnt lgkmcnt(0)
	v_mul_f32_e32 v1, s2, v3
	s_mul_i32 s1, s6, s1
	s_mul_hi_u32 s2, s6, s0
	s_add_i32 s1, s2, s1
	s_mul_i32 s3, s3, s0
	s_add_i32 s5, s1, s3
	s_mul_i32 s2, s6, s0
	s_and_b32 s3, s4, 0xffff
	s_mov_b64 s[0:1], 0
	v_mov_b32_e32 v3, s5
	v_mov_b32_e32 v5, s15
.LBB292_31:                             ; =>This Inner Loop Header: Depth=1
	v_ashrrev_i32_e32 v7, 31, v0
	v_add_co_u32_e32 v6, vcc, s2, v0
	v_addc_co_u32_e32 v7, vcc, v3, v7, vcc
	v_add_u32_e32 v0, s3, v0
	v_cmp_le_i32_e32 vcc, s17, v0
	v_lshlrev_b64 v[6:7], 2, v[6:7]
	s_or_b64 s[0:1], vcc, s[0:1]
	v_add_co_u32_e32 v8, vcc, s12, v6
	v_addc_co_u32_e32 v9, vcc, v4, v7, vcc
	v_add_co_u32_e32 v6, vcc, s14, v6
	v_addc_co_u32_e32 v7, vcc, v5, v7, vcc
	global_store_dword v[8:9], v1, off
	global_store_dword v[6:7], v2, off
	s_andn2_b64 exec, exec, s[0:1]
	s_cbranch_execnz .LBB292_31
.LBB292_32:
	s_endpgm
	.section	.rodata,"a",@progbits
	.p2align	6, 0x0
	.amdhsa_kernel _ZN5aiter20topk_softplus_kernelI12hip_bfloat16S1_Dv1_fLb0ELi2EEEvPKT_PKT0_PfPimiiif
		.amdhsa_group_segment_fixed_size 0
		.amdhsa_private_segment_fixed_size 0
		.amdhsa_kernarg_size 312
		.amdhsa_user_sgpr_count 6
		.amdhsa_user_sgpr_private_segment_buffer 1
		.amdhsa_user_sgpr_dispatch_ptr 0
		.amdhsa_user_sgpr_queue_ptr 0
		.amdhsa_user_sgpr_kernarg_segment_ptr 1
		.amdhsa_user_sgpr_dispatch_id 0
		.amdhsa_user_sgpr_flat_scratch_init 0
		.amdhsa_user_sgpr_kernarg_preload_length 0
		.amdhsa_user_sgpr_kernarg_preload_offset 0
		.amdhsa_user_sgpr_private_segment_size 0
		.amdhsa_uses_dynamic_stack 0
		.amdhsa_system_sgpr_private_segment_wavefront_offset 0
		.amdhsa_system_sgpr_workgroup_id_x 1
		.amdhsa_system_sgpr_workgroup_id_y 0
		.amdhsa_system_sgpr_workgroup_id_z 0
		.amdhsa_system_sgpr_workgroup_info 0
		.amdhsa_system_vgpr_workitem_id 0
		.amdhsa_next_free_vgpr 12
		.amdhsa_next_free_sgpr 24
		.amdhsa_accum_offset 12
		.amdhsa_reserve_vcc 1
		.amdhsa_reserve_flat_scratch 0
		.amdhsa_float_round_mode_32 0
		.amdhsa_float_round_mode_16_64 0
		.amdhsa_float_denorm_mode_32 3
		.amdhsa_float_denorm_mode_16_64 3
		.amdhsa_dx10_clamp 1
		.amdhsa_ieee_mode 1
		.amdhsa_fp16_overflow 0
		.amdhsa_tg_split 0
		.amdhsa_exception_fp_ieee_invalid_op 0
		.amdhsa_exception_fp_denorm_src 0
		.amdhsa_exception_fp_ieee_div_zero 0
		.amdhsa_exception_fp_ieee_overflow 0
		.amdhsa_exception_fp_ieee_underflow 0
		.amdhsa_exception_fp_ieee_inexact 0
		.amdhsa_exception_int_div_zero 0
	.end_amdhsa_kernel
	.section	.text._ZN5aiter20topk_softplus_kernelI12hip_bfloat16S1_Dv1_fLb0ELi2EEEvPKT_PKT0_PfPimiiif,"axG",@progbits,_ZN5aiter20topk_softplus_kernelI12hip_bfloat16S1_Dv1_fLb0ELi2EEEvPKT_PKT0_PfPimiiif,comdat
.Lfunc_end292:
	.size	_ZN5aiter20topk_softplus_kernelI12hip_bfloat16S1_Dv1_fLb0ELi2EEEvPKT_PKT0_PfPimiiif, .Lfunc_end292-_ZN5aiter20topk_softplus_kernelI12hip_bfloat16S1_Dv1_fLb0ELi2EEEvPKT_PKT0_PfPimiiif
                                        ; -- End function
	.section	.AMDGPU.csdata,"",@progbits
; Kernel info:
; codeLenInByte = 1576
; NumSgprs: 28
; NumVgprs: 12
; NumAgprs: 0
; TotalNumVgprs: 12
; ScratchSize: 0
; MemoryBound: 0
; FloatMode: 240
; IeeeMode: 1
; LDSByteSize: 0 bytes/workgroup (compile time only)
; SGPRBlocks: 3
; VGPRBlocks: 1
; NumSGPRsForWavesPerEU: 28
; NumVGPRsForWavesPerEU: 12
; AccumOffset: 12
; Occupancy: 8
; WaveLimiterHint : 0
; COMPUTE_PGM_RSRC2:SCRATCH_EN: 0
; COMPUTE_PGM_RSRC2:USER_SGPR: 6
; COMPUTE_PGM_RSRC2:TRAP_HANDLER: 0
; COMPUTE_PGM_RSRC2:TGID_X_EN: 1
; COMPUTE_PGM_RSRC2:TGID_Y_EN: 0
; COMPUTE_PGM_RSRC2:TGID_Z_EN: 0
; COMPUTE_PGM_RSRC2:TIDIG_COMP_CNT: 0
; COMPUTE_PGM_RSRC3_GFX90A:ACCUM_OFFSET: 2
; COMPUTE_PGM_RSRC3_GFX90A:TG_SPLIT: 0
	.section	.text._ZN5aiter24topk_softplus_kernel_optI12hip_bfloat16S1_Li64ELb1ELi0EEEvPKT_PKT0_PfPimiif,"axG",@progbits,_ZN5aiter24topk_softplus_kernel_optI12hip_bfloat16S1_Li64ELb1ELi0EEEvPKT_PKT0_PfPimiif,comdat
	.protected	_ZN5aiter24topk_softplus_kernel_optI12hip_bfloat16S1_Li64ELb1ELi0EEEvPKT_PKT0_PfPimiif ; -- Begin function _ZN5aiter24topk_softplus_kernel_optI12hip_bfloat16S1_Li64ELb1ELi0EEEvPKT_PKT0_PfPimiif
	.globl	_ZN5aiter24topk_softplus_kernel_optI12hip_bfloat16S1_Li64ELb1ELi0EEEvPKT_PKT0_PfPimiif
	.p2align	8
	.type	_ZN5aiter24topk_softplus_kernel_optI12hip_bfloat16S1_Li64ELb1ELi0EEEvPKT_PKT0_PfPimiif,@function
_ZN5aiter24topk_softplus_kernel_optI12hip_bfloat16S1_Li64ELb1ELi0EEEvPKT_PKT0_PfPimiif: ; @_ZN5aiter24topk_softplus_kernel_optI12hip_bfloat16S1_Li64ELb1ELi0EEEvPKT_PKT0_PfPimiif
; %bb.0:
	s_load_dwordx4 s[0:3], s[4:5], 0x0
	s_lshl_b32 s8, s6, 6
	s_ashr_i32 s9, s8, 31
	s_lshl_b64 s[8:9], s[8:9], 1
	v_lshlrev_b32_e32 v2, 1, v0
	s_waitcnt lgkmcnt(0)
	s_add_u32 s0, s0, s8
	s_addc_u32 s1, s1, s9
	global_load_ushort v1, v2, s[0:1]
	s_mov_b32 s1, 0xc2fc0000
	v_mov_b32_e32 v3, 0x42800000
	v_mov_b32_e32 v4, 0x1f800000
	s_mov_b32 s0, 0x41a00000
	s_cmp_eq_u64 s[2:3], 0
	s_waitcnt vmcnt(0)
	v_lshlrev_b32_e32 v1, 16, v1
	v_mul_f32_e32 v5, 0x3fb8aa3b, v1
	v_cmp_gt_f32_e32 vcc, s1, v5
	v_cndmask_b32_e32 v3, 0, v3, vcc
	v_fmac_f32_e32 v3, 0x3fb8aa3b, v1
	v_exp_f32_e32 v3, v3
	v_cndmask_b32_e32 v4, 1.0, v4, vcc
	s_mov_b32 s1, 0x800000
	v_mov_b32_e32 v5, 0x4f800000
	v_fma_f32 v3, v3, v4, 1.0
	v_cmp_gt_f32_e32 vcc, s1, v3
	v_cndmask_b32_e32 v4, 1.0, v5, vcc
	v_mul_f32_e32 v3, v3, v4
	v_log_f32_e32 v3, v3
	v_mov_b32_e32 v4, 0x42000000
	v_cndmask_b32_e32 v4, 0, v4, vcc
	v_cmp_lt_f32_e32 vcc, s0, v1
	v_sub_f32_e32 v3, v3, v4
	v_mul_f32_e32 v3, 0x3f317218, v3
	s_mov_b32 s1, 0xf800000
	v_cndmask_b32_e32 v1, v3, v1, vcc
	v_mul_f32_e32 v3, 0x4f800000, v1
	v_cmp_gt_f32_e32 vcc, s1, v1
	v_cndmask_b32_e32 v3, v1, v3, vcc
	v_sqrt_f32_e32 v4, v3
	v_mov_b32_e32 v5, 0x260
	v_mov_b32_e32 v1, 0
	v_add_u32_e32 v6, -1, v4
	v_add_u32_e32 v7, 1, v4
	v_fma_f32 v8, -v6, v4, v3
	v_fma_f32 v9, -v7, v4, v3
	v_cmp_ge_f32_e64 s[0:1], 0, v8
	v_cndmask_b32_e64 v4, v4, v6, s[0:1]
	v_cmp_lt_f32_e64 s[0:1], 0, v9
	v_cndmask_b32_e64 v4, v4, v7, s[0:1]
	v_mul_f32_e32 v6, 0x37800000, v4
	v_cndmask_b32_e32 v4, v4, v6, vcc
	v_cmp_class_f32_e32 vcc, v3, v5
	v_cndmask_b32_e32 v3, v4, v3, vcc
	v_mov_b32_e32 v4, v3
	s_cbranch_scc1 .LBB293_2
; %bb.1:
	global_load_ushort v2, v2, s[2:3]
	s_waitcnt vmcnt(0)
	v_lshlrev_b32_e32 v2, 16, v2
	v_add_f32_e32 v4, v3, v2
.LBB293_2:
	s_load_dword s2, s[4:5], 0x28
	s_load_dwordx4 s[8:11], s[4:5], 0x10
	s_mov_b32 s3, 0
	v_mov_b32_e32 v5, 0
	v_mov_b32_e32 v2, 0
	s_waitcnt lgkmcnt(0)
	s_cmp_lt_i32 s2, 1
	s_cbranch_scc1 .LBB293_5
; %bb.3:
	v_mbcnt_lo_u32_b32 v1, -1, 0
	v_mbcnt_hi_u32_b32 v1, -1, v1
	v_bfrev_b32_e32 v2, 0.5
	v_mov_b32_e32 v6, 0
	v_mov_b32_e32 v7, 0xff800000
	v_lshl_or_b32 v8, v1, 2, v2
	v_mov_b32_e32 v5, 0
	v_mov_b32_e32 v1, 0
	v_mov_b32_e32 v2, 0
.LBB293_4:                              ; =>This Inner Loop Header: Depth=1
	v_cmp_eq_u32_e32 vcc, 0, v6
	v_cndmask_b32_e32 v9, v7, v4, vcc
	;;#ASMSTART
	v_max_f32 v11, v9, v9 quad_perm:[1,0,3,2] row_mask:0xf bank_mask:0xf bound_ctrl:1
	;;#ASMEND
	;;#ASMSTART
	v_max_f32 v12, v11, v11 quad_perm:[2,3,0,1] row_mask:0xf bank_mask:0xf bound_ctrl:1
	;;#ASMEND
	;;#ASMSTART
	v_max_f32 v11, v12, v12 row_half_mirror row_mask:0xf bank_mask:0xf bound_ctrl:1
	;;#ASMEND
	;;#ASMSTART
	v_max_f32 v12, v11, v11 row_mirror row_mask:0xf bank_mask:0xf bound_ctrl:1
	;;#ASMEND
	;;#ASMSTART
	v_max_f32 v11, v12, v12 row_ror:4 row_mask:0xf bank_mask:0xf bound_ctrl:1
	;;#ASMEND
	;;#ASMSTART
	v_max_f32 v12, v11, v11 row_ror:8 row_mask:0xf bank_mask:0xf bound_ctrl:1
	;;#ASMEND
	;;#ASMSTART
	v_max_f32 v11, v12, v12 row_bcast:15 row_mask:0xf bank_mask:0xf bound_ctrl:1
	;;#ASMEND
	;;#ASMSTART
	v_max_f32 v12, v11, v11 row_bcast:31 row_mask:0xf bank_mask:0xf bound_ctrl:1
	;;#ASMEND
	ds_bpermute_b32 v11, v8, v12
	v_cndmask_b32_e32 v10, 0, v0, vcc
	s_waitcnt lgkmcnt(0)
	v_cmp_eq_f32_e64 s[0:1], v9, v11
	s_ff1_i32_b64 s7, s[0:1]
	s_cmp_lg_u64 s[0:1], 0
	s_cselect_b32 s0, s7, 0
	s_nop 0
	v_readlane_b32 s7, v10, s0
	v_cmp_eq_u32_e64 s[0:1], s7, v0
	s_and_b64 vcc, vcc, s[0:1]
	s_and_b32 s12, s7, 63
	v_cndmask_b32_e32 v10, 0, v3, vcc
	v_addc_co_u32_e32 v6, vcc, 0, v6, vcc
	v_readlane_b32 s0, v10, s12
	v_mov_b32_e32 v9, s7
	v_mov_b32_e32 v10, s0
	v_cmp_eq_u32_e32 vcc, s3, v0
	s_add_i32 s3, s3, 1
	v_add_f32_e32 v5, s0, v5
	v_cndmask_b32_e32 v2, v2, v10, vcc
	s_cmp_eq_u32 s2, s3
	v_cndmask_b32_e32 v1, v1, v9, vcc
	s_cbranch_scc0 .LBB293_4
.LBB293_5:
	v_cmp_gt_i32_e32 vcc, s2, v0
	s_and_saveexec_b64 s[0:1], vcc
	s_cbranch_execz .LBB293_7
; %bb.6:
	s_load_dword s2, s[4:5], 0x30
	v_max_f32_e32 v3, v5, v5
	v_max_f32_e32 v3, 0x1e3ce508, v3
	v_lshlrev_b32_e32 v0, 2, v0
	s_waitcnt lgkmcnt(0)
	v_div_scale_f32 v4, s[0:1], v3, v3, s2
	v_rcp_f32_e32 v5, v4
	v_div_scale_f32 v6, vcc, s2, v3, s2
	s_load_dwordx2 s[0:1], s[4:5], 0x20
	v_fma_f32 v7, -v4, v5, 1.0
	v_fmac_f32_e32 v5, v7, v5
	v_mul_f32_e32 v7, v6, v5
	v_fma_f32 v8, -v4, v7, v6
	v_fmac_f32_e32 v7, v8, v5
	v_fma_f32 v4, -v4, v7, v6
	v_div_fmas_f32 v4, v4, v5, v7
	v_div_fixup_f32 v3, v4, v3, s2
	s_ashr_i32 s2, s6, 31
	s_waitcnt lgkmcnt(0)
	s_mul_i32 s1, s6, s1
	s_mul_hi_u32 s3, s6, s0
	s_add_i32 s1, s3, s1
	s_mul_i32 s2, s2, s0
	s_add_i32 s1, s1, s2
	s_mul_i32 s0, s6, s0
	s_lshl_b64 s[0:1], s[0:1], 2
	s_add_u32 s2, s8, s0
	s_addc_u32 s3, s9, s1
	s_add_u32 s0, s10, s0
	v_mul_f32_e32 v2, v2, v3
	s_addc_u32 s1, s11, s1
	global_store_dword v0, v2, s[2:3]
	global_store_dword v0, v1, s[0:1]
.LBB293_7:
	s_endpgm
	.section	.rodata,"a",@progbits
	.p2align	6, 0x0
	.amdhsa_kernel _ZN5aiter24topk_softplus_kernel_optI12hip_bfloat16S1_Li64ELb1ELi0EEEvPKT_PKT0_PfPimiif
		.amdhsa_group_segment_fixed_size 0
		.amdhsa_private_segment_fixed_size 0
		.amdhsa_kernarg_size 52
		.amdhsa_user_sgpr_count 6
		.amdhsa_user_sgpr_private_segment_buffer 1
		.amdhsa_user_sgpr_dispatch_ptr 0
		.amdhsa_user_sgpr_queue_ptr 0
		.amdhsa_user_sgpr_kernarg_segment_ptr 1
		.amdhsa_user_sgpr_dispatch_id 0
		.amdhsa_user_sgpr_flat_scratch_init 0
		.amdhsa_user_sgpr_kernarg_preload_length 0
		.amdhsa_user_sgpr_kernarg_preload_offset 0
		.amdhsa_user_sgpr_private_segment_size 0
		.amdhsa_uses_dynamic_stack 0
		.amdhsa_system_sgpr_private_segment_wavefront_offset 0
		.amdhsa_system_sgpr_workgroup_id_x 1
		.amdhsa_system_sgpr_workgroup_id_y 0
		.amdhsa_system_sgpr_workgroup_id_z 0
		.amdhsa_system_sgpr_workgroup_info 0
		.amdhsa_system_vgpr_workitem_id 0
		.amdhsa_next_free_vgpr 13
		.amdhsa_next_free_sgpr 13
		.amdhsa_accum_offset 16
		.amdhsa_reserve_vcc 1
		.amdhsa_reserve_flat_scratch 0
		.amdhsa_float_round_mode_32 0
		.amdhsa_float_round_mode_16_64 0
		.amdhsa_float_denorm_mode_32 3
		.amdhsa_float_denorm_mode_16_64 3
		.amdhsa_dx10_clamp 1
		.amdhsa_ieee_mode 1
		.amdhsa_fp16_overflow 0
		.amdhsa_tg_split 0
		.amdhsa_exception_fp_ieee_invalid_op 0
		.amdhsa_exception_fp_denorm_src 0
		.amdhsa_exception_fp_ieee_div_zero 0
		.amdhsa_exception_fp_ieee_overflow 0
		.amdhsa_exception_fp_ieee_underflow 0
		.amdhsa_exception_fp_ieee_inexact 0
		.amdhsa_exception_int_div_zero 0
	.end_amdhsa_kernel
	.section	.text._ZN5aiter24topk_softplus_kernel_optI12hip_bfloat16S1_Li64ELb1ELi0EEEvPKT_PKT0_PfPimiif,"axG",@progbits,_ZN5aiter24topk_softplus_kernel_optI12hip_bfloat16S1_Li64ELb1ELi0EEEvPKT_PKT0_PfPimiif,comdat
.Lfunc_end293:
	.size	_ZN5aiter24topk_softplus_kernel_optI12hip_bfloat16S1_Li64ELb1ELi0EEEvPKT_PKT0_PfPimiif, .Lfunc_end293-_ZN5aiter24topk_softplus_kernel_optI12hip_bfloat16S1_Li64ELb1ELi0EEEvPKT_PKT0_PfPimiif
                                        ; -- End function
	.section	.AMDGPU.csdata,"",@progbits
; Kernel info:
; codeLenInByte = 812
; NumSgprs: 17
; NumVgprs: 13
; NumAgprs: 0
; TotalNumVgprs: 13
; ScratchSize: 0
; MemoryBound: 0
; FloatMode: 240
; IeeeMode: 1
; LDSByteSize: 0 bytes/workgroup (compile time only)
; SGPRBlocks: 2
; VGPRBlocks: 1
; NumSGPRsForWavesPerEU: 17
; NumVGPRsForWavesPerEU: 13
; AccumOffset: 16
; Occupancy: 8
; WaveLimiterHint : 0
; COMPUTE_PGM_RSRC2:SCRATCH_EN: 0
; COMPUTE_PGM_RSRC2:USER_SGPR: 6
; COMPUTE_PGM_RSRC2:TRAP_HANDLER: 0
; COMPUTE_PGM_RSRC2:TGID_X_EN: 1
; COMPUTE_PGM_RSRC2:TGID_Y_EN: 0
; COMPUTE_PGM_RSRC2:TGID_Z_EN: 0
; COMPUTE_PGM_RSRC2:TIDIG_COMP_CNT: 0
; COMPUTE_PGM_RSRC3_GFX90A:ACCUM_OFFSET: 3
; COMPUTE_PGM_RSRC3_GFX90A:TG_SPLIT: 0
	.section	.text._ZN5aiter24topk_softplus_kernel_optI12hip_bfloat16S1_Li64ELb0ELi0EEEvPKT_PKT0_PfPimiif,"axG",@progbits,_ZN5aiter24topk_softplus_kernel_optI12hip_bfloat16S1_Li64ELb0ELi0EEEvPKT_PKT0_PfPimiif,comdat
	.protected	_ZN5aiter24topk_softplus_kernel_optI12hip_bfloat16S1_Li64ELb0ELi0EEEvPKT_PKT0_PfPimiif ; -- Begin function _ZN5aiter24topk_softplus_kernel_optI12hip_bfloat16S1_Li64ELb0ELi0EEEvPKT_PKT0_PfPimiif
	.globl	_ZN5aiter24topk_softplus_kernel_optI12hip_bfloat16S1_Li64ELb0ELi0EEEvPKT_PKT0_PfPimiif
	.p2align	8
	.type	_ZN5aiter24topk_softplus_kernel_optI12hip_bfloat16S1_Li64ELb0ELi0EEEvPKT_PKT0_PfPimiif,@function
_ZN5aiter24topk_softplus_kernel_optI12hip_bfloat16S1_Li64ELb0ELi0EEEvPKT_PKT0_PfPimiif: ; @_ZN5aiter24topk_softplus_kernel_optI12hip_bfloat16S1_Li64ELb0ELi0EEEvPKT_PKT0_PfPimiif
; %bb.0:
	s_load_dwordx4 s[0:3], s[4:5], 0x0
	s_lshl_b32 s8, s6, 6
	s_ashr_i32 s9, s8, 31
	s_lshl_b64 s[8:9], s[8:9], 1
	v_lshlrev_b32_e32 v2, 1, v0
	s_waitcnt lgkmcnt(0)
	s_add_u32 s0, s0, s8
	s_addc_u32 s1, s1, s9
	global_load_ushort v1, v2, s[0:1]
	s_mov_b32 s1, 0xc2fc0000
	v_mov_b32_e32 v3, 0x42800000
	v_mov_b32_e32 v4, 0x1f800000
	s_mov_b32 s0, 0x41a00000
	s_cmp_eq_u64 s[2:3], 0
	s_waitcnt vmcnt(0)
	v_lshlrev_b32_e32 v1, 16, v1
	v_mul_f32_e32 v5, 0x3fb8aa3b, v1
	v_cmp_gt_f32_e32 vcc, s1, v5
	v_cndmask_b32_e32 v3, 0, v3, vcc
	v_fmac_f32_e32 v3, 0x3fb8aa3b, v1
	v_exp_f32_e32 v3, v3
	v_cndmask_b32_e32 v4, 1.0, v4, vcc
	s_mov_b32 s1, 0x800000
	v_mov_b32_e32 v5, 0x4f800000
	v_fma_f32 v3, v3, v4, 1.0
	v_cmp_gt_f32_e32 vcc, s1, v3
	v_cndmask_b32_e32 v4, 1.0, v5, vcc
	v_mul_f32_e32 v3, v3, v4
	v_log_f32_e32 v3, v3
	v_mov_b32_e32 v4, 0x42000000
	v_cndmask_b32_e32 v4, 0, v4, vcc
	v_cmp_lt_f32_e32 vcc, s0, v1
	v_sub_f32_e32 v3, v3, v4
	v_mul_f32_e32 v3, 0x3f317218, v3
	s_mov_b32 s1, 0xf800000
	v_cndmask_b32_e32 v1, v3, v1, vcc
	v_mul_f32_e32 v3, 0x4f800000, v1
	v_cmp_gt_f32_e32 vcc, s1, v1
	v_cndmask_b32_e32 v3, v1, v3, vcc
	v_sqrt_f32_e32 v4, v3
	v_mov_b32_e32 v5, 0x260
	v_mov_b32_e32 v1, 0
	v_add_u32_e32 v6, -1, v4
	v_add_u32_e32 v7, 1, v4
	v_fma_f32 v8, -v6, v4, v3
	v_fma_f32 v9, -v7, v4, v3
	v_cmp_ge_f32_e64 s[0:1], 0, v8
	v_cndmask_b32_e64 v4, v4, v6, s[0:1]
	v_cmp_lt_f32_e64 s[0:1], 0, v9
	v_cndmask_b32_e64 v4, v4, v7, s[0:1]
	v_mul_f32_e32 v6, 0x37800000, v4
	v_cndmask_b32_e32 v4, v4, v6, vcc
	v_cmp_class_f32_e32 vcc, v3, v5
	v_cndmask_b32_e32 v3, v4, v3, vcc
	v_mov_b32_e32 v4, v3
	s_cbranch_scc1 .LBB294_2
; %bb.1:
	global_load_ushort v2, v2, s[2:3]
	s_waitcnt vmcnt(0)
	v_lshlrev_b32_e32 v2, 16, v2
	v_add_f32_e32 v4, v3, v2
.LBB294_2:
	s_load_dword s2, s[4:5], 0x28
	s_load_dwordx4 s[8:11], s[4:5], 0x10
	s_waitcnt lgkmcnt(0)
	s_cmp_lt_i32 s2, 1
	s_cbranch_scc1 .LBB294_8
; %bb.3:
	v_mbcnt_lo_u32_b32 v1, -1, 0
	v_mbcnt_hi_u32_b32 v1, -1, v1
	v_bfrev_b32_e32 v7, 0.5
	s_mov_b32 s3, 0
	v_mov_b32_e32 v5, 0
	v_mov_b32_e32 v2, 0
	;; [unrolled: 1-line block ×3, first 2 shown]
	v_lshl_or_b32 v7, v1, 2, v7
	v_mov_b32_e32 v1, 0
.LBB294_4:                              ; =>This Inner Loop Header: Depth=1
	v_cmp_eq_u32_e32 vcc, 0, v5
	v_cndmask_b32_e32 v8, v6, v4, vcc
	;;#ASMSTART
	v_max_f32 v10, v8, v8 quad_perm:[1,0,3,2] row_mask:0xf bank_mask:0xf bound_ctrl:1
	;;#ASMEND
	;;#ASMSTART
	v_max_f32 v11, v10, v10 quad_perm:[2,3,0,1] row_mask:0xf bank_mask:0xf bound_ctrl:1
	;;#ASMEND
	;;#ASMSTART
	v_max_f32 v10, v11, v11 row_half_mirror row_mask:0xf bank_mask:0xf bound_ctrl:1
	;;#ASMEND
	;;#ASMSTART
	v_max_f32 v11, v10, v10 row_mirror row_mask:0xf bank_mask:0xf bound_ctrl:1
	;;#ASMEND
	;;#ASMSTART
	v_max_f32 v10, v11, v11 row_ror:4 row_mask:0xf bank_mask:0xf bound_ctrl:1
	;;#ASMEND
	;;#ASMSTART
	v_max_f32 v11, v10, v10 row_ror:8 row_mask:0xf bank_mask:0xf bound_ctrl:1
	;;#ASMEND
	;;#ASMSTART
	v_max_f32 v10, v11, v11 row_bcast:15 row_mask:0xf bank_mask:0xf bound_ctrl:1
	;;#ASMEND
	;;#ASMSTART
	v_max_f32 v11, v10, v10 row_bcast:31 row_mask:0xf bank_mask:0xf bound_ctrl:1
	;;#ASMEND
	ds_bpermute_b32 v10, v7, v11
	v_cndmask_b32_e32 v9, 0, v0, vcc
	s_waitcnt lgkmcnt(0)
	v_cmp_eq_f32_e64 s[0:1], v8, v10
	s_ff1_i32_b64 s7, s[0:1]
	s_cmp_lg_u64 s[0:1], 0
	s_cselect_b32 s0, s7, 0
	s_nop 0
	v_readlane_b32 s7, v9, s0
	v_cmp_eq_u32_e64 s[0:1], s7, v0
	s_and_b64 vcc, vcc, s[0:1]
	s_and_b32 s12, s7, 63
	v_cndmask_b32_e32 v9, 0, v3, vcc
	v_addc_co_u32_e32 v5, vcc, 0, v5, vcc
	v_readlane_b32 s0, v9, s12
	v_mov_b32_e32 v8, s7
	v_mov_b32_e32 v9, s0
	v_cmp_eq_u32_e32 vcc, s3, v0
	s_add_i32 s3, s3, 1
	v_cndmask_b32_e32 v2, v2, v9, vcc
	s_cmp_eq_u32 s2, s3
	v_cndmask_b32_e32 v1, v1, v8, vcc
	s_cbranch_scc0 .LBB294_4
; %bb.5:
	v_cmp_gt_i32_e32 vcc, s2, v0
	s_and_saveexec_b64 s[0:1], vcc
	s_cbranch_execz .LBB294_7
.LBB294_6:
	s_load_dword s2, s[4:5], 0x30
	s_load_dwordx2 s[0:1], s[4:5], 0x20
	s_ashr_i32 s3, s6, 31
	v_lshlrev_b32_e32 v0, 2, v0
	s_waitcnt lgkmcnt(0)
	v_mul_f32_e32 v2, s2, v2
	s_mul_i32 s1, s6, s1
	s_mul_hi_u32 s2, s6, s0
	s_add_i32 s1, s2, s1
	s_mul_i32 s3, s3, s0
	s_add_i32 s1, s1, s3
	s_mul_i32 s0, s6, s0
	s_lshl_b64 s[0:1], s[0:1], 2
	s_add_u32 s2, s8, s0
	s_addc_u32 s3, s9, s1
	s_add_u32 s0, s10, s0
	s_addc_u32 s1, s11, s1
	global_store_dword v0, v2, s[2:3]
	global_store_dword v0, v1, s[0:1]
.LBB294_7:
	s_endpgm
.LBB294_8:
	v_mov_b32_e32 v2, 0
	v_cmp_gt_i32_e32 vcc, s2, v0
	s_and_saveexec_b64 s[0:1], vcc
	s_cbranch_execnz .LBB294_6
	s_branch .LBB294_7
	.section	.rodata,"a",@progbits
	.p2align	6, 0x0
	.amdhsa_kernel _ZN5aiter24topk_softplus_kernel_optI12hip_bfloat16S1_Li64ELb0ELi0EEEvPKT_PKT0_PfPimiif
		.amdhsa_group_segment_fixed_size 0
		.amdhsa_private_segment_fixed_size 0
		.amdhsa_kernarg_size 52
		.amdhsa_user_sgpr_count 6
		.amdhsa_user_sgpr_private_segment_buffer 1
		.amdhsa_user_sgpr_dispatch_ptr 0
		.amdhsa_user_sgpr_queue_ptr 0
		.amdhsa_user_sgpr_kernarg_segment_ptr 1
		.amdhsa_user_sgpr_dispatch_id 0
		.amdhsa_user_sgpr_flat_scratch_init 0
		.amdhsa_user_sgpr_kernarg_preload_length 0
		.amdhsa_user_sgpr_kernarg_preload_offset 0
		.amdhsa_user_sgpr_private_segment_size 0
		.amdhsa_uses_dynamic_stack 0
		.amdhsa_system_sgpr_private_segment_wavefront_offset 0
		.amdhsa_system_sgpr_workgroup_id_x 1
		.amdhsa_system_sgpr_workgroup_id_y 0
		.amdhsa_system_sgpr_workgroup_id_z 0
		.amdhsa_system_sgpr_workgroup_info 0
		.amdhsa_system_vgpr_workitem_id 0
		.amdhsa_next_free_vgpr 12
		.amdhsa_next_free_sgpr 13
		.amdhsa_accum_offset 12
		.amdhsa_reserve_vcc 1
		.amdhsa_reserve_flat_scratch 0
		.amdhsa_float_round_mode_32 0
		.amdhsa_float_round_mode_16_64 0
		.amdhsa_float_denorm_mode_32 3
		.amdhsa_float_denorm_mode_16_64 3
		.amdhsa_dx10_clamp 1
		.amdhsa_ieee_mode 1
		.amdhsa_fp16_overflow 0
		.amdhsa_tg_split 0
		.amdhsa_exception_fp_ieee_invalid_op 0
		.amdhsa_exception_fp_denorm_src 0
		.amdhsa_exception_fp_ieee_div_zero 0
		.amdhsa_exception_fp_ieee_overflow 0
		.amdhsa_exception_fp_ieee_underflow 0
		.amdhsa_exception_fp_ieee_inexact 0
		.amdhsa_exception_int_div_zero 0
	.end_amdhsa_kernel
	.section	.text._ZN5aiter24topk_softplus_kernel_optI12hip_bfloat16S1_Li64ELb0ELi0EEEvPKT_PKT0_PfPimiif,"axG",@progbits,_ZN5aiter24topk_softplus_kernel_optI12hip_bfloat16S1_Li64ELb0ELi0EEEvPKT_PKT0_PfPimiif,comdat
.Lfunc_end294:
	.size	_ZN5aiter24topk_softplus_kernel_optI12hip_bfloat16S1_Li64ELb0ELi0EEEvPKT_PKT0_PfPimiif, .Lfunc_end294-_ZN5aiter24topk_softplus_kernel_optI12hip_bfloat16S1_Li64ELb0ELi0EEEvPKT_PKT0_PfPimiif
                                        ; -- End function
	.section	.AMDGPU.csdata,"",@progbits
; Kernel info:
; codeLenInByte = 728
; NumSgprs: 17
; NumVgprs: 12
; NumAgprs: 0
; TotalNumVgprs: 12
; ScratchSize: 0
; MemoryBound: 0
; FloatMode: 240
; IeeeMode: 1
; LDSByteSize: 0 bytes/workgroup (compile time only)
; SGPRBlocks: 2
; VGPRBlocks: 1
; NumSGPRsForWavesPerEU: 17
; NumVGPRsForWavesPerEU: 12
; AccumOffset: 12
; Occupancy: 8
; WaveLimiterHint : 0
; COMPUTE_PGM_RSRC2:SCRATCH_EN: 0
; COMPUTE_PGM_RSRC2:USER_SGPR: 6
; COMPUTE_PGM_RSRC2:TRAP_HANDLER: 0
; COMPUTE_PGM_RSRC2:TGID_X_EN: 1
; COMPUTE_PGM_RSRC2:TGID_Y_EN: 0
; COMPUTE_PGM_RSRC2:TGID_Z_EN: 0
; COMPUTE_PGM_RSRC2:TIDIG_COMP_CNT: 0
; COMPUTE_PGM_RSRC3_GFX90A:ACCUM_OFFSET: 2
; COMPUTE_PGM_RSRC3_GFX90A:TG_SPLIT: 0
	.section	.text._ZN5aiter24topk_softplus_kernel_optI12hip_bfloat16S1_Li128ELb1ELi0EEEvPKT_PKT0_PfPimiif,"axG",@progbits,_ZN5aiter24topk_softplus_kernel_optI12hip_bfloat16S1_Li128ELb1ELi0EEEvPKT_PKT0_PfPimiif,comdat
	.protected	_ZN5aiter24topk_softplus_kernel_optI12hip_bfloat16S1_Li128ELb1ELi0EEEvPKT_PKT0_PfPimiif ; -- Begin function _ZN5aiter24topk_softplus_kernel_optI12hip_bfloat16S1_Li128ELb1ELi0EEEvPKT_PKT0_PfPimiif
	.globl	_ZN5aiter24topk_softplus_kernel_optI12hip_bfloat16S1_Li128ELb1ELi0EEEvPKT_PKT0_PfPimiif
	.p2align	8
	.type	_ZN5aiter24topk_softplus_kernel_optI12hip_bfloat16S1_Li128ELb1ELi0EEEvPKT_PKT0_PfPimiif,@function
_ZN5aiter24topk_softplus_kernel_optI12hip_bfloat16S1_Li128ELb1ELi0EEEvPKT_PKT0_PfPimiif: ; @_ZN5aiter24topk_softplus_kernel_optI12hip_bfloat16S1_Li128ELb1ELi0EEEvPKT_PKT0_PfPimiif
; %bb.0:
	s_load_dwordx4 s[8:11], s[4:5], 0x0
	s_lshl_b32 s0, s6, 7
	s_ashr_i32 s1, s0, 31
	s_lshl_b64 s[0:1], s[0:1], 1
	v_lshlrev_b32_e32 v1, 1, v0
	s_waitcnt lgkmcnt(0)
	s_add_u32 s0, s8, s0
	s_addc_u32 s1, s9, s1
	global_load_ushort v2, v1, s[0:1]
	s_mov_b32 s12, 0xc2fc0000
	v_mov_b32_e32 v7, 0x42800000
	v_mov_b32_e32 v8, 0x1f800000
	s_mov_b32 s13, 0x800000
	v_mov_b32_e32 v9, 0x4f800000
	v_mov_b32_e32 v10, 0x42000000
	s_mov_b32 s7, 0x41a00000
	s_mov_b32 s14, 0xf800000
	v_mov_b32_e32 v4, 0x260
	s_cmp_lg_u64 s[10:11], 0
	s_cselect_b64 s[8:9], -1, 0
	s_waitcnt vmcnt(0)
	v_lshlrev_b32_e32 v2, 16, v2
	v_mul_f32_e32 v3, 0x3fb8aa3b, v2
	v_cmp_gt_f32_e32 vcc, s12, v3
	v_cndmask_b32_e32 v3, 0, v7, vcc
	v_fmac_f32_e32 v3, 0x3fb8aa3b, v2
	v_exp_f32_e32 v3, v3
	v_cndmask_b32_e32 v5, 1.0, v8, vcc
	v_fma_f32 v3, v3, v5, 1.0
	v_cmp_gt_f32_e32 vcc, s13, v3
	v_cndmask_b32_e32 v5, 1.0, v9, vcc
	v_mul_f32_e32 v3, v3, v5
	v_log_f32_e32 v3, v3
	v_cndmask_b32_e32 v6, 0, v10, vcc
	v_cmp_lt_f32_e32 vcc, s7, v2
	v_mov_b32_e32 v5, s1
	v_sub_f32_e32 v3, v3, v6
	v_mul_f32_e32 v3, 0x3f317218, v3
	v_cndmask_b32_e32 v2, v3, v2, vcc
	v_mul_f32_e32 v3, 0x4f800000, v2
	v_cmp_gt_f32_e32 vcc, s14, v2
	v_cndmask_b32_e32 v6, v2, v3, vcc
	v_sqrt_f32_e32 v11, v6
	v_add_co_u32_e64 v2, s[0:1], s0, v1
	v_addc_co_u32_e64 v3, s[0:1], 0, v5, s[0:1]
	v_add_u32_e32 v5, -1, v11
	v_add_u32_e32 v12, 1, v11
	v_fma_f32 v13, -v5, v11, v6
	v_fma_f32 v14, -v12, v11, v6
	v_cmp_ge_f32_e64 s[2:3], 0, v13
	v_cndmask_b32_e64 v5, v11, v5, s[2:3]
	v_cmp_lt_f32_e64 s[2:3], 0, v14
	v_cndmask_b32_e64 v5, v5, v12, s[2:3]
	v_mul_f32_e32 v11, 0x37800000, v5
	v_cndmask_b32_e32 v5, v5, v11, vcc
	v_cmp_class_f32_e32 vcc, v6, v4
	s_and_b64 s[0:1], exec, s[8:9]
	v_cndmask_b32_e32 v6, v5, v6, vcc
	v_mov_b32_e32 v5, v6
	s_mov_b64 vcc, s[0:1]
	s_cbranch_vccz .LBB295_2
; %bb.1:
	global_load_ushort v5, v1, s[10:11]
	s_waitcnt vmcnt(0)
	v_lshlrev_b32_e32 v5, 16, v5
	v_add_f32_e32 v5, v6, v5
.LBB295_2:
	global_load_ushort v2, v[2:3], off offset:128
	s_waitcnt vmcnt(0)
	v_lshlrev_b32_e32 v2, 16, v2
	v_mul_f32_e32 v3, 0x3fb8aa3b, v2
	v_cmp_gt_f32_e32 vcc, s12, v3
	v_cndmask_b32_e32 v3, 0, v7, vcc
	v_fmac_f32_e32 v3, 0x3fb8aa3b, v2
	v_exp_f32_e32 v3, v3
	v_cndmask_b32_e32 v7, 1.0, v8, vcc
	v_fma_f32 v3, v3, v7, 1.0
	v_cmp_gt_f32_e32 vcc, s13, v3
	v_cndmask_b32_e32 v7, 1.0, v9, vcc
	v_mul_f32_e32 v3, v3, v7
	v_log_f32_e32 v3, v3
	v_cndmask_b32_e32 v7, 0, v10, vcc
	v_cmp_lt_f32_e32 vcc, s7, v2
	v_sub_f32_e32 v3, v3, v7
	v_mul_f32_e32 v3, 0x3f317218, v3
	v_cndmask_b32_e32 v2, v3, v2, vcc
	v_mul_f32_e32 v3, 0x4f800000, v2
	v_cmp_gt_f32_e32 vcc, s14, v2
	v_cndmask_b32_e32 v2, v2, v3, vcc
	v_sqrt_f32_e32 v3, v2
	v_add_u32_e32 v7, -1, v3
	v_add_u32_e32 v8, 1, v3
	v_fma_f32 v9, -v7, v3, v2
	v_fma_f32 v10, -v8, v3, v2
	v_cmp_ge_f32_e64 s[0:1], 0, v9
	v_cndmask_b32_e64 v3, v3, v7, s[0:1]
	v_cmp_lt_f32_e64 s[0:1], 0, v10
	v_cndmask_b32_e64 v3, v3, v8, s[0:1]
	v_mul_f32_e32 v7, 0x37800000, v3
	v_cndmask_b32_e32 v3, v3, v7, vcc
	v_cmp_class_f32_e32 vcc, v2, v4
	v_cndmask_b32_e32 v10, v3, v2, vcc
	s_andn2_b64 vcc, exec, s[8:9]
	v_mov_b32_e32 v4, v10
	s_cbranch_vccnz .LBB295_4
; %bb.3:
	global_load_ushort v1, v1, s[10:11] offset:128
	s_waitcnt vmcnt(0)
	v_lshlrev_b32_e32 v1, 16, v1
	v_add_f32_e32 v4, v10, v1
.LBB295_4:
	s_load_dword s2, s[4:5], 0x28
	s_load_dwordx4 s[8:11], s[4:5], 0x10
	v_mov_b32_e32 v9, 0
	v_mov_b32_e32 v7, 0
	;; [unrolled: 1-line block ×3, first 2 shown]
	s_waitcnt lgkmcnt(0)
	s_cmp_gt_i32 s2, 0
	s_cbranch_scc0 .LBB295_7
; %bb.5:
	v_mbcnt_lo_u32_b32 v7, -1, 0
	v_add_u32_e32 v2, 64, v0
	v_cmp_lt_f32_e32 vcc, v5, v4
	v_mbcnt_hi_u32_b32 v7, -1, v7
	v_bfrev_b32_e32 v8, 0.5
	v_cndmask_b32_e32 v1, v2, v0, vcc
	v_cndmask_b32_e32 v2, v0, v2, vcc
	;; [unrolled: 1-line block ×6, first 2 shown]
	v_mov_b32_e32 v9, 0
	v_mov_b32_e32 v10, 0
	;; [unrolled: 1-line block ×3, first 2 shown]
	v_lshl_or_b32 v12, v7, 2, v8
	v_mov_b32_e32 v13, v0
	s_mov_b32 s3, s2
	v_mov_b32_e32 v7, 0
	v_mov_b32_e32 v8, 0
.LBB295_6:                              ; =>This Inner Loop Header: Depth=1
	v_cmp_eq_u32_e32 vcc, 1, v10
	v_cndmask_b32_e32 v14, v4, v3, vcc
	v_cmp_gt_u32_e64 s[0:1], 2, v10
	v_cndmask_b32_e64 v14, v11, v14, s[0:1]
	;;#ASMSTART
	v_max_f32 v18, v14, v14 quad_perm:[1,0,3,2] row_mask:0xf bank_mask:0xf bound_ctrl:1
	;;#ASMEND
	;;#ASMSTART
	v_max_f32 v19, v18, v18 quad_perm:[2,3,0,1] row_mask:0xf bank_mask:0xf bound_ctrl:1
	;;#ASMEND
	;;#ASMSTART
	v_max_f32 v18, v19, v19 row_half_mirror row_mask:0xf bank_mask:0xf bound_ctrl:1
	;;#ASMEND
	;;#ASMSTART
	v_max_f32 v19, v18, v18 row_mirror row_mask:0xf bank_mask:0xf bound_ctrl:1
	;;#ASMEND
	;;#ASMSTART
	v_max_f32 v18, v19, v19 row_ror:4 row_mask:0xf bank_mask:0xf bound_ctrl:1
	;;#ASMEND
	;;#ASMSTART
	v_max_f32 v19, v18, v18 row_ror:8 row_mask:0xf bank_mask:0xf bound_ctrl:1
	;;#ASMEND
	;;#ASMSTART
	v_max_f32 v18, v19, v19 row_bcast:15 row_mask:0xf bank_mask:0xf bound_ctrl:1
	;;#ASMEND
	;;#ASMSTART
	v_max_f32 v19, v18, v18 row_bcast:31 row_mask:0xf bank_mask:0xf bound_ctrl:1
	;;#ASMEND
	ds_bpermute_b32 v18, v12, v19
	v_cndmask_b32_e32 v15, v2, v1, vcc
	v_cndmask_b32_e32 v16, v6, v5, vcc
	v_cndmask_b32_e64 v17, 0, v15, s[0:1]
	s_waitcnt lgkmcnt(0)
	v_cmp_eq_f32_e32 vcc, v14, v18
	s_ff1_i32_b64 s7, vcc
	s_cmp_lg_u64 vcc, 0
	s_cselect_b32 s7, s7, 0
	v_readlane_b32 s7, v17, s7
	v_cmp_eq_u32_e32 vcc, s7, v15
	s_and_b64 vcc, s[0:1], vcc
	s_and_b32 s12, s7, 63
	v_cndmask_b32_e32 v15, 0, v16, vcc
	v_addc_co_u32_e32 v10, vcc, 0, v10, vcc
	v_readlane_b32 s0, v15, s12
	s_add_i32 s3, s3, -1
	v_mov_b32_e32 v14, s7
	v_mov_b32_e32 v15, s0
	v_cmp_eq_u32_e32 vcc, 0, v13
	s_cmp_eq_u32 s3, 0
	v_add_f32_e32 v9, s0, v9
	v_add_u32_e32 v13, -1, v13
	v_cndmask_b32_e32 v8, v8, v15, vcc
	v_cndmask_b32_e32 v7, v7, v14, vcc
	s_cbranch_scc0 .LBB295_6
.LBB295_7:
	v_cmp_gt_i32_e32 vcc, s2, v0
	s_and_saveexec_b64 s[0:1], vcc
	s_cbranch_execz .LBB295_9
; %bb.8:
	s_load_dword s2, s[4:5], 0x30
	v_max_f32_e32 v1, v9, v9
	v_max_f32_e32 v1, 0x1e3ce508, v1
	v_lshlrev_b32_e32 v0, 2, v0
	s_waitcnt lgkmcnt(0)
	v_div_scale_f32 v2, s[0:1], v1, v1, s2
	v_rcp_f32_e32 v3, v2
	v_div_scale_f32 v4, vcc, s2, v1, s2
	s_load_dwordx2 s[0:1], s[4:5], 0x20
	v_fma_f32 v5, -v2, v3, 1.0
	v_fmac_f32_e32 v3, v5, v3
	v_mul_f32_e32 v5, v4, v3
	v_fma_f32 v6, -v2, v5, v4
	v_fmac_f32_e32 v5, v6, v3
	v_fma_f32 v2, -v2, v5, v4
	v_div_fmas_f32 v2, v2, v3, v5
	v_div_fixup_f32 v1, v2, v1, s2
	s_ashr_i32 s2, s6, 31
	s_waitcnt lgkmcnt(0)
	s_mul_i32 s1, s6, s1
	s_mul_hi_u32 s3, s6, s0
	s_add_i32 s1, s3, s1
	s_mul_i32 s2, s2, s0
	s_add_i32 s1, s1, s2
	s_mul_i32 s0, s6, s0
	s_lshl_b64 s[0:1], s[0:1], 2
	s_add_u32 s2, s8, s0
	s_addc_u32 s3, s9, s1
	s_add_u32 s0, s10, s0
	v_mul_f32_e32 v1, v8, v1
	s_addc_u32 s1, s11, s1
	global_store_dword v0, v1, s[2:3]
	global_store_dword v0, v7, s[0:1]
.LBB295_9:
	s_endpgm
	.section	.rodata,"a",@progbits
	.p2align	6, 0x0
	.amdhsa_kernel _ZN5aiter24topk_softplus_kernel_optI12hip_bfloat16S1_Li128ELb1ELi0EEEvPKT_PKT0_PfPimiif
		.amdhsa_group_segment_fixed_size 0
		.amdhsa_private_segment_fixed_size 0
		.amdhsa_kernarg_size 52
		.amdhsa_user_sgpr_count 6
		.amdhsa_user_sgpr_private_segment_buffer 1
		.amdhsa_user_sgpr_dispatch_ptr 0
		.amdhsa_user_sgpr_queue_ptr 0
		.amdhsa_user_sgpr_kernarg_segment_ptr 1
		.amdhsa_user_sgpr_dispatch_id 0
		.amdhsa_user_sgpr_flat_scratch_init 0
		.amdhsa_user_sgpr_kernarg_preload_length 0
		.amdhsa_user_sgpr_kernarg_preload_offset 0
		.amdhsa_user_sgpr_private_segment_size 0
		.amdhsa_uses_dynamic_stack 0
		.amdhsa_system_sgpr_private_segment_wavefront_offset 0
		.amdhsa_system_sgpr_workgroup_id_x 1
		.amdhsa_system_sgpr_workgroup_id_y 0
		.amdhsa_system_sgpr_workgroup_id_z 0
		.amdhsa_system_sgpr_workgroup_info 0
		.amdhsa_system_vgpr_workitem_id 0
		.amdhsa_next_free_vgpr 20
		.amdhsa_next_free_sgpr 15
		.amdhsa_accum_offset 20
		.amdhsa_reserve_vcc 1
		.amdhsa_reserve_flat_scratch 0
		.amdhsa_float_round_mode_32 0
		.amdhsa_float_round_mode_16_64 0
		.amdhsa_float_denorm_mode_32 3
		.amdhsa_float_denorm_mode_16_64 3
		.amdhsa_dx10_clamp 1
		.amdhsa_ieee_mode 1
		.amdhsa_fp16_overflow 0
		.amdhsa_tg_split 0
		.amdhsa_exception_fp_ieee_invalid_op 0
		.amdhsa_exception_fp_denorm_src 0
		.amdhsa_exception_fp_ieee_div_zero 0
		.amdhsa_exception_fp_ieee_overflow 0
		.amdhsa_exception_fp_ieee_underflow 0
		.amdhsa_exception_fp_ieee_inexact 0
		.amdhsa_exception_int_div_zero 0
	.end_amdhsa_kernel
	.section	.text._ZN5aiter24topk_softplus_kernel_optI12hip_bfloat16S1_Li128ELb1ELi0EEEvPKT_PKT0_PfPimiif,"axG",@progbits,_ZN5aiter24topk_softplus_kernel_optI12hip_bfloat16S1_Li128ELb1ELi0EEEvPKT_PKT0_PfPimiif,comdat
.Lfunc_end295:
	.size	_ZN5aiter24topk_softplus_kernel_optI12hip_bfloat16S1_Li128ELb1ELi0EEEvPKT_PKT0_PfPimiif, .Lfunc_end295-_ZN5aiter24topk_softplus_kernel_optI12hip_bfloat16S1_Li128ELb1ELi0EEEvPKT_PKT0_PfPimiif
                                        ; -- End function
	.section	.AMDGPU.csdata,"",@progbits
; Kernel info:
; codeLenInByte = 1124
; NumSgprs: 19
; NumVgprs: 20
; NumAgprs: 0
; TotalNumVgprs: 20
; ScratchSize: 0
; MemoryBound: 0
; FloatMode: 240
; IeeeMode: 1
; LDSByteSize: 0 bytes/workgroup (compile time only)
; SGPRBlocks: 2
; VGPRBlocks: 2
; NumSGPRsForWavesPerEU: 19
; NumVGPRsForWavesPerEU: 20
; AccumOffset: 20
; Occupancy: 8
; WaveLimiterHint : 0
; COMPUTE_PGM_RSRC2:SCRATCH_EN: 0
; COMPUTE_PGM_RSRC2:USER_SGPR: 6
; COMPUTE_PGM_RSRC2:TRAP_HANDLER: 0
; COMPUTE_PGM_RSRC2:TGID_X_EN: 1
; COMPUTE_PGM_RSRC2:TGID_Y_EN: 0
; COMPUTE_PGM_RSRC2:TGID_Z_EN: 0
; COMPUTE_PGM_RSRC2:TIDIG_COMP_CNT: 0
; COMPUTE_PGM_RSRC3_GFX90A:ACCUM_OFFSET: 4
; COMPUTE_PGM_RSRC3_GFX90A:TG_SPLIT: 0
	.section	.text._ZN5aiter24topk_softplus_kernel_optI12hip_bfloat16S1_Li128ELb0ELi0EEEvPKT_PKT0_PfPimiif,"axG",@progbits,_ZN5aiter24topk_softplus_kernel_optI12hip_bfloat16S1_Li128ELb0ELi0EEEvPKT_PKT0_PfPimiif,comdat
	.protected	_ZN5aiter24topk_softplus_kernel_optI12hip_bfloat16S1_Li128ELb0ELi0EEEvPKT_PKT0_PfPimiif ; -- Begin function _ZN5aiter24topk_softplus_kernel_optI12hip_bfloat16S1_Li128ELb0ELi0EEEvPKT_PKT0_PfPimiif
	.globl	_ZN5aiter24topk_softplus_kernel_optI12hip_bfloat16S1_Li128ELb0ELi0EEEvPKT_PKT0_PfPimiif
	.p2align	8
	.type	_ZN5aiter24topk_softplus_kernel_optI12hip_bfloat16S1_Li128ELb0ELi0EEEvPKT_PKT0_PfPimiif,@function
_ZN5aiter24topk_softplus_kernel_optI12hip_bfloat16S1_Li128ELb0ELi0EEEvPKT_PKT0_PfPimiif: ; @_ZN5aiter24topk_softplus_kernel_optI12hip_bfloat16S1_Li128ELb0ELi0EEEvPKT_PKT0_PfPimiif
; %bb.0:
	s_load_dwordx4 s[8:11], s[4:5], 0x0
	s_lshl_b32 s0, s6, 7
	s_ashr_i32 s1, s0, 31
	s_lshl_b64 s[0:1], s[0:1], 1
	v_lshlrev_b32_e32 v1, 1, v0
	s_waitcnt lgkmcnt(0)
	s_add_u32 s0, s8, s0
	s_addc_u32 s1, s9, s1
	global_load_ushort v2, v1, s[0:1]
	s_mov_b32 s12, 0xc2fc0000
	v_mov_b32_e32 v5, 0x42800000
	v_mov_b32_e32 v7, 0x1f800000
	s_mov_b32 s13, 0x800000
	v_mov_b32_e32 v8, 0x4f800000
	v_mov_b32_e32 v9, 0x42000000
	s_mov_b32 s7, 0x41a00000
	s_mov_b32 s14, 0xf800000
	v_mov_b32_e32 v4, 0x260
	s_cmp_lg_u64 s[10:11], 0
	s_cselect_b64 s[8:9], -1, 0
	s_waitcnt vmcnt(0)
	v_lshlrev_b32_e32 v2, 16, v2
	v_mul_f32_e32 v3, 0x3fb8aa3b, v2
	v_cmp_gt_f32_e32 vcc, s12, v3
	v_cndmask_b32_e32 v3, 0, v5, vcc
	v_fmac_f32_e32 v3, 0x3fb8aa3b, v2
	v_exp_f32_e32 v3, v3
	v_cndmask_b32_e32 v6, 1.0, v7, vcc
	v_fma_f32 v3, v3, v6, 1.0
	v_cmp_gt_f32_e32 vcc, s13, v3
	v_cndmask_b32_e32 v6, 1.0, v8, vcc
	v_mul_f32_e32 v3, v3, v6
	v_log_f32_e32 v3, v3
	v_cndmask_b32_e32 v10, 0, v9, vcc
	v_cmp_lt_f32_e32 vcc, s7, v2
	v_mov_b32_e32 v6, s1
	v_sub_f32_e32 v3, v3, v10
	v_mul_f32_e32 v3, 0x3f317218, v3
	v_cndmask_b32_e32 v2, v3, v2, vcc
	v_mul_f32_e32 v3, 0x4f800000, v2
	v_cmp_gt_f32_e32 vcc, s14, v2
	v_cndmask_b32_e32 v10, v2, v3, vcc
	v_sqrt_f32_e32 v11, v10
	v_add_co_u32_e64 v2, s[0:1], s0, v1
	v_addc_co_u32_e64 v3, s[0:1], 0, v6, s[0:1]
	v_add_u32_e32 v6, -1, v11
	v_add_u32_e32 v12, 1, v11
	v_fma_f32 v13, -v6, v11, v10
	v_fma_f32 v14, -v12, v11, v10
	v_cmp_ge_f32_e64 s[2:3], 0, v13
	v_cndmask_b32_e64 v6, v11, v6, s[2:3]
	v_cmp_lt_f32_e64 s[2:3], 0, v14
	v_cndmask_b32_e64 v6, v6, v12, s[2:3]
	v_mul_f32_e32 v11, 0x37800000, v6
	v_cndmask_b32_e32 v6, v6, v11, vcc
	v_cmp_class_f32_e32 vcc, v10, v4
	s_and_b64 s[0:1], exec, s[8:9]
	v_cndmask_b32_e32 v6, v6, v10, vcc
	v_mov_b32_e32 v10, v6
	s_mov_b64 vcc, s[0:1]
	s_cbranch_vccz .LBB296_2
; %bb.1:
	global_load_ushort v10, v1, s[10:11]
	s_waitcnt vmcnt(0)
	v_lshlrev_b32_e32 v10, 16, v10
	v_add_f32_e32 v10, v6, v10
.LBB296_2:
	global_load_ushort v2, v[2:3], off offset:128
	s_waitcnt vmcnt(0)
	v_lshlrev_b32_e32 v2, 16, v2
	v_mul_f32_e32 v3, 0x3fb8aa3b, v2
	v_cmp_gt_f32_e32 vcc, s12, v3
	v_cndmask_b32_e32 v3, 0, v5, vcc
	v_fmac_f32_e32 v3, 0x3fb8aa3b, v2
	v_exp_f32_e32 v3, v3
	v_cndmask_b32_e32 v5, 1.0, v7, vcc
	v_fma_f32 v3, v3, v5, 1.0
	v_cmp_gt_f32_e32 vcc, s13, v3
	v_cndmask_b32_e32 v5, 1.0, v8, vcc
	v_mul_f32_e32 v3, v3, v5
	v_log_f32_e32 v3, v3
	v_cndmask_b32_e32 v5, 0, v9, vcc
	v_cmp_lt_f32_e32 vcc, s7, v2
	v_sub_f32_e32 v3, v3, v5
	v_mul_f32_e32 v3, 0x3f317218, v3
	v_cndmask_b32_e32 v2, v3, v2, vcc
	v_mul_f32_e32 v3, 0x4f800000, v2
	v_cmp_gt_f32_e32 vcc, s14, v2
	v_cndmask_b32_e32 v2, v2, v3, vcc
	v_sqrt_f32_e32 v3, v2
	v_add_u32_e32 v5, -1, v3
	v_add_u32_e32 v7, 1, v3
	v_fma_f32 v8, -v5, v3, v2
	v_fma_f32 v9, -v7, v3, v2
	v_cmp_ge_f32_e64 s[0:1], 0, v8
	v_cndmask_b32_e64 v3, v3, v5, s[0:1]
	v_cmp_lt_f32_e64 s[0:1], 0, v9
	v_cndmask_b32_e64 v3, v3, v7, s[0:1]
	v_mul_f32_e32 v5, 0x37800000, v3
	v_cndmask_b32_e32 v3, v3, v5, vcc
	v_cmp_class_f32_e32 vcc, v2, v4
	v_cndmask_b32_e32 v8, v3, v2, vcc
	s_andn2_b64 vcc, exec, s[8:9]
	v_mov_b32_e32 v4, v8
	s_cbranch_vccnz .LBB296_4
; %bb.3:
	global_load_ushort v1, v1, s[10:11] offset:128
	s_waitcnt vmcnt(0)
	v_lshlrev_b32_e32 v1, 16, v1
	v_add_f32_e32 v4, v8, v1
.LBB296_4:
	s_load_dword s2, s[4:5], 0x28
	s_load_dwordx4 s[8:11], s[4:5], 0x10
	v_mov_b32_e32 v7, 0
	s_waitcnt lgkmcnt(0)
	s_cmp_gt_i32 s2, 0
	s_cbranch_scc0 .LBB296_10
; %bb.5:
	v_mbcnt_lo_u32_b32 v7, -1, 0
	v_add_u32_e32 v2, 64, v0
	v_cmp_lt_f32_e32 vcc, v10, v4
	v_mbcnt_hi_u32_b32 v7, -1, v7
	v_bfrev_b32_e32 v11, 0.5
	v_cndmask_b32_e32 v1, v2, v0, vcc
	v_cndmask_b32_e32 v2, v0, v2, vcc
	;; [unrolled: 1-line block ×6, first 2 shown]
	v_mov_b32_e32 v9, 0
	v_mov_b32_e32 v8, 0
	;; [unrolled: 1-line block ×3, first 2 shown]
	v_lshl_or_b32 v11, v7, 2, v11
	v_mov_b32_e32 v12, v0
	s_mov_b32 s3, s2
	v_mov_b32_e32 v7, 0
.LBB296_6:                              ; =>This Inner Loop Header: Depth=1
	v_cmp_eq_u32_e32 vcc, 1, v9
	v_cndmask_b32_e32 v13, v4, v3, vcc
	v_cmp_gt_u32_e64 s[0:1], 2, v9
	v_cndmask_b32_e64 v13, v10, v13, s[0:1]
	;;#ASMSTART
	v_max_f32 v17, v13, v13 quad_perm:[1,0,3,2] row_mask:0xf bank_mask:0xf bound_ctrl:1
	;;#ASMEND
	;;#ASMSTART
	v_max_f32 v18, v17, v17 quad_perm:[2,3,0,1] row_mask:0xf bank_mask:0xf bound_ctrl:1
	;;#ASMEND
	;;#ASMSTART
	v_max_f32 v17, v18, v18 row_half_mirror row_mask:0xf bank_mask:0xf bound_ctrl:1
	;;#ASMEND
	;;#ASMSTART
	v_max_f32 v18, v17, v17 row_mirror row_mask:0xf bank_mask:0xf bound_ctrl:1
	;;#ASMEND
	;;#ASMSTART
	v_max_f32 v17, v18, v18 row_ror:4 row_mask:0xf bank_mask:0xf bound_ctrl:1
	;;#ASMEND
	;;#ASMSTART
	v_max_f32 v18, v17, v17 row_ror:8 row_mask:0xf bank_mask:0xf bound_ctrl:1
	;;#ASMEND
	;;#ASMSTART
	v_max_f32 v17, v18, v18 row_bcast:15 row_mask:0xf bank_mask:0xf bound_ctrl:1
	;;#ASMEND
	;;#ASMSTART
	v_max_f32 v18, v17, v17 row_bcast:31 row_mask:0xf bank_mask:0xf bound_ctrl:1
	;;#ASMEND
	ds_bpermute_b32 v17, v11, v18
	v_cndmask_b32_e32 v14, v2, v1, vcc
	v_cndmask_b32_e32 v15, v6, v5, vcc
	v_cndmask_b32_e64 v16, 0, v14, s[0:1]
	s_waitcnt lgkmcnt(0)
	v_cmp_eq_f32_e32 vcc, v13, v17
	s_ff1_i32_b64 s7, vcc
	s_cmp_lg_u64 vcc, 0
	s_cselect_b32 s7, s7, 0
	v_readlane_b32 s7, v16, s7
	v_cmp_eq_u32_e32 vcc, s7, v14
	s_and_b64 vcc, s[0:1], vcc
	s_and_b32 s12, s7, 63
	v_cndmask_b32_e32 v14, 0, v15, vcc
	v_addc_co_u32_e32 v9, vcc, 0, v9, vcc
	v_readlane_b32 s0, v14, s12
	s_add_i32 s3, s3, -1
	v_mov_b32_e32 v13, s7
	v_mov_b32_e32 v14, s0
	v_cmp_eq_u32_e32 vcc, 0, v12
	s_cmp_eq_u32 s3, 0
	v_add_u32_e32 v12, -1, v12
	v_cndmask_b32_e32 v8, v8, v14, vcc
	v_cndmask_b32_e32 v7, v7, v13, vcc
	s_cbranch_scc0 .LBB296_6
; %bb.7:
	v_cmp_gt_i32_e32 vcc, s2, v0
	s_and_saveexec_b64 s[0:1], vcc
	s_cbranch_execz .LBB296_9
.LBB296_8:
	s_load_dword s2, s[4:5], 0x30
	s_load_dwordx2 s[0:1], s[4:5], 0x20
	s_ashr_i32 s3, s6, 31
	v_lshlrev_b32_e32 v0, 2, v0
	s_waitcnt lgkmcnt(0)
	v_mul_f32_e32 v1, s2, v8
	s_mul_i32 s1, s6, s1
	s_mul_hi_u32 s2, s6, s0
	s_add_i32 s1, s2, s1
	s_mul_i32 s3, s3, s0
	s_add_i32 s1, s1, s3
	s_mul_i32 s0, s6, s0
	s_lshl_b64 s[0:1], s[0:1], 2
	s_add_u32 s2, s8, s0
	s_addc_u32 s3, s9, s1
	s_add_u32 s0, s10, s0
	s_addc_u32 s1, s11, s1
	global_store_dword v0, v1, s[2:3]
	global_store_dword v0, v7, s[0:1]
.LBB296_9:
	s_endpgm
.LBB296_10:
	v_mov_b32_e32 v8, 0
	v_cmp_gt_i32_e32 vcc, s2, v0
	s_and_saveexec_b64 s[0:1], vcc
	s_cbranch_execnz .LBB296_8
	s_branch .LBB296_9
	.section	.rodata,"a",@progbits
	.p2align	6, 0x0
	.amdhsa_kernel _ZN5aiter24topk_softplus_kernel_optI12hip_bfloat16S1_Li128ELb0ELi0EEEvPKT_PKT0_PfPimiif
		.amdhsa_group_segment_fixed_size 0
		.amdhsa_private_segment_fixed_size 0
		.amdhsa_kernarg_size 52
		.amdhsa_user_sgpr_count 6
		.amdhsa_user_sgpr_private_segment_buffer 1
		.amdhsa_user_sgpr_dispatch_ptr 0
		.amdhsa_user_sgpr_queue_ptr 0
		.amdhsa_user_sgpr_kernarg_segment_ptr 1
		.amdhsa_user_sgpr_dispatch_id 0
		.amdhsa_user_sgpr_flat_scratch_init 0
		.amdhsa_user_sgpr_kernarg_preload_length 0
		.amdhsa_user_sgpr_kernarg_preload_offset 0
		.amdhsa_user_sgpr_private_segment_size 0
		.amdhsa_uses_dynamic_stack 0
		.amdhsa_system_sgpr_private_segment_wavefront_offset 0
		.amdhsa_system_sgpr_workgroup_id_x 1
		.amdhsa_system_sgpr_workgroup_id_y 0
		.amdhsa_system_sgpr_workgroup_id_z 0
		.amdhsa_system_sgpr_workgroup_info 0
		.amdhsa_system_vgpr_workitem_id 0
		.amdhsa_next_free_vgpr 19
		.amdhsa_next_free_sgpr 15
		.amdhsa_accum_offset 20
		.amdhsa_reserve_vcc 1
		.amdhsa_reserve_flat_scratch 0
		.amdhsa_float_round_mode_32 0
		.amdhsa_float_round_mode_16_64 0
		.amdhsa_float_denorm_mode_32 3
		.amdhsa_float_denorm_mode_16_64 3
		.amdhsa_dx10_clamp 1
		.amdhsa_ieee_mode 1
		.amdhsa_fp16_overflow 0
		.amdhsa_tg_split 0
		.amdhsa_exception_fp_ieee_invalid_op 0
		.amdhsa_exception_fp_denorm_src 0
		.amdhsa_exception_fp_ieee_div_zero 0
		.amdhsa_exception_fp_ieee_overflow 0
		.amdhsa_exception_fp_ieee_underflow 0
		.amdhsa_exception_fp_ieee_inexact 0
		.amdhsa_exception_int_div_zero 0
	.end_amdhsa_kernel
	.section	.text._ZN5aiter24topk_softplus_kernel_optI12hip_bfloat16S1_Li128ELb0ELi0EEEvPKT_PKT0_PfPimiif,"axG",@progbits,_ZN5aiter24topk_softplus_kernel_optI12hip_bfloat16S1_Li128ELb0ELi0EEEvPKT_PKT0_PfPimiif,comdat
.Lfunc_end296:
	.size	_ZN5aiter24topk_softplus_kernel_optI12hip_bfloat16S1_Li128ELb0ELi0EEEvPKT_PKT0_PfPimiif, .Lfunc_end296-_ZN5aiter24topk_softplus_kernel_optI12hip_bfloat16S1_Li128ELb0ELi0EEEvPKT_PKT0_PfPimiif
                                        ; -- End function
	.section	.AMDGPU.csdata,"",@progbits
; Kernel info:
; codeLenInByte = 1040
; NumSgprs: 19
; NumVgprs: 19
; NumAgprs: 0
; TotalNumVgprs: 19
; ScratchSize: 0
; MemoryBound: 0
; FloatMode: 240
; IeeeMode: 1
; LDSByteSize: 0 bytes/workgroup (compile time only)
; SGPRBlocks: 2
; VGPRBlocks: 2
; NumSGPRsForWavesPerEU: 19
; NumVGPRsForWavesPerEU: 19
; AccumOffset: 20
; Occupancy: 8
; WaveLimiterHint : 0
; COMPUTE_PGM_RSRC2:SCRATCH_EN: 0
; COMPUTE_PGM_RSRC2:USER_SGPR: 6
; COMPUTE_PGM_RSRC2:TRAP_HANDLER: 0
; COMPUTE_PGM_RSRC2:TGID_X_EN: 1
; COMPUTE_PGM_RSRC2:TGID_Y_EN: 0
; COMPUTE_PGM_RSRC2:TGID_Z_EN: 0
; COMPUTE_PGM_RSRC2:TIDIG_COMP_CNT: 0
; COMPUTE_PGM_RSRC3_GFX90A:ACCUM_OFFSET: 4
; COMPUTE_PGM_RSRC3_GFX90A:TG_SPLIT: 0
	.section	.text._ZN5aiter24topk_softplus_kernel_optI12hip_bfloat16S1_Li256ELb1ELi0EEEvPKT_PKT0_PfPimiif,"axG",@progbits,_ZN5aiter24topk_softplus_kernel_optI12hip_bfloat16S1_Li256ELb1ELi0EEEvPKT_PKT0_PfPimiif,comdat
	.protected	_ZN5aiter24topk_softplus_kernel_optI12hip_bfloat16S1_Li256ELb1ELi0EEEvPKT_PKT0_PfPimiif ; -- Begin function _ZN5aiter24topk_softplus_kernel_optI12hip_bfloat16S1_Li256ELb1ELi0EEEvPKT_PKT0_PfPimiif
	.globl	_ZN5aiter24topk_softplus_kernel_optI12hip_bfloat16S1_Li256ELb1ELi0EEEvPKT_PKT0_PfPimiif
	.p2align	8
	.type	_ZN5aiter24topk_softplus_kernel_optI12hip_bfloat16S1_Li256ELb1ELi0EEEvPKT_PKT0_PfPimiif,@function
_ZN5aiter24topk_softplus_kernel_optI12hip_bfloat16S1_Li256ELb1ELi0EEEvPKT_PKT0_PfPimiif: ; @_ZN5aiter24topk_softplus_kernel_optI12hip_bfloat16S1_Li256ELb1ELi0EEEvPKT_PKT0_PfPimiif
; %bb.0:
	s_load_dwordx4 s[8:11], s[4:5], 0x0
	s_lshl_b32 s0, s6, 8
	s_ashr_i32 s1, s0, 31
	s_lshl_b64 s[0:1], s[0:1], 1
	v_lshlrev_b32_e32 v1, 1, v0
	s_waitcnt lgkmcnt(0)
	s_add_u32 s0, s8, s0
	s_addc_u32 s1, s9, s1
	global_load_ushort v2, v1, s[0:1]
	s_mov_b32 s12, 0xc2fc0000
	v_mov_b32_e32 v7, 0x42800000
	v_mov_b32_e32 v8, 0x1f800000
	s_mov_b32 s13, 0x800000
	v_mov_b32_e32 v9, 0x4f800000
	v_mov_b32_e32 v10, 0x42000000
	s_mov_b32 s7, 0x41a00000
	s_mov_b32 s14, 0xf800000
	s_cmp_lg_u64 s[10:11], 0
	s_cselect_b64 s[8:9], -1, 0
	s_waitcnt vmcnt(0)
	v_lshlrev_b32_e32 v2, 16, v2
	v_mul_f32_e32 v3, 0x3fb8aa3b, v2
	v_cmp_gt_f32_e32 vcc, s12, v3
	v_cndmask_b32_e32 v3, 0, v7, vcc
	v_fmac_f32_e32 v3, 0x3fb8aa3b, v2
	v_exp_f32_e32 v4, v3
	v_cndmask_b32_e32 v5, 1.0, v8, vcc
	v_mov_b32_e32 v3, 0x260
	v_fma_f32 v4, v4, v5, 1.0
	v_cmp_gt_f32_e32 vcc, s13, v4
	v_cndmask_b32_e32 v5, 1.0, v9, vcc
	v_mul_f32_e32 v4, v4, v5
	v_log_f32_e32 v4, v4
	v_cndmask_b32_e32 v6, 0, v10, vcc
	v_cmp_lt_f32_e32 vcc, s7, v2
	v_mov_b32_e32 v5, s1
	v_sub_f32_e32 v4, v4, v6
	v_mul_f32_e32 v4, 0x3f317218, v4
	v_cndmask_b32_e32 v2, v4, v2, vcc
	v_mul_f32_e32 v4, 0x4f800000, v2
	v_cmp_gt_f32_e32 vcc, s14, v2
	v_cndmask_b32_e32 v2, v2, v4, vcc
	v_sqrt_f32_e32 v6, v2
	v_add_co_u32_e64 v4, s[0:1], s0, v1
	v_addc_co_u32_e64 v5, s[0:1], 0, v5, s[0:1]
	v_add_u32_e32 v11, -1, v6
	v_add_u32_e32 v12, 1, v6
	v_fma_f32 v13, -v11, v6, v2
	v_fma_f32 v14, -v12, v6, v2
	v_cmp_ge_f32_e64 s[2:3], 0, v13
	v_cndmask_b32_e64 v6, v6, v11, s[2:3]
	v_cmp_lt_f32_e64 s[2:3], 0, v14
	v_cndmask_b32_e64 v6, v6, v12, s[2:3]
	v_mul_f32_e32 v11, 0x37800000, v6
	v_cndmask_b32_e32 v6, v6, v11, vcc
	v_cmp_class_f32_e32 vcc, v2, v3
	s_and_b64 s[0:1], exec, s[8:9]
	v_cndmask_b32_e32 v2, v6, v2, vcc
	v_mov_b32_e32 v6, v2
	s_mov_b64 vcc, s[0:1]
	s_cbranch_vccz .LBB297_2
; %bb.1:
	global_load_ushort v6, v1, s[10:11]
	s_waitcnt vmcnt(0)
	v_lshlrev_b32_e32 v6, 16, v6
	v_add_f32_e32 v6, v2, v6
.LBB297_2:
	global_load_ushort v11, v[4:5], off offset:128
	s_waitcnt vmcnt(0)
	v_lshlrev_b32_e32 v11, 16, v11
	v_mul_f32_e32 v12, 0x3fb8aa3b, v11
	v_cmp_gt_f32_e32 vcc, s12, v12
	v_cndmask_b32_e32 v7, 0, v7, vcc
	v_fmac_f32_e32 v7, 0x3fb8aa3b, v11
	v_exp_f32_e32 v7, v7
	v_cndmask_b32_e32 v8, 1.0, v8, vcc
	v_fma_f32 v7, v7, v8, 1.0
	v_cmp_gt_f32_e32 vcc, s13, v7
	v_cndmask_b32_e32 v8, 1.0, v9, vcc
	v_mul_f32_e32 v7, v7, v8
	v_log_f32_e32 v7, v7
	v_cndmask_b32_e32 v8, 0, v10, vcc
	v_cmp_lt_f32_e32 vcc, s7, v11
	v_cndmask_b32_e64 v9, 0, 1, s[8:9]
	v_sub_f32_e32 v7, v7, v8
	v_mul_f32_e32 v7, 0x3f317218, v7
	v_cndmask_b32_e32 v7, v7, v11, vcc
	v_mul_f32_e32 v8, 0x4f800000, v7
	v_cmp_gt_f32_e32 vcc, s14, v7
	v_cndmask_b32_e32 v7, v7, v8, vcc
	v_sqrt_f32_e32 v8, v7
	v_cmp_ne_u32_e64 s[0:1], 1, v9
	v_add_u32_e32 v9, -1, v8
	v_add_u32_e32 v10, 1, v8
	v_fma_f32 v11, -v9, v8, v7
	v_fma_f32 v12, -v10, v8, v7
	v_cmp_ge_f32_e64 s[2:3], 0, v11
	v_cndmask_b32_e64 v8, v8, v9, s[2:3]
	v_cmp_lt_f32_e64 s[2:3], 0, v12
	v_cndmask_b32_e64 v8, v8, v10, s[2:3]
	v_mul_f32_e32 v9, 0x37800000, v8
	v_cndmask_b32_e32 v8, v8, v9, vcc
	v_cmp_class_f32_e32 vcc, v7, v3
	v_cndmask_b32_e32 v9, v8, v7, vcc
	s_andn2_b64 vcc, exec, s[8:9]
	v_mov_b32_e32 v8, v9
	s_cbranch_vccnz .LBB297_4
; %bb.3:
	global_load_ushort v3, v1, s[10:11] offset:128
	s_waitcnt vmcnt(0)
	v_lshlrev_b32_e32 v3, 16, v3
	v_add_f32_e32 v8, v9, v3
.LBB297_4:
	global_load_ushort v10, v[4:5], off offset:256
	s_mov_b32 s8, 0xc2fc0000
	v_mov_b32_e32 v7, 0x42800000
	v_mov_b32_e32 v3, 0x1f800000
	s_mov_b32 s9, 0x800000
	s_mov_b32 s12, 0xf800000
	s_waitcnt vmcnt(0)
	v_lshlrev_b32_e32 v10, 16, v10
	v_mul_f32_e32 v11, 0x3fb8aa3b, v10
	v_cmp_gt_f32_e32 vcc, s8, v11
	v_cndmask_b32_e32 v11, 0, v7, vcc
	v_fmac_f32_e32 v11, 0x3fb8aa3b, v10
	v_exp_f32_e32 v12, v11
	v_cndmask_b32_e32 v13, 1.0, v3, vcc
	v_mov_b32_e32 v11, 0x4f800000
	v_fma_f32 v12, v12, v13, 1.0
	v_cmp_gt_f32_e32 vcc, s9, v12
	v_cndmask_b32_e32 v13, 1.0, v11, vcc
	v_mul_f32_e32 v12, v12, v13
	v_log_f32_e32 v12, v12
	v_mov_b32_e32 v13, 0x42000000
	v_cndmask_b32_e32 v14, 0, v13, vcc
	v_cmp_lt_f32_e32 vcc, s7, v10
	v_sub_f32_e32 v12, v12, v14
	v_mul_f32_e32 v12, 0x3f317218, v12
	v_cndmask_b32_e32 v10, v12, v10, vcc
	v_mul_f32_e32 v12, 0x4f800000, v10
	v_cmp_gt_f32_e32 vcc, s12, v10
	v_cndmask_b32_e32 v10, v10, v12, vcc
	v_sqrt_f32_e32 v12, v10
	v_mov_b32_e32 v14, 0x260
	v_add_u32_e32 v15, -1, v12
	v_add_u32_e32 v16, 1, v12
	v_fma_f32 v17, -v15, v12, v10
	v_fma_f32 v18, -v16, v12, v10
	v_cmp_ge_f32_e64 s[2:3], 0, v17
	v_cndmask_b32_e64 v12, v12, v15, s[2:3]
	v_cmp_lt_f32_e64 s[2:3], 0, v18
	v_cndmask_b32_e64 v12, v12, v16, s[2:3]
	v_mul_f32_e32 v15, 0x37800000, v12
	v_cndmask_b32_e32 v12, v12, v15, vcc
	v_cmp_class_f32_e32 vcc, v10, v14
	v_cndmask_b32_e32 v12, v12, v10, vcc
	s_and_b64 vcc, exec, s[0:1]
	v_mov_b32_e32 v10, v12
	s_cbranch_vccnz .LBB297_6
; %bb.5:
	global_load_ushort v10, v1, s[10:11] offset:256
	s_waitcnt vmcnt(0)
	v_lshlrev_b32_e32 v10, 16, v10
	v_add_f32_e32 v10, v12, v10
.LBB297_6:
	global_load_ushort v4, v[4:5], off offset:384
	s_waitcnt vmcnt(0)
	v_lshlrev_b32_e32 v4, 16, v4
	v_mul_f32_e32 v5, 0x3fb8aa3b, v4
	v_cmp_gt_f32_e32 vcc, s8, v5
	v_cndmask_b32_e32 v5, 0, v7, vcc
	v_fmac_f32_e32 v5, 0x3fb8aa3b, v4
	v_exp_f32_e32 v5, v5
	v_cndmask_b32_e32 v3, 1.0, v3, vcc
	v_fma_f32 v3, v5, v3, 1.0
	v_cmp_gt_f32_e32 vcc, s9, v3
	v_cndmask_b32_e32 v5, 1.0, v11, vcc
	v_mul_f32_e32 v3, v3, v5
	v_log_f32_e32 v3, v3
	v_cndmask_b32_e32 v5, 0, v13, vcc
	v_cmp_lt_f32_e32 vcc, s7, v4
	v_sub_f32_e32 v3, v3, v5
	v_mul_f32_e32 v3, 0x3f317218, v3
	v_cndmask_b32_e32 v3, v3, v4, vcc
	v_mul_f32_e32 v4, 0x4f800000, v3
	v_cmp_gt_f32_e32 vcc, s12, v3
	v_cndmask_b32_e32 v3, v3, v4, vcc
	v_sqrt_f32_e32 v4, v3
	v_add_u32_e32 v5, -1, v4
	v_add_u32_e32 v7, 1, v4
	v_fma_f32 v11, -v5, v4, v3
	v_fma_f32 v13, -v7, v4, v3
	v_cmp_ge_f32_e64 s[2:3], 0, v11
	v_cndmask_b32_e64 v4, v4, v5, s[2:3]
	v_cmp_lt_f32_e64 s[2:3], 0, v13
	v_cndmask_b32_e64 v4, v4, v7, s[2:3]
	v_mul_f32_e32 v5, 0x37800000, v4
	v_cndmask_b32_e32 v4, v4, v5, vcc
	v_cmp_class_f32_e32 vcc, v3, v14
	v_cndmask_b32_e32 v3, v4, v3, vcc
	s_and_b64 vcc, exec, s[0:1]
	v_mov_b32_e32 v5, v3
	s_cbranch_vccnz .LBB297_8
; %bb.7:
	global_load_ushort v1, v1, s[10:11] offset:384
	s_waitcnt vmcnt(0)
	v_lshlrev_b32_e32 v1, 16, v1
	v_add_f32_e32 v5, v3, v1
.LBB297_8:
	v_add_u32_e32 v4, 64, v0
	v_cmp_lt_f32_e32 vcc, v6, v8
	v_add_u32_e32 v15, 0x80, v0
	v_add_u32_e32 v7, 0xc0, v0
	v_cndmask_b32_e32 v11, v9, v2, vcc
	v_cndmask_b32_e32 v2, v2, v9, vcc
	v_cndmask_b32_e32 v1, v4, v0, vcc
	v_cndmask_b32_e32 v4, v0, v4, vcc
	v_cndmask_b32_e32 v9, v8, v6, vcc
	v_cndmask_b32_e32 v6, v6, v8, vcc
	v_cmp_lt_f32_e32 vcc, v10, v5
	v_mov_b32_e32 v8, v10
	s_and_saveexec_b64 s[0:1], vcc
	s_xor_b64 s[0:1], exec, s[0:1]
; %bb.9:
	v_mov_b32_e32 v8, v12
	v_mov_b32_e32 v14, v10
	;; [unrolled: 1-line block ×4, first 2 shown]
	v_swap_b32 v12, v3
	v_swap_b32 v15, v7
	v_mov_b32_e32 v8, v5
	v_mov_b32_e32 v5, v14
; %bb.10:
	s_or_b64 exec, exec, s[0:1]
	v_cmp_lt_f32_e32 vcc, v6, v10
	v_cndmask_b32_e32 v13, v12, v2, vcc
	v_cndmask_b32_e32 v2, v2, v12, vcc
	;; [unrolled: 1-line block ×6, first 2 shown]
	v_cmp_lt_f32_e32 vcc, v9, v5
	v_mov_b32_e32 v16, v9
	s_and_saveexec_b64 s[0:1], vcc
; %bb.11:
	v_mov_b32_e32 v15, v9
	v_mov_b32_e32 v8, v11
	;; [unrolled: 1-line block ×4, first 2 shown]
	v_swap_b32 v11, v3
	v_swap_b32 v1, v7
	v_mov_b32_e32 v16, v5
	v_mov_b32_e32 v5, v15
; %bb.12:
	s_or_b64 exec, exec, s[0:1]
	s_load_dword s2, s[4:5], 0x28
	s_load_dwordx4 s[8:11], s[4:5], 0x10
	v_mov_b32_e32 v15, 0
	s_waitcnt lgkmcnt(0)
	s_cmp_lt_i32 s2, 1
	s_cbranch_scc1 .LBB297_18
; %bb.13:
	v_cmp_lt_f32_e32 vcc, v9, v12
	v_cndmask_b32_e32 v10, v12, v9, vcc
	v_cndmask_b32_e32 v9, v16, v12, vcc
	;; [unrolled: 1-line block ×4, first 2 shown]
	v_mbcnt_lo_u32_b32 v13, -1, 0
	v_cndmask_b32_e32 v8, v14, v1, vcc
	v_cndmask_b32_e32 v1, v1, v14, vcc
	v_mbcnt_hi_u32_b32 v13, -1, v13
	v_bfrev_b32_e32 v14, 0.5
	v_mov_b32_e32 v15, 0
	v_mov_b32_e32 v16, 0
	;; [unrolled: 1-line block ×3, first 2 shown]
	v_lshl_or_b32 v18, v13, 2, v14
	v_mov_b32_e32 v19, v0
	s_mov_b32 s3, s2
	v_mov_b32_e32 v13, 0
	v_mov_b32_e32 v14, 0
.LBB297_14:                             ; =>This Inner Loop Header: Depth=1
	v_cmp_eq_u32_e32 vcc, 1, v16
	v_cndmask_b32_e32 v20, v6, v9, vcc
	v_cmp_eq_u32_e64 s[0:1], 2, v16
	v_cndmask_b32_e64 v20, v20, v10, s[0:1]
	v_cndmask_b32_e32 v21, v4, v1, vcc
	v_cndmask_b32_e32 v22, v2, v11, vcc
	v_cmp_eq_u32_e32 vcc, 3, v16
	v_cndmask_b32_e32 v20, v20, v5, vcc
	v_cndmask_b32_e64 v21, v21, v8, s[0:1]
	v_cndmask_b32_e64 v22, v22, v12, s[0:1]
	v_cmp_gt_u32_e64 s[0:1], 4, v16
	v_cndmask_b32_e64 v20, v17, v20, s[0:1]
	;;#ASMSTART
	v_max_f32 v24, v20, v20 quad_perm:[1,0,3,2] row_mask:0xf bank_mask:0xf bound_ctrl:1
	;;#ASMEND
	;;#ASMSTART
	v_max_f32 v25, v24, v24 quad_perm:[2,3,0,1] row_mask:0xf bank_mask:0xf bound_ctrl:1
	;;#ASMEND
	;;#ASMSTART
	v_max_f32 v24, v25, v25 row_half_mirror row_mask:0xf bank_mask:0xf bound_ctrl:1
	;;#ASMEND
	;;#ASMSTART
	v_max_f32 v25, v24, v24 row_mirror row_mask:0xf bank_mask:0xf bound_ctrl:1
	;;#ASMEND
	;;#ASMSTART
	v_max_f32 v24, v25, v25 row_ror:4 row_mask:0xf bank_mask:0xf bound_ctrl:1
	;;#ASMEND
	;;#ASMSTART
	v_max_f32 v25, v24, v24 row_ror:8 row_mask:0xf bank_mask:0xf bound_ctrl:1
	;;#ASMEND
	;;#ASMSTART
	v_max_f32 v24, v25, v25 row_bcast:15 row_mask:0xf bank_mask:0xf bound_ctrl:1
	;;#ASMEND
	;;#ASMSTART
	v_max_f32 v25, v24, v24 row_bcast:31 row_mask:0xf bank_mask:0xf bound_ctrl:1
	;;#ASMEND
	ds_bpermute_b32 v24, v18, v25
	v_cndmask_b32_e32 v21, v21, v7, vcc
	v_cndmask_b32_e32 v22, v22, v3, vcc
	v_cndmask_b32_e64 v23, 0, v21, s[0:1]
	s_waitcnt lgkmcnt(0)
	v_cmp_eq_f32_e32 vcc, v20, v24
	s_ff1_i32_b64 s7, vcc
	s_cmp_lg_u64 vcc, 0
	s_cselect_b32 s7, s7, 0
	v_readlane_b32 s7, v23, s7
	v_cmp_eq_u32_e32 vcc, s7, v21
	s_and_b64 vcc, s[0:1], vcc
	s_and_b32 s12, s7, 63
	v_cndmask_b32_e32 v21, 0, v22, vcc
	v_addc_co_u32_e32 v16, vcc, 0, v16, vcc
	v_readlane_b32 s0, v21, s12
	s_add_i32 s3, s3, -1
	v_mov_b32_e32 v20, s7
	v_mov_b32_e32 v21, s0
	v_cmp_eq_u32_e32 vcc, 0, v19
	s_cmp_eq_u32 s3, 0
	v_add_f32_e32 v15, s0, v15
	v_add_u32_e32 v19, -1, v19
	v_cndmask_b32_e32 v14, v14, v21, vcc
	v_cndmask_b32_e32 v13, v13, v20, vcc
	s_cbranch_scc0 .LBB297_14
; %bb.15:
	v_cmp_gt_i32_e32 vcc, s2, v0
	s_and_saveexec_b64 s[0:1], vcc
	s_cbranch_execz .LBB297_17
.LBB297_16:
	s_load_dword s2, s[4:5], 0x30
	v_max_f32_e32 v1, v15, v15
	v_max_f32_e32 v1, 0x1e3ce508, v1
	v_lshlrev_b32_e32 v0, 2, v0
	s_waitcnt lgkmcnt(0)
	v_div_scale_f32 v2, s[0:1], v1, v1, s2
	v_rcp_f32_e32 v3, v2
	v_div_scale_f32 v4, vcc, s2, v1, s2
	s_load_dwordx2 s[0:1], s[4:5], 0x20
	v_fma_f32 v5, -v2, v3, 1.0
	v_fmac_f32_e32 v3, v5, v3
	v_mul_f32_e32 v5, v4, v3
	v_fma_f32 v6, -v2, v5, v4
	v_fmac_f32_e32 v5, v6, v3
	v_fma_f32 v2, -v2, v5, v4
	v_div_fmas_f32 v2, v2, v3, v5
	v_div_fixup_f32 v1, v2, v1, s2
	s_ashr_i32 s2, s6, 31
	s_waitcnt lgkmcnt(0)
	s_mul_i32 s1, s6, s1
	s_mul_hi_u32 s3, s6, s0
	s_add_i32 s1, s3, s1
	s_mul_i32 s2, s2, s0
	s_add_i32 s1, s1, s2
	s_mul_i32 s0, s6, s0
	s_lshl_b64 s[0:1], s[0:1], 2
	s_add_u32 s2, s8, s0
	s_addc_u32 s3, s9, s1
	s_add_u32 s0, s10, s0
	v_mul_f32_e32 v1, v14, v1
	s_addc_u32 s1, s11, s1
	global_store_dword v0, v1, s[2:3]
	global_store_dword v0, v13, s[0:1]
.LBB297_17:
	s_endpgm
.LBB297_18:
	v_mov_b32_e32 v13, 0
	v_mov_b32_e32 v14, 0
	v_cmp_gt_i32_e32 vcc, s2, v0
	s_and_saveexec_b64 s[0:1], vcc
	s_cbranch_execnz .LBB297_16
	s_branch .LBB297_17
	.section	.rodata,"a",@progbits
	.p2align	6, 0x0
	.amdhsa_kernel _ZN5aiter24topk_softplus_kernel_optI12hip_bfloat16S1_Li256ELb1ELi0EEEvPKT_PKT0_PfPimiif
		.amdhsa_group_segment_fixed_size 0
		.amdhsa_private_segment_fixed_size 0
		.amdhsa_kernarg_size 52
		.amdhsa_user_sgpr_count 6
		.amdhsa_user_sgpr_private_segment_buffer 1
		.amdhsa_user_sgpr_dispatch_ptr 0
		.amdhsa_user_sgpr_queue_ptr 0
		.amdhsa_user_sgpr_kernarg_segment_ptr 1
		.amdhsa_user_sgpr_dispatch_id 0
		.amdhsa_user_sgpr_flat_scratch_init 0
		.amdhsa_user_sgpr_kernarg_preload_length 0
		.amdhsa_user_sgpr_kernarg_preload_offset 0
		.amdhsa_user_sgpr_private_segment_size 0
		.amdhsa_uses_dynamic_stack 0
		.amdhsa_system_sgpr_private_segment_wavefront_offset 0
		.amdhsa_system_sgpr_workgroup_id_x 1
		.amdhsa_system_sgpr_workgroup_id_y 0
		.amdhsa_system_sgpr_workgroup_id_z 0
		.amdhsa_system_sgpr_workgroup_info 0
		.amdhsa_system_vgpr_workitem_id 0
		.amdhsa_next_free_vgpr 26
		.amdhsa_next_free_sgpr 15
		.amdhsa_accum_offset 28
		.amdhsa_reserve_vcc 1
		.amdhsa_reserve_flat_scratch 0
		.amdhsa_float_round_mode_32 0
		.amdhsa_float_round_mode_16_64 0
		.amdhsa_float_denorm_mode_32 3
		.amdhsa_float_denorm_mode_16_64 3
		.amdhsa_dx10_clamp 1
		.amdhsa_ieee_mode 1
		.amdhsa_fp16_overflow 0
		.amdhsa_tg_split 0
		.amdhsa_exception_fp_ieee_invalid_op 0
		.amdhsa_exception_fp_denorm_src 0
		.amdhsa_exception_fp_ieee_div_zero 0
		.amdhsa_exception_fp_ieee_overflow 0
		.amdhsa_exception_fp_ieee_underflow 0
		.amdhsa_exception_fp_ieee_inexact 0
		.amdhsa_exception_int_div_zero 0
	.end_amdhsa_kernel
	.section	.text._ZN5aiter24topk_softplus_kernel_optI12hip_bfloat16S1_Li256ELb1ELi0EEEvPKT_PKT0_PfPimiif,"axG",@progbits,_ZN5aiter24topk_softplus_kernel_optI12hip_bfloat16S1_Li256ELb1ELi0EEEvPKT_PKT0_PfPimiif,comdat
.Lfunc_end297:
	.size	_ZN5aiter24topk_softplus_kernel_optI12hip_bfloat16S1_Li256ELb1ELi0EEEvPKT_PKT0_PfPimiif, .Lfunc_end297-_ZN5aiter24topk_softplus_kernel_optI12hip_bfloat16S1_Li256ELb1ELi0EEEvPKT_PKT0_PfPimiif
                                        ; -- End function
	.section	.AMDGPU.csdata,"",@progbits
; Kernel info:
; codeLenInByte = 1888
; NumSgprs: 19
; NumVgprs: 26
; NumAgprs: 0
; TotalNumVgprs: 26
; ScratchSize: 0
; MemoryBound: 0
; FloatMode: 240
; IeeeMode: 1
; LDSByteSize: 0 bytes/workgroup (compile time only)
; SGPRBlocks: 2
; VGPRBlocks: 3
; NumSGPRsForWavesPerEU: 19
; NumVGPRsForWavesPerEU: 26
; AccumOffset: 28
; Occupancy: 8
; WaveLimiterHint : 0
; COMPUTE_PGM_RSRC2:SCRATCH_EN: 0
; COMPUTE_PGM_RSRC2:USER_SGPR: 6
; COMPUTE_PGM_RSRC2:TRAP_HANDLER: 0
; COMPUTE_PGM_RSRC2:TGID_X_EN: 1
; COMPUTE_PGM_RSRC2:TGID_Y_EN: 0
; COMPUTE_PGM_RSRC2:TGID_Z_EN: 0
; COMPUTE_PGM_RSRC2:TIDIG_COMP_CNT: 0
; COMPUTE_PGM_RSRC3_GFX90A:ACCUM_OFFSET: 6
; COMPUTE_PGM_RSRC3_GFX90A:TG_SPLIT: 0
	.section	.text._ZN5aiter24topk_softplus_kernel_optI12hip_bfloat16S1_Li256ELb0ELi0EEEvPKT_PKT0_PfPimiif,"axG",@progbits,_ZN5aiter24topk_softplus_kernel_optI12hip_bfloat16S1_Li256ELb0ELi0EEEvPKT_PKT0_PfPimiif,comdat
	.protected	_ZN5aiter24topk_softplus_kernel_optI12hip_bfloat16S1_Li256ELb0ELi0EEEvPKT_PKT0_PfPimiif ; -- Begin function _ZN5aiter24topk_softplus_kernel_optI12hip_bfloat16S1_Li256ELb0ELi0EEEvPKT_PKT0_PfPimiif
	.globl	_ZN5aiter24topk_softplus_kernel_optI12hip_bfloat16S1_Li256ELb0ELi0EEEvPKT_PKT0_PfPimiif
	.p2align	8
	.type	_ZN5aiter24topk_softplus_kernel_optI12hip_bfloat16S1_Li256ELb0ELi0EEEvPKT_PKT0_PfPimiif,@function
_ZN5aiter24topk_softplus_kernel_optI12hip_bfloat16S1_Li256ELb0ELi0EEEvPKT_PKT0_PfPimiif: ; @_ZN5aiter24topk_softplus_kernel_optI12hip_bfloat16S1_Li256ELb0ELi0EEEvPKT_PKT0_PfPimiif
; %bb.0:
	s_load_dwordx4 s[8:11], s[4:5], 0x0
	s_lshl_b32 s0, s6, 8
	s_ashr_i32 s1, s0, 31
	s_lshl_b64 s[0:1], s[0:1], 1
	v_lshlrev_b32_e32 v1, 1, v0
	s_waitcnt lgkmcnt(0)
	s_add_u32 s0, s8, s0
	s_addc_u32 s1, s9, s1
	global_load_ushort v2, v1, s[0:1]
	s_mov_b32 s12, 0xc2fc0000
	v_mov_b32_e32 v7, 0x42800000
	v_mov_b32_e32 v8, 0x1f800000
	s_mov_b32 s13, 0x800000
	v_mov_b32_e32 v9, 0x4f800000
	v_mov_b32_e32 v10, 0x42000000
	s_mov_b32 s7, 0x41a00000
	s_mov_b32 s14, 0xf800000
	s_cmp_lg_u64 s[10:11], 0
	s_cselect_b64 s[8:9], -1, 0
	s_waitcnt vmcnt(0)
	v_lshlrev_b32_e32 v2, 16, v2
	v_mul_f32_e32 v3, 0x3fb8aa3b, v2
	v_cmp_gt_f32_e32 vcc, s12, v3
	v_cndmask_b32_e32 v3, 0, v7, vcc
	v_fmac_f32_e32 v3, 0x3fb8aa3b, v2
	v_exp_f32_e32 v4, v3
	v_cndmask_b32_e32 v5, 1.0, v8, vcc
	v_mov_b32_e32 v3, 0x260
	v_fma_f32 v4, v4, v5, 1.0
	v_cmp_gt_f32_e32 vcc, s13, v4
	v_cndmask_b32_e32 v5, 1.0, v9, vcc
	v_mul_f32_e32 v4, v4, v5
	v_log_f32_e32 v4, v4
	v_cndmask_b32_e32 v6, 0, v10, vcc
	v_cmp_lt_f32_e32 vcc, s7, v2
	v_mov_b32_e32 v5, s1
	v_sub_f32_e32 v4, v4, v6
	v_mul_f32_e32 v4, 0x3f317218, v4
	v_cndmask_b32_e32 v2, v4, v2, vcc
	v_mul_f32_e32 v4, 0x4f800000, v2
	v_cmp_gt_f32_e32 vcc, s14, v2
	v_cndmask_b32_e32 v2, v2, v4, vcc
	v_sqrt_f32_e32 v6, v2
	v_add_co_u32_e64 v4, s[0:1], s0, v1
	v_addc_co_u32_e64 v5, s[0:1], 0, v5, s[0:1]
	v_add_u32_e32 v11, -1, v6
	v_add_u32_e32 v12, 1, v6
	v_fma_f32 v13, -v11, v6, v2
	v_fma_f32 v14, -v12, v6, v2
	v_cmp_ge_f32_e64 s[2:3], 0, v13
	v_cndmask_b32_e64 v6, v6, v11, s[2:3]
	v_cmp_lt_f32_e64 s[2:3], 0, v14
	v_cndmask_b32_e64 v6, v6, v12, s[2:3]
	v_mul_f32_e32 v11, 0x37800000, v6
	v_cndmask_b32_e32 v6, v6, v11, vcc
	v_cmp_class_f32_e32 vcc, v2, v3
	s_and_b64 s[0:1], exec, s[8:9]
	v_cndmask_b32_e32 v2, v6, v2, vcc
	v_mov_b32_e32 v6, v2
	s_mov_b64 vcc, s[0:1]
	s_cbranch_vccz .LBB298_2
; %bb.1:
	global_load_ushort v6, v1, s[10:11]
	s_waitcnt vmcnt(0)
	v_lshlrev_b32_e32 v6, 16, v6
	v_add_f32_e32 v6, v2, v6
.LBB298_2:
	global_load_ushort v11, v[4:5], off offset:128
	s_waitcnt vmcnt(0)
	v_lshlrev_b32_e32 v11, 16, v11
	v_mul_f32_e32 v12, 0x3fb8aa3b, v11
	v_cmp_gt_f32_e32 vcc, s12, v12
	v_cndmask_b32_e32 v7, 0, v7, vcc
	v_fmac_f32_e32 v7, 0x3fb8aa3b, v11
	v_exp_f32_e32 v7, v7
	v_cndmask_b32_e32 v8, 1.0, v8, vcc
	v_fma_f32 v7, v7, v8, 1.0
	v_cmp_gt_f32_e32 vcc, s13, v7
	v_cndmask_b32_e32 v8, 1.0, v9, vcc
	v_mul_f32_e32 v7, v7, v8
	v_log_f32_e32 v7, v7
	v_cndmask_b32_e32 v8, 0, v10, vcc
	v_cmp_lt_f32_e32 vcc, s7, v11
	v_cndmask_b32_e64 v9, 0, 1, s[8:9]
	v_sub_f32_e32 v7, v7, v8
	v_mul_f32_e32 v7, 0x3f317218, v7
	v_cndmask_b32_e32 v7, v7, v11, vcc
	v_mul_f32_e32 v8, 0x4f800000, v7
	v_cmp_gt_f32_e32 vcc, s14, v7
	v_cndmask_b32_e32 v7, v7, v8, vcc
	v_sqrt_f32_e32 v8, v7
	v_cmp_ne_u32_e64 s[0:1], 1, v9
	v_add_u32_e32 v9, -1, v8
	v_add_u32_e32 v10, 1, v8
	v_fma_f32 v11, -v9, v8, v7
	v_fma_f32 v12, -v10, v8, v7
	v_cmp_ge_f32_e64 s[2:3], 0, v11
	v_cndmask_b32_e64 v8, v8, v9, s[2:3]
	v_cmp_lt_f32_e64 s[2:3], 0, v12
	v_cndmask_b32_e64 v8, v8, v10, s[2:3]
	v_mul_f32_e32 v9, 0x37800000, v8
	v_cndmask_b32_e32 v8, v8, v9, vcc
	v_cmp_class_f32_e32 vcc, v7, v3
	v_cndmask_b32_e32 v9, v8, v7, vcc
	s_andn2_b64 vcc, exec, s[8:9]
	v_mov_b32_e32 v8, v9
	s_cbranch_vccnz .LBB298_4
; %bb.3:
	global_load_ushort v3, v1, s[10:11] offset:128
	s_waitcnt vmcnt(0)
	v_lshlrev_b32_e32 v3, 16, v3
	v_add_f32_e32 v8, v9, v3
.LBB298_4:
	global_load_ushort v10, v[4:5], off offset:256
	s_mov_b32 s8, 0xc2fc0000
	v_mov_b32_e32 v7, 0x42800000
	v_mov_b32_e32 v3, 0x1f800000
	s_mov_b32 s9, 0x800000
	s_mov_b32 s12, 0xf800000
	s_waitcnt vmcnt(0)
	v_lshlrev_b32_e32 v10, 16, v10
	v_mul_f32_e32 v11, 0x3fb8aa3b, v10
	v_cmp_gt_f32_e32 vcc, s8, v11
	v_cndmask_b32_e32 v11, 0, v7, vcc
	v_fmac_f32_e32 v11, 0x3fb8aa3b, v10
	v_exp_f32_e32 v12, v11
	v_cndmask_b32_e32 v13, 1.0, v3, vcc
	v_mov_b32_e32 v11, 0x4f800000
	v_fma_f32 v12, v12, v13, 1.0
	v_cmp_gt_f32_e32 vcc, s9, v12
	v_cndmask_b32_e32 v13, 1.0, v11, vcc
	v_mul_f32_e32 v12, v12, v13
	v_log_f32_e32 v12, v12
	v_mov_b32_e32 v13, 0x42000000
	v_cndmask_b32_e32 v14, 0, v13, vcc
	v_cmp_lt_f32_e32 vcc, s7, v10
	v_sub_f32_e32 v12, v12, v14
	v_mul_f32_e32 v12, 0x3f317218, v12
	v_cndmask_b32_e32 v10, v12, v10, vcc
	v_mul_f32_e32 v12, 0x4f800000, v10
	v_cmp_gt_f32_e32 vcc, s12, v10
	v_cndmask_b32_e32 v10, v10, v12, vcc
	v_sqrt_f32_e32 v12, v10
	v_mov_b32_e32 v14, 0x260
	v_add_u32_e32 v15, -1, v12
	v_add_u32_e32 v16, 1, v12
	v_fma_f32 v17, -v15, v12, v10
	v_fma_f32 v18, -v16, v12, v10
	v_cmp_ge_f32_e64 s[2:3], 0, v17
	v_cndmask_b32_e64 v12, v12, v15, s[2:3]
	v_cmp_lt_f32_e64 s[2:3], 0, v18
	v_cndmask_b32_e64 v12, v12, v16, s[2:3]
	v_mul_f32_e32 v15, 0x37800000, v12
	v_cndmask_b32_e32 v12, v12, v15, vcc
	v_cmp_class_f32_e32 vcc, v10, v14
	v_cndmask_b32_e32 v12, v12, v10, vcc
	s_and_b64 vcc, exec, s[0:1]
	v_mov_b32_e32 v10, v12
	s_cbranch_vccnz .LBB298_6
; %bb.5:
	global_load_ushort v10, v1, s[10:11] offset:256
	s_waitcnt vmcnt(0)
	v_lshlrev_b32_e32 v10, 16, v10
	v_add_f32_e32 v10, v12, v10
.LBB298_6:
	global_load_ushort v4, v[4:5], off offset:384
	s_waitcnt vmcnt(0)
	v_lshlrev_b32_e32 v4, 16, v4
	v_mul_f32_e32 v5, 0x3fb8aa3b, v4
	v_cmp_gt_f32_e32 vcc, s8, v5
	v_cndmask_b32_e32 v5, 0, v7, vcc
	v_fmac_f32_e32 v5, 0x3fb8aa3b, v4
	v_exp_f32_e32 v5, v5
	v_cndmask_b32_e32 v3, 1.0, v3, vcc
	v_fma_f32 v3, v5, v3, 1.0
	v_cmp_gt_f32_e32 vcc, s9, v3
	v_cndmask_b32_e32 v5, 1.0, v11, vcc
	v_mul_f32_e32 v3, v3, v5
	v_log_f32_e32 v3, v3
	v_cndmask_b32_e32 v5, 0, v13, vcc
	v_cmp_lt_f32_e32 vcc, s7, v4
	v_sub_f32_e32 v3, v3, v5
	v_mul_f32_e32 v3, 0x3f317218, v3
	v_cndmask_b32_e32 v3, v3, v4, vcc
	v_mul_f32_e32 v4, 0x4f800000, v3
	v_cmp_gt_f32_e32 vcc, s12, v3
	v_cndmask_b32_e32 v3, v3, v4, vcc
	v_sqrt_f32_e32 v4, v3
	v_add_u32_e32 v5, -1, v4
	v_add_u32_e32 v7, 1, v4
	v_fma_f32 v11, -v5, v4, v3
	v_fma_f32 v13, -v7, v4, v3
	v_cmp_ge_f32_e64 s[2:3], 0, v11
	v_cndmask_b32_e64 v4, v4, v5, s[2:3]
	v_cmp_lt_f32_e64 s[2:3], 0, v13
	v_cndmask_b32_e64 v4, v4, v7, s[2:3]
	v_mul_f32_e32 v5, 0x37800000, v4
	v_cndmask_b32_e32 v4, v4, v5, vcc
	v_cmp_class_f32_e32 vcc, v3, v14
	v_cndmask_b32_e32 v3, v4, v3, vcc
	s_and_b64 vcc, exec, s[0:1]
	v_mov_b32_e32 v5, v3
	s_cbranch_vccnz .LBB298_8
; %bb.7:
	global_load_ushort v1, v1, s[10:11] offset:384
	s_waitcnt vmcnt(0)
	v_lshlrev_b32_e32 v1, 16, v1
	v_add_f32_e32 v5, v3, v1
.LBB298_8:
	v_add_u32_e32 v4, 64, v0
	v_cmp_lt_f32_e32 vcc, v6, v8
	v_add_u32_e32 v15, 0x80, v0
	v_add_u32_e32 v7, 0xc0, v0
	v_cndmask_b32_e32 v11, v9, v2, vcc
	v_cndmask_b32_e32 v2, v2, v9, vcc
	;; [unrolled: 1-line block ×6, first 2 shown]
	v_cmp_lt_f32_e32 vcc, v10, v5
	v_mov_b32_e32 v8, v10
	s_and_saveexec_b64 s[0:1], vcc
	s_xor_b64 s[0:1], exec, s[0:1]
; %bb.9:
	v_mov_b32_e32 v8, v12
	v_mov_b32_e32 v14, v10
	;; [unrolled: 1-line block ×4, first 2 shown]
	v_swap_b32 v12, v3
	v_swap_b32 v15, v7
	v_mov_b32_e32 v8, v5
	v_mov_b32_e32 v5, v14
; %bb.10:
	s_or_b64 exec, exec, s[0:1]
	v_cmp_lt_f32_e32 vcc, v6, v10
	v_cndmask_b32_e32 v13, v12, v2, vcc
	v_cndmask_b32_e32 v2, v2, v12, vcc
	;; [unrolled: 1-line block ×6, first 2 shown]
	v_cmp_lt_f32_e32 vcc, v9, v5
	v_mov_b32_e32 v15, v9
	s_and_saveexec_b64 s[0:1], vcc
; %bb.11:
	v_mov_b32_e32 v16, v9
	v_mov_b32_e32 v8, v11
	;; [unrolled: 1-line block ×4, first 2 shown]
	v_swap_b32 v11, v3
	v_swap_b32 v1, v7
	v_mov_b32_e32 v15, v5
	v_mov_b32_e32 v5, v16
; %bb.12:
	s_or_b64 exec, exec, s[0:1]
	s_load_dword s2, s[4:5], 0x28
	s_load_dwordx4 s[8:11], s[4:5], 0x10
	s_waitcnt lgkmcnt(0)
	s_cmp_lt_i32 s2, 1
	s_cbranch_scc1 .LBB298_18
; %bb.13:
	v_cmp_lt_f32_e32 vcc, v9, v12
	v_cndmask_b32_e32 v10, v12, v9, vcc
	v_cndmask_b32_e32 v9, v15, v12, vcc
	;; [unrolled: 1-line block ×4, first 2 shown]
	v_mbcnt_lo_u32_b32 v13, -1, 0
	v_mbcnt_hi_u32_b32 v13, -1, v13
	v_bfrev_b32_e32 v17, 0.5
	v_cndmask_b32_e32 v8, v14, v1, vcc
	v_cndmask_b32_e32 v1, v1, v14, vcc
	v_mov_b32_e32 v15, 0
	v_mov_b32_e32 v14, 0
	;; [unrolled: 1-line block ×3, first 2 shown]
	v_lshl_or_b32 v17, v13, 2, v17
	v_mov_b32_e32 v18, v0
	s_mov_b32 s3, s2
	v_mov_b32_e32 v13, 0
.LBB298_14:                             ; =>This Inner Loop Header: Depth=1
	v_cmp_eq_u32_e32 vcc, 1, v15
	v_cndmask_b32_e32 v19, v6, v9, vcc
	v_cmp_eq_u32_e64 s[0:1], 2, v15
	v_cndmask_b32_e64 v19, v19, v10, s[0:1]
	v_cndmask_b32_e32 v20, v4, v1, vcc
	v_cndmask_b32_e32 v21, v2, v11, vcc
	v_cmp_eq_u32_e32 vcc, 3, v15
	v_cndmask_b32_e32 v19, v19, v5, vcc
	v_cndmask_b32_e64 v20, v20, v8, s[0:1]
	v_cndmask_b32_e64 v21, v21, v12, s[0:1]
	v_cmp_gt_u32_e64 s[0:1], 4, v15
	v_cndmask_b32_e64 v19, v16, v19, s[0:1]
	;;#ASMSTART
	v_max_f32 v23, v19, v19 quad_perm:[1,0,3,2] row_mask:0xf bank_mask:0xf bound_ctrl:1
	;;#ASMEND
	;;#ASMSTART
	v_max_f32 v24, v23, v23 quad_perm:[2,3,0,1] row_mask:0xf bank_mask:0xf bound_ctrl:1
	;;#ASMEND
	;;#ASMSTART
	v_max_f32 v23, v24, v24 row_half_mirror row_mask:0xf bank_mask:0xf bound_ctrl:1
	;;#ASMEND
	;;#ASMSTART
	v_max_f32 v24, v23, v23 row_mirror row_mask:0xf bank_mask:0xf bound_ctrl:1
	;;#ASMEND
	;;#ASMSTART
	v_max_f32 v23, v24, v24 row_ror:4 row_mask:0xf bank_mask:0xf bound_ctrl:1
	;;#ASMEND
	;;#ASMSTART
	v_max_f32 v24, v23, v23 row_ror:8 row_mask:0xf bank_mask:0xf bound_ctrl:1
	;;#ASMEND
	;;#ASMSTART
	v_max_f32 v23, v24, v24 row_bcast:15 row_mask:0xf bank_mask:0xf bound_ctrl:1
	;;#ASMEND
	;;#ASMSTART
	v_max_f32 v24, v23, v23 row_bcast:31 row_mask:0xf bank_mask:0xf bound_ctrl:1
	;;#ASMEND
	ds_bpermute_b32 v23, v17, v24
	v_cndmask_b32_e32 v20, v20, v7, vcc
	v_cndmask_b32_e32 v21, v21, v3, vcc
	v_cndmask_b32_e64 v22, 0, v20, s[0:1]
	s_waitcnt lgkmcnt(0)
	v_cmp_eq_f32_e32 vcc, v19, v23
	s_ff1_i32_b64 s7, vcc
	s_cmp_lg_u64 vcc, 0
	s_cselect_b32 s7, s7, 0
	v_readlane_b32 s7, v22, s7
	v_cmp_eq_u32_e32 vcc, s7, v20
	s_and_b64 vcc, s[0:1], vcc
	s_and_b32 s12, s7, 63
	v_cndmask_b32_e32 v20, 0, v21, vcc
	v_addc_co_u32_e32 v15, vcc, 0, v15, vcc
	v_readlane_b32 s0, v20, s12
	s_add_i32 s3, s3, -1
	v_mov_b32_e32 v19, s7
	v_mov_b32_e32 v20, s0
	v_cmp_eq_u32_e32 vcc, 0, v18
	s_cmp_eq_u32 s3, 0
	v_add_u32_e32 v18, -1, v18
	v_cndmask_b32_e32 v14, v14, v20, vcc
	v_cndmask_b32_e32 v13, v13, v19, vcc
	s_cbranch_scc0 .LBB298_14
; %bb.15:
	v_cmp_gt_i32_e32 vcc, s2, v0
	s_and_saveexec_b64 s[0:1], vcc
	s_cbranch_execz .LBB298_17
.LBB298_16:
	s_load_dword s2, s[4:5], 0x30
	s_load_dwordx2 s[0:1], s[4:5], 0x20
	s_ashr_i32 s3, s6, 31
	v_lshlrev_b32_e32 v0, 2, v0
	s_waitcnt lgkmcnt(0)
	v_mul_f32_e32 v1, s2, v14
	s_mul_i32 s1, s6, s1
	s_mul_hi_u32 s2, s6, s0
	s_add_i32 s1, s2, s1
	s_mul_i32 s3, s3, s0
	s_add_i32 s1, s1, s3
	s_mul_i32 s0, s6, s0
	s_lshl_b64 s[0:1], s[0:1], 2
	s_add_u32 s2, s8, s0
	s_addc_u32 s3, s9, s1
	s_add_u32 s0, s10, s0
	s_addc_u32 s1, s11, s1
	global_store_dword v0, v1, s[2:3]
	global_store_dword v0, v13, s[0:1]
.LBB298_17:
	s_endpgm
.LBB298_18:
	v_mov_b32_e32 v13, 0
	v_mov_b32_e32 v14, 0
	v_cmp_gt_i32_e32 vcc, s2, v0
	s_and_saveexec_b64 s[0:1], vcc
	s_cbranch_execnz .LBB298_16
	s_branch .LBB298_17
	.section	.rodata,"a",@progbits
	.p2align	6, 0x0
	.amdhsa_kernel _ZN5aiter24topk_softplus_kernel_optI12hip_bfloat16S1_Li256ELb0ELi0EEEvPKT_PKT0_PfPimiif
		.amdhsa_group_segment_fixed_size 0
		.amdhsa_private_segment_fixed_size 0
		.amdhsa_kernarg_size 52
		.amdhsa_user_sgpr_count 6
		.amdhsa_user_sgpr_private_segment_buffer 1
		.amdhsa_user_sgpr_dispatch_ptr 0
		.amdhsa_user_sgpr_queue_ptr 0
		.amdhsa_user_sgpr_kernarg_segment_ptr 1
		.amdhsa_user_sgpr_dispatch_id 0
		.amdhsa_user_sgpr_flat_scratch_init 0
		.amdhsa_user_sgpr_kernarg_preload_length 0
		.amdhsa_user_sgpr_kernarg_preload_offset 0
		.amdhsa_user_sgpr_private_segment_size 0
		.amdhsa_uses_dynamic_stack 0
		.amdhsa_system_sgpr_private_segment_wavefront_offset 0
		.amdhsa_system_sgpr_workgroup_id_x 1
		.amdhsa_system_sgpr_workgroup_id_y 0
		.amdhsa_system_sgpr_workgroup_id_z 0
		.amdhsa_system_sgpr_workgroup_info 0
		.amdhsa_system_vgpr_workitem_id 0
		.amdhsa_next_free_vgpr 25
		.amdhsa_next_free_sgpr 15
		.amdhsa_accum_offset 28
		.amdhsa_reserve_vcc 1
		.amdhsa_reserve_flat_scratch 0
		.amdhsa_float_round_mode_32 0
		.amdhsa_float_round_mode_16_64 0
		.amdhsa_float_denorm_mode_32 3
		.amdhsa_float_denorm_mode_16_64 3
		.amdhsa_dx10_clamp 1
		.amdhsa_ieee_mode 1
		.amdhsa_fp16_overflow 0
		.amdhsa_tg_split 0
		.amdhsa_exception_fp_ieee_invalid_op 0
		.amdhsa_exception_fp_denorm_src 0
		.amdhsa_exception_fp_ieee_div_zero 0
		.amdhsa_exception_fp_ieee_overflow 0
		.amdhsa_exception_fp_ieee_underflow 0
		.amdhsa_exception_fp_ieee_inexact 0
		.amdhsa_exception_int_div_zero 0
	.end_amdhsa_kernel
	.section	.text._ZN5aiter24topk_softplus_kernel_optI12hip_bfloat16S1_Li256ELb0ELi0EEEvPKT_PKT0_PfPimiif,"axG",@progbits,_ZN5aiter24topk_softplus_kernel_optI12hip_bfloat16S1_Li256ELb0ELi0EEEvPKT_PKT0_PfPimiif,comdat
.Lfunc_end298:
	.size	_ZN5aiter24topk_softplus_kernel_optI12hip_bfloat16S1_Li256ELb0ELi0EEEvPKT_PKT0_PfPimiif, .Lfunc_end298-_ZN5aiter24topk_softplus_kernel_optI12hip_bfloat16S1_Li256ELb0ELi0EEEvPKT_PKT0_PfPimiif
                                        ; -- End function
	.section	.AMDGPU.csdata,"",@progbits
; Kernel info:
; codeLenInByte = 1788
; NumSgprs: 19
; NumVgprs: 25
; NumAgprs: 0
; TotalNumVgprs: 25
; ScratchSize: 0
; MemoryBound: 0
; FloatMode: 240
; IeeeMode: 1
; LDSByteSize: 0 bytes/workgroup (compile time only)
; SGPRBlocks: 2
; VGPRBlocks: 3
; NumSGPRsForWavesPerEU: 19
; NumVGPRsForWavesPerEU: 25
; AccumOffset: 28
; Occupancy: 8
; WaveLimiterHint : 0
; COMPUTE_PGM_RSRC2:SCRATCH_EN: 0
; COMPUTE_PGM_RSRC2:USER_SGPR: 6
; COMPUTE_PGM_RSRC2:TRAP_HANDLER: 0
; COMPUTE_PGM_RSRC2:TGID_X_EN: 1
; COMPUTE_PGM_RSRC2:TGID_Y_EN: 0
; COMPUTE_PGM_RSRC2:TGID_Z_EN: 0
; COMPUTE_PGM_RSRC2:TIDIG_COMP_CNT: 0
; COMPUTE_PGM_RSRC3_GFX90A:ACCUM_OFFSET: 6
; COMPUTE_PGM_RSRC3_GFX90A:TG_SPLIT: 0
	.section	.text._ZN5aiter24topk_softplus_kernel_optI12hip_bfloat16S1_Li384ELb1ELi0EEEvPKT_PKT0_PfPimiif,"axG",@progbits,_ZN5aiter24topk_softplus_kernel_optI12hip_bfloat16S1_Li384ELb1ELi0EEEvPKT_PKT0_PfPimiif,comdat
	.protected	_ZN5aiter24topk_softplus_kernel_optI12hip_bfloat16S1_Li384ELb1ELi0EEEvPKT_PKT0_PfPimiif ; -- Begin function _ZN5aiter24topk_softplus_kernel_optI12hip_bfloat16S1_Li384ELb1ELi0EEEvPKT_PKT0_PfPimiif
	.globl	_ZN5aiter24topk_softplus_kernel_optI12hip_bfloat16S1_Li384ELb1ELi0EEEvPKT_PKT0_PfPimiif
	.p2align	8
	.type	_ZN5aiter24topk_softplus_kernel_optI12hip_bfloat16S1_Li384ELb1ELi0EEEvPKT_PKT0_PfPimiif,@function
_ZN5aiter24topk_softplus_kernel_optI12hip_bfloat16S1_Li384ELb1ELi0EEEvPKT_PKT0_PfPimiif: ; @_ZN5aiter24topk_softplus_kernel_optI12hip_bfloat16S1_Li384ELb1ELi0EEEvPKT_PKT0_PfPimiif
; %bb.0:
	s_load_dwordx4 s[8:11], s[4:5], 0x0
	s_mul_i32 s0, s6, 0x180
	s_ashr_i32 s1, s0, 31
	s_lshl_b64 s[0:1], s[0:1], 1
	v_lshlrev_b32_e32 v1, 1, v0
	s_waitcnt lgkmcnt(0)
	s_add_u32 s0, s8, s0
	s_addc_u32 s1, s9, s1
	global_load_ushort v2, v1, s[0:1]
	s_mov_b32 s12, 0xc2fc0000
	v_mov_b32_e32 v7, 0x42800000
	v_mov_b32_e32 v8, 0x1f800000
	s_mov_b32 s13, 0x800000
	v_mov_b32_e32 v9, 0x4f800000
	v_mov_b32_e32 v10, 0x42000000
	s_mov_b32 s7, 0x41a00000
	s_mov_b32 s14, 0xf800000
	v_mov_b32_e32 v6, 0x260
	s_cmp_lg_u64 s[10:11], 0
	s_cselect_b64 s[8:9], -1, 0
	s_waitcnt vmcnt(0)
	v_lshlrev_b32_e32 v2, 16, v2
	v_mul_f32_e32 v3, 0x3fb8aa3b, v2
	v_cmp_gt_f32_e32 vcc, s12, v3
	v_cndmask_b32_e32 v3, 0, v7, vcc
	v_fmac_f32_e32 v3, 0x3fb8aa3b, v2
	v_exp_f32_e32 v3, v3
	v_cndmask_b32_e32 v4, 1.0, v8, vcc
	v_fma_f32 v3, v3, v4, 1.0
	v_cmp_gt_f32_e32 vcc, s13, v3
	v_cndmask_b32_e32 v4, 1.0, v9, vcc
	v_mul_f32_e32 v3, v3, v4
	v_log_f32_e32 v3, v3
	v_cndmask_b32_e32 v5, 0, v10, vcc
	v_cmp_lt_f32_e32 vcc, s7, v2
	v_mov_b32_e32 v4, s1
	v_sub_f32_e32 v3, v3, v5
	v_mul_f32_e32 v3, 0x3f317218, v3
	v_cndmask_b32_e32 v2, v3, v2, vcc
	v_mul_f32_e32 v3, 0x4f800000, v2
	v_cmp_gt_f32_e32 vcc, s14, v2
	v_cndmask_b32_e32 v5, v2, v3, vcc
	v_sqrt_f32_e32 v11, v5
	v_add_co_u32_e64 v2, s[0:1], s0, v1
	v_addc_co_u32_e64 v3, s[0:1], 0, v4, s[0:1]
	v_add_u32_e32 v4, -1, v11
	v_add_u32_e32 v12, 1, v11
	v_fma_f32 v13, -v4, v11, v5
	v_fma_f32 v14, -v12, v11, v5
	v_cmp_ge_f32_e64 s[2:3], 0, v13
	v_cndmask_b32_e64 v4, v11, v4, s[2:3]
	v_cmp_lt_f32_e64 s[2:3], 0, v14
	v_cndmask_b32_e64 v4, v4, v12, s[2:3]
	v_mul_f32_e32 v11, 0x37800000, v4
	v_cndmask_b32_e32 v4, v4, v11, vcc
	v_cmp_class_f32_e32 vcc, v5, v6
	s_and_b64 s[0:1], exec, s[8:9]
	v_cndmask_b32_e32 v4, v4, v5, vcc
	v_mov_b32_e32 v5, v4
	s_mov_b64 vcc, s[0:1]
	s_cbranch_vccz .LBB299_2
; %bb.1:
	global_load_ushort v5, v1, s[10:11]
	s_waitcnt vmcnt(0)
	v_lshlrev_b32_e32 v5, 16, v5
	v_add_f32_e32 v5, v4, v5
.LBB299_2:
	global_load_ushort v11, v[2:3], off offset:128
	s_waitcnt vmcnt(0)
	v_lshlrev_b32_e32 v11, 16, v11
	v_mul_f32_e32 v12, 0x3fb8aa3b, v11
	v_cmp_gt_f32_e32 vcc, s12, v12
	v_cndmask_b32_e32 v7, 0, v7, vcc
	v_fmac_f32_e32 v7, 0x3fb8aa3b, v11
	v_exp_f32_e32 v7, v7
	v_cndmask_b32_e32 v8, 1.0, v8, vcc
	v_fma_f32 v7, v7, v8, 1.0
	v_cmp_gt_f32_e32 vcc, s13, v7
	v_cndmask_b32_e32 v8, 1.0, v9, vcc
	v_mul_f32_e32 v7, v7, v8
	v_log_f32_e32 v7, v7
	v_cndmask_b32_e32 v8, 0, v10, vcc
	v_cmp_lt_f32_e32 vcc, s7, v11
	v_cndmask_b32_e64 v9, 0, 1, s[8:9]
	v_sub_f32_e32 v7, v7, v8
	v_mul_f32_e32 v7, 0x3f317218, v7
	v_cndmask_b32_e32 v7, v7, v11, vcc
	v_mul_f32_e32 v8, 0x4f800000, v7
	v_cmp_gt_f32_e32 vcc, s14, v7
	v_cndmask_b32_e32 v7, v7, v8, vcc
	v_sqrt_f32_e32 v8, v7
	v_cmp_ne_u32_e64 s[0:1], 1, v9
	v_add_u32_e32 v9, -1, v8
	v_add_u32_e32 v10, 1, v8
	v_fma_f32 v11, -v9, v8, v7
	v_fma_f32 v12, -v10, v8, v7
	v_cmp_ge_f32_e64 s[2:3], 0, v11
	v_cndmask_b32_e64 v8, v8, v9, s[2:3]
	v_cmp_lt_f32_e64 s[2:3], 0, v12
	v_cndmask_b32_e64 v8, v8, v10, s[2:3]
	v_mul_f32_e32 v9, 0x37800000, v8
	v_cndmask_b32_e32 v8, v8, v9, vcc
	v_cmp_class_f32_e32 vcc, v7, v6
	v_cndmask_b32_e32 v6, v8, v7, vcc
	s_andn2_b64 vcc, exec, s[8:9]
	v_mov_b32_e32 v7, v6
	s_cbranch_vccnz .LBB299_4
; %bb.3:
	global_load_ushort v7, v1, s[10:11] offset:128
	s_waitcnt vmcnt(0)
	v_lshlrev_b32_e32 v7, 16, v7
	v_add_f32_e32 v7, v6, v7
.LBB299_4:
	global_load_ushort v8, v[2:3], off offset:256
	s_mov_b32 s8, 0xc2fc0000
	v_mov_b32_e32 v11, 0x42800000
	v_mov_b32_e32 v10, 0x1f800000
	s_mov_b32 s9, 0x800000
	v_mov_b32_e32 v12, 0x4f800000
	s_mov_b32 s12, 0xf800000
	s_waitcnt vmcnt(0)
	v_lshlrev_b32_e32 v8, 16, v8
	v_mul_f32_e32 v9, 0x3fb8aa3b, v8
	v_cmp_gt_f32_e32 vcc, s8, v9
	v_cndmask_b32_e32 v9, 0, v11, vcc
	v_fmac_f32_e32 v9, 0x3fb8aa3b, v8
	v_exp_f32_e32 v9, v9
	v_cndmask_b32_e32 v13, 1.0, v10, vcc
	v_fma_f32 v9, v9, v13, 1.0
	v_cmp_gt_f32_e32 vcc, s9, v9
	v_cndmask_b32_e32 v13, 1.0, v12, vcc
	v_mul_f32_e32 v9, v9, v13
	v_log_f32_e32 v9, v9
	v_mov_b32_e32 v13, 0x42000000
	v_cndmask_b32_e32 v14, 0, v13, vcc
	v_cmp_lt_f32_e32 vcc, s7, v8
	v_sub_f32_e32 v9, v9, v14
	v_mul_f32_e32 v9, 0x3f317218, v9
	v_cndmask_b32_e32 v8, v9, v8, vcc
	v_mul_f32_e32 v9, 0x4f800000, v8
	v_cmp_gt_f32_e32 vcc, s12, v8
	v_cndmask_b32_e32 v8, v8, v9, vcc
	v_sqrt_f32_e32 v9, v8
	v_mov_b32_e32 v14, 0x260
	v_add_u32_e32 v15, -1, v9
	v_add_u32_e32 v16, 1, v9
	v_fma_f32 v17, -v15, v9, v8
	v_fma_f32 v18, -v16, v9, v8
	v_cmp_ge_f32_e64 s[2:3], 0, v17
	v_cndmask_b32_e64 v9, v9, v15, s[2:3]
	v_cmp_lt_f32_e64 s[2:3], 0, v18
	v_cndmask_b32_e64 v9, v9, v16, s[2:3]
	v_mul_f32_e32 v15, 0x37800000, v9
	v_cndmask_b32_e32 v9, v9, v15, vcc
	v_cmp_class_f32_e32 vcc, v8, v14
	v_cndmask_b32_e32 v8, v9, v8, vcc
	s_and_b64 vcc, exec, s[0:1]
	v_mov_b32_e32 v9, v8
	s_cbranch_vccnz .LBB299_6
; %bb.5:
	global_load_ushort v9, v1, s[10:11] offset:256
	s_waitcnt vmcnt(0)
	v_lshlrev_b32_e32 v9, 16, v9
	v_add_f32_e32 v9, v8, v9
.LBB299_6:
	global_load_ushort v15, v[2:3], off offset:384
	s_waitcnt vmcnt(0)
	v_lshlrev_b32_e32 v15, 16, v15
	v_mul_f32_e32 v16, 0x3fb8aa3b, v15
	v_cmp_gt_f32_e32 vcc, s8, v16
	v_cndmask_b32_e32 v11, 0, v11, vcc
	v_fmac_f32_e32 v11, 0x3fb8aa3b, v15
	v_exp_f32_e32 v11, v11
	v_cndmask_b32_e32 v10, 1.0, v10, vcc
	v_fma_f32 v10, v11, v10, 1.0
	v_cmp_gt_f32_e32 vcc, s9, v10
	v_cndmask_b32_e32 v11, 1.0, v12, vcc
	v_mul_f32_e32 v10, v10, v11
	v_log_f32_e32 v10, v10
	v_cndmask_b32_e32 v11, 0, v13, vcc
	v_cmp_lt_f32_e32 vcc, s7, v15
	v_sub_f32_e32 v10, v10, v11
	v_mul_f32_e32 v10, 0x3f317218, v10
	v_cndmask_b32_e32 v10, v10, v15, vcc
	v_mul_f32_e32 v11, 0x4f800000, v10
	v_cmp_gt_f32_e32 vcc, s12, v10
	v_cndmask_b32_e32 v10, v10, v11, vcc
	v_sqrt_f32_e32 v11, v10
	v_add_u32_e32 v12, -1, v11
	v_add_u32_e32 v13, 1, v11
	v_fma_f32 v15, -v12, v11, v10
	v_fma_f32 v16, -v13, v11, v10
	v_cmp_ge_f32_e64 s[2:3], 0, v15
	v_cndmask_b32_e64 v11, v11, v12, s[2:3]
	v_cmp_lt_f32_e64 s[2:3], 0, v16
	v_cndmask_b32_e64 v11, v11, v13, s[2:3]
	v_mul_f32_e32 v12, 0x37800000, v11
	v_cndmask_b32_e32 v11, v11, v12, vcc
	v_cmp_class_f32_e32 vcc, v10, v14
	v_cndmask_b32_e32 v10, v11, v10, vcc
	s_and_b64 vcc, exec, s[0:1]
	v_mov_b32_e32 v11, v10
	s_cbranch_vccnz .LBB299_8
; %bb.7:
	global_load_ushort v11, v1, s[10:11] offset:384
	s_waitcnt vmcnt(0)
	v_lshlrev_b32_e32 v11, 16, v11
	v_add_f32_e32 v11, v10, v11
.LBB299_8:
	global_load_ushort v12, v[2:3], off offset:512
	v_mov_b32_e32 v15, 0x42800000
	v_mov_b32_e32 v14, 0x1f800000
	;; [unrolled: 1-line block ×3, first 2 shown]
	s_waitcnt vmcnt(0)
	v_lshlrev_b32_e32 v12, 16, v12
	v_mul_f32_e32 v13, 0x3fb8aa3b, v12
	v_cmp_gt_f32_e32 vcc, s8, v13
	v_cndmask_b32_e32 v13, 0, v15, vcc
	v_fmac_f32_e32 v13, 0x3fb8aa3b, v12
	v_exp_f32_e32 v13, v13
	v_cndmask_b32_e32 v17, 1.0, v14, vcc
	v_fma_f32 v13, v13, v17, 1.0
	v_cmp_gt_f32_e32 vcc, s9, v13
	v_cndmask_b32_e32 v17, 1.0, v16, vcc
	v_mul_f32_e32 v13, v13, v17
	v_log_f32_e32 v13, v13
	v_mov_b32_e32 v17, 0x42000000
	v_cndmask_b32_e32 v18, 0, v17, vcc
	v_cmp_lt_f32_e32 vcc, s7, v12
	v_sub_f32_e32 v13, v13, v18
	v_mul_f32_e32 v13, 0x3f317218, v13
	v_cndmask_b32_e32 v12, v13, v12, vcc
	v_mul_f32_e32 v13, 0x4f800000, v12
	v_cmp_gt_f32_e32 vcc, s12, v12
	v_cndmask_b32_e32 v12, v12, v13, vcc
	v_sqrt_f32_e32 v13, v12
	v_mov_b32_e32 v18, 0x260
	v_add_u32_e32 v19, -1, v13
	v_add_u32_e32 v20, 1, v13
	v_fma_f32 v21, -v19, v13, v12
	v_fma_f32 v22, -v20, v13, v12
	v_cmp_ge_f32_e64 s[2:3], 0, v21
	v_cndmask_b32_e64 v13, v13, v19, s[2:3]
	v_cmp_lt_f32_e64 s[2:3], 0, v22
	v_cndmask_b32_e64 v13, v13, v20, s[2:3]
	v_mul_f32_e32 v19, 0x37800000, v13
	v_cndmask_b32_e32 v13, v13, v19, vcc
	v_cmp_class_f32_e32 vcc, v12, v18
	v_cndmask_b32_e32 v12, v13, v12, vcc
	s_and_b64 vcc, exec, s[0:1]
	v_mov_b32_e32 v13, v12
	s_cbranch_vccnz .LBB299_10
; %bb.9:
	global_load_ushort v13, v1, s[10:11] offset:512
	s_waitcnt vmcnt(0)
	v_lshlrev_b32_e32 v13, 16, v13
	v_add_f32_e32 v13, v12, v13
.LBB299_10:
	global_load_ushort v2, v[2:3], off offset:640
	s_waitcnt vmcnt(0)
	v_lshlrev_b32_e32 v2, 16, v2
	v_mul_f32_e32 v3, 0x3fb8aa3b, v2
	v_cmp_gt_f32_e32 vcc, s8, v3
	v_cndmask_b32_e32 v3, 0, v15, vcc
	v_fmac_f32_e32 v3, 0x3fb8aa3b, v2
	v_exp_f32_e32 v3, v3
	v_cndmask_b32_e32 v14, 1.0, v14, vcc
	v_fma_f32 v3, v3, v14, 1.0
	v_cmp_gt_f32_e32 vcc, s9, v3
	v_cndmask_b32_e32 v14, 1.0, v16, vcc
	v_mul_f32_e32 v3, v3, v14
	v_log_f32_e32 v3, v3
	v_cndmask_b32_e32 v14, 0, v17, vcc
	v_cmp_lt_f32_e32 vcc, s7, v2
	v_sub_f32_e32 v3, v3, v14
	v_mul_f32_e32 v3, 0x3f317218, v3
	v_cndmask_b32_e32 v2, v3, v2, vcc
	v_mul_f32_e32 v3, 0x4f800000, v2
	v_cmp_gt_f32_e32 vcc, s12, v2
	v_cndmask_b32_e32 v2, v2, v3, vcc
	v_sqrt_f32_e32 v3, v2
	v_add_u32_e32 v14, -1, v3
	v_add_u32_e32 v15, 1, v3
	v_fma_f32 v16, -v14, v3, v2
	v_fma_f32 v17, -v15, v3, v2
	v_cmp_ge_f32_e64 s[2:3], 0, v16
	v_cndmask_b32_e64 v3, v3, v14, s[2:3]
	v_cmp_lt_f32_e64 s[2:3], 0, v17
	v_cndmask_b32_e64 v3, v3, v15, s[2:3]
	v_mul_f32_e32 v14, 0x37800000, v3
	v_cndmask_b32_e32 v3, v3, v14, vcc
	v_cmp_class_f32_e32 vcc, v2, v18
	v_cndmask_b32_e32 v2, v3, v2, vcc
	s_and_b64 vcc, exec, s[0:1]
	v_mov_b32_e32 v3, v2
	s_cbranch_vccnz .LBB299_12
; %bb.11:
	global_load_ushort v1, v1, s[10:11] offset:640
	s_waitcnt vmcnt(0)
	v_lshlrev_b32_e32 v1, 16, v1
	v_add_f32_e32 v3, v2, v1
.LBB299_12:
	v_add_u32_e32 v1, 64, v0
	v_cmp_lt_f32_e32 vcc, v5, v7
	v_add_u32_e32 v14, 0x80, v0
	v_add_u32_e32 v15, 0xc0, v0
	v_cndmask_b32_e32 v18, v6, v4, vcc
	v_cndmask_b32_e32 v4, v4, v6, vcc
	;; [unrolled: 1-line block ×6, first 2 shown]
	v_cmp_lt_f32_e32 vcc, v9, v11
	v_add_u32_e32 v16, 0x100, v0
	v_add_u32_e32 v17, 0x140, v0
	v_cndmask_b32_e32 v7, v10, v8, vcc
	v_cndmask_b32_e32 v8, v8, v10, vcc
	v_cndmask_b32_e32 v10, v15, v14, vcc
	v_cndmask_b32_e32 v14, v14, v15, vcc
	v_cndmask_b32_e32 v15, v11, v9, vcc
	v_cndmask_b32_e32 v9, v9, v11, vcc
	v_cmp_lt_f32_e32 vcc, v13, v3
	v_cndmask_b32_e32 v11, v2, v12, vcc
	v_cndmask_b32_e32 v2, v12, v2, vcc
	v_cndmask_b32_e32 v12, v17, v16, vcc
	v_cndmask_b32_e32 v16, v16, v17, vcc
	v_cndmask_b32_e32 v17, v3, v13, vcc
	v_cndmask_b32_e32 v3, v13, v3, vcc
	v_cmp_lt_f32_e32 vcc, v5, v9
	;; [unrolled: 7-line block ×7, first 2 shown]
	v_cndmask_b32_e32 v12, v21, v23, vcc
	v_cmp_lt_f32_e64 s[0:1], v26, v13
	v_cndmask_b32_e32 v5, v22, v9, vcc
	v_cndmask_b32_e32 v8, v9, v22, vcc
	;; [unrolled: 1-line block ×3, first 2 shown]
	v_cndmask_b32_e64 v18, v1, v24, s[0:1]
	v_cndmask_b32_e64 v14, v3, v25, s[0:1]
	;; [unrolled: 1-line block ×3, first 2 shown]
	v_cmp_lt_f32_e64 s[2:3], v16, v12
	v_cndmask_b32_e32 v10, v20, v11, vcc
	v_cndmask_b32_e32 v9, v23, v21, vcc
	v_cndmask_b32_e64 v1, v24, v1, s[0:1]
	v_cndmask_b32_e64 v3, v25, v3, s[0:1]
	;; [unrolled: 1-line block ×3, first 2 shown]
	s_and_saveexec_b64 s[0:1], s[2:3]
	s_xor_b64 s[0:1], exec, s[0:1]
; %bb.13:
	v_mov_b32_e32 v13, v19
	v_mov_b32_e32 v20, v15
	;; [unrolled: 1-line block ×3, first 2 shown]
	v_swap_b32 v16, v12
	v_swap_b32 v19, v8
	;; [unrolled: 1-line block ×3, first 2 shown]
; %bb.14:
	s_or_b64 exec, exec, s[0:1]
	s_load_dword s7, s[4:5], 0x28
	s_load_dwordx4 s[16:19], s[4:5], 0x10
	v_mov_b32_e32 v21, 0
	s_waitcnt lgkmcnt(0)
	s_cmp_lt_i32 s7, 1
	s_cbranch_scc1 .LBB299_20
; %bb.15:
	v_cmp_lt_f32_e32 vcc, v17, v16
	v_cndmask_b32_e32 v13, v15, v14, vcc
	v_cndmask_b32_e32 v14, v14, v15, vcc
	;; [unrolled: 1-line block ×6, first 2 shown]
	v_mbcnt_lo_u32_b32 v19, -1, 0
	v_mbcnt_hi_u32_b32 v19, -1, v19
	v_bfrev_b32_e32 v20, 0.5
	v_mov_b32_e32 v21, 0
	v_mov_b32_e32 v22, 0
	;; [unrolled: 1-line block ×3, first 2 shown]
	v_lshl_or_b32 v24, v19, 2, v20
	v_mov_b32_e32 v25, v0
	s_mov_b32 s20, s7
	v_mov_b32_e32 v19, 0
	v_mov_b32_e32 v20, 0
.LBB299_16:                             ; =>This Inner Loop Header: Depth=1
	v_cmp_eq_u32_e32 vcc, 1, v22
	v_cndmask_b32_e32 v26, v6, v11, vcc
	v_cmp_eq_u32_e64 s[0:1], 2, v22
	v_cndmask_b32_e64 v26, v26, v16, s[0:1]
	v_cmp_eq_u32_e64 s[2:3], 3, v22
	v_cndmask_b32_e64 v26, v26, v15, s[2:3]
	;; [unrolled: 2-line block ×4, first 2 shown]
	v_cmp_gt_u32_e64 s[12:13], 6, v22
	v_cndmask_b32_e64 v26, v23, v26, s[12:13]
	;;#ASMSTART
	v_max_f32 v27, v26, v26 quad_perm:[1,0,3,2] row_mask:0xf bank_mask:0xf bound_ctrl:1
	;;#ASMEND
	;;#ASMSTART
	v_max_f32 v28, v27, v27 quad_perm:[2,3,0,1] row_mask:0xf bank_mask:0xf bound_ctrl:1
	;;#ASMEND
	;;#ASMSTART
	v_max_f32 v27, v28, v28 row_half_mirror row_mask:0xf bank_mask:0xf bound_ctrl:1
	;;#ASMEND
	;;#ASMSTART
	v_max_f32 v28, v27, v27 row_mirror row_mask:0xf bank_mask:0xf bound_ctrl:1
	;;#ASMEND
	;;#ASMSTART
	v_max_f32 v27, v28, v28 row_ror:4 row_mask:0xf bank_mask:0xf bound_ctrl:1
	;;#ASMEND
	;;#ASMSTART
	v_max_f32 v28, v27, v27 row_ror:8 row_mask:0xf bank_mask:0xf bound_ctrl:1
	;;#ASMEND
	;;#ASMSTART
	v_max_f32 v27, v28, v28 row_bcast:15 row_mask:0xf bank_mask:0xf bound_ctrl:1
	;;#ASMEND
	;;#ASMSTART
	v_max_f32 v28, v27, v27 row_bcast:31 row_mask:0xf bank_mask:0xf bound_ctrl:1
	;;#ASMEND
	ds_bpermute_b32 v27, v24, v28
	s_waitcnt lgkmcnt(0)
	v_cmp_eq_f32_e64 s[14:15], v26, v27
	v_cndmask_b32_e32 v26, v4, v3, vcc
	v_cndmask_b32_e64 v26, v26, v14, s[0:1]
	v_cndmask_b32_e64 v26, v26, v13, s[2:3]
	;; [unrolled: 1-line block ×4, first 2 shown]
	s_ff1_i32_b64 s21, s[14:15]
	s_cmp_lg_u64 s[14:15], 0
	s_cselect_b32 s14, s21, 0
	v_cndmask_b32_e64 v27, 0, v26, s[12:13]
	v_readlane_b32 s21, v27, s14
	v_cmp_eq_u32_e64 s[14:15], s21, v26
	v_cndmask_b32_e32 v26, v2, v1, vcc
	v_cndmask_b32_e64 v26, v26, v18, s[0:1]
	v_cndmask_b32_e64 v26, v26, v17, s[2:3]
	v_cndmask_b32_e64 v26, v26, v8, s[8:9]
	v_cndmask_b32_e64 v26, v26, v5, s[10:11]
	s_and_b64 vcc, s[12:13], s[14:15]
	s_and_b32 s0, s21, 63
	v_cndmask_b32_e32 v26, 0, v26, vcc
	v_readlane_b32 s2, v26, s0
	v_mov_b32_e32 v26, s2
	v_cmp_eq_u32_e64 s[0:1], 0, v25
	v_cndmask_b32_e64 v20, v20, v26, s[0:1]
	v_mov_b32_e32 v26, s21
	s_add_i32 s20, s20, -1
	v_cndmask_b32_e64 v19, v19, v26, s[0:1]
	v_addc_co_u32_e32 v22, vcc, 0, v22, vcc
	s_cmp_eq_u32 s20, 0
	v_add_f32_e32 v21, s2, v21
	v_add_u32_e32 v25, -1, v25
	s_cbranch_scc0 .LBB299_16
; %bb.17:
	v_cmp_gt_i32_e32 vcc, s7, v0
	s_and_saveexec_b64 s[0:1], vcc
	s_cbranch_execz .LBB299_19
.LBB299_18:
	s_load_dword s2, s[4:5], 0x30
	v_max_f32_e32 v1, v21, v21
	v_max_f32_e32 v1, 0x1e3ce508, v1
	v_lshlrev_b32_e32 v0, 2, v0
	s_waitcnt lgkmcnt(0)
	v_div_scale_f32 v2, s[0:1], v1, v1, s2
	v_rcp_f32_e32 v3, v2
	v_div_scale_f32 v4, vcc, s2, v1, s2
	s_load_dwordx2 s[0:1], s[4:5], 0x20
	v_fma_f32 v5, -v2, v3, 1.0
	v_fmac_f32_e32 v3, v5, v3
	v_mul_f32_e32 v5, v4, v3
	v_fma_f32 v6, -v2, v5, v4
	v_fmac_f32_e32 v5, v6, v3
	v_fma_f32 v2, -v2, v5, v4
	v_div_fmas_f32 v2, v2, v3, v5
	v_div_fixup_f32 v1, v2, v1, s2
	s_ashr_i32 s2, s6, 31
	s_waitcnt lgkmcnt(0)
	s_mul_i32 s1, s6, s1
	s_mul_hi_u32 s3, s6, s0
	s_add_i32 s1, s3, s1
	s_mul_i32 s2, s2, s0
	s_add_i32 s1, s1, s2
	s_mul_i32 s0, s6, s0
	s_lshl_b64 s[0:1], s[0:1], 2
	s_add_u32 s2, s16, s0
	s_addc_u32 s3, s17, s1
	s_add_u32 s0, s18, s0
	v_mul_f32_e32 v1, v20, v1
	s_addc_u32 s1, s19, s1
	global_store_dword v0, v1, s[2:3]
	global_store_dword v0, v19, s[0:1]
.LBB299_19:
	s_endpgm
.LBB299_20:
	v_mov_b32_e32 v19, 0
	v_mov_b32_e32 v20, 0
	v_cmp_gt_i32_e32 vcc, s7, v0
	s_and_saveexec_b64 s[0:1], vcc
	s_cbranch_execnz .LBB299_18
	s_branch .LBB299_19
	.section	.rodata,"a",@progbits
	.p2align	6, 0x0
	.amdhsa_kernel _ZN5aiter24topk_softplus_kernel_optI12hip_bfloat16S1_Li384ELb1ELi0EEEvPKT_PKT0_PfPimiif
		.amdhsa_group_segment_fixed_size 0
		.amdhsa_private_segment_fixed_size 0
		.amdhsa_kernarg_size 52
		.amdhsa_user_sgpr_count 6
		.amdhsa_user_sgpr_private_segment_buffer 1
		.amdhsa_user_sgpr_dispatch_ptr 0
		.amdhsa_user_sgpr_queue_ptr 0
		.amdhsa_user_sgpr_kernarg_segment_ptr 1
		.amdhsa_user_sgpr_dispatch_id 0
		.amdhsa_user_sgpr_flat_scratch_init 0
		.amdhsa_user_sgpr_kernarg_preload_length 0
		.amdhsa_user_sgpr_kernarg_preload_offset 0
		.amdhsa_user_sgpr_private_segment_size 0
		.amdhsa_uses_dynamic_stack 0
		.amdhsa_system_sgpr_private_segment_wavefront_offset 0
		.amdhsa_system_sgpr_workgroup_id_x 1
		.amdhsa_system_sgpr_workgroup_id_y 0
		.amdhsa_system_sgpr_workgroup_id_z 0
		.amdhsa_system_sgpr_workgroup_info 0
		.amdhsa_system_vgpr_workitem_id 0
		.amdhsa_next_free_vgpr 29
		.amdhsa_next_free_sgpr 22
		.amdhsa_accum_offset 32
		.amdhsa_reserve_vcc 1
		.amdhsa_reserve_flat_scratch 0
		.amdhsa_float_round_mode_32 0
		.amdhsa_float_round_mode_16_64 0
		.amdhsa_float_denorm_mode_32 3
		.amdhsa_float_denorm_mode_16_64 3
		.amdhsa_dx10_clamp 1
		.amdhsa_ieee_mode 1
		.amdhsa_fp16_overflow 0
		.amdhsa_tg_split 0
		.amdhsa_exception_fp_ieee_invalid_op 0
		.amdhsa_exception_fp_denorm_src 0
		.amdhsa_exception_fp_ieee_div_zero 0
		.amdhsa_exception_fp_ieee_overflow 0
		.amdhsa_exception_fp_ieee_underflow 0
		.amdhsa_exception_fp_ieee_inexact 0
		.amdhsa_exception_int_div_zero 0
	.end_amdhsa_kernel
	.section	.text._ZN5aiter24topk_softplus_kernel_optI12hip_bfloat16S1_Li384ELb1ELi0EEEvPKT_PKT0_PfPimiif,"axG",@progbits,_ZN5aiter24topk_softplus_kernel_optI12hip_bfloat16S1_Li384ELb1ELi0EEEvPKT_PKT0_PfPimiif,comdat
.Lfunc_end299:
	.size	_ZN5aiter24topk_softplus_kernel_optI12hip_bfloat16S1_Li384ELb1ELi0EEEvPKT_PKT0_PfPimiif, .Lfunc_end299-_ZN5aiter24topk_softplus_kernel_optI12hip_bfloat16S1_Li384ELb1ELi0EEEvPKT_PKT0_PfPimiif
                                        ; -- End function
	.section	.AMDGPU.csdata,"",@progbits
; Kernel info:
; codeLenInByte = 2692
; NumSgprs: 26
; NumVgprs: 29
; NumAgprs: 0
; TotalNumVgprs: 29
; ScratchSize: 0
; MemoryBound: 0
; FloatMode: 240
; IeeeMode: 1
; LDSByteSize: 0 bytes/workgroup (compile time only)
; SGPRBlocks: 3
; VGPRBlocks: 3
; NumSGPRsForWavesPerEU: 26
; NumVGPRsForWavesPerEU: 29
; AccumOffset: 32
; Occupancy: 8
; WaveLimiterHint : 0
; COMPUTE_PGM_RSRC2:SCRATCH_EN: 0
; COMPUTE_PGM_RSRC2:USER_SGPR: 6
; COMPUTE_PGM_RSRC2:TRAP_HANDLER: 0
; COMPUTE_PGM_RSRC2:TGID_X_EN: 1
; COMPUTE_PGM_RSRC2:TGID_Y_EN: 0
; COMPUTE_PGM_RSRC2:TGID_Z_EN: 0
; COMPUTE_PGM_RSRC2:TIDIG_COMP_CNT: 0
; COMPUTE_PGM_RSRC3_GFX90A:ACCUM_OFFSET: 7
; COMPUTE_PGM_RSRC3_GFX90A:TG_SPLIT: 0
	.section	.text._ZN5aiter24topk_softplus_kernel_optI12hip_bfloat16S1_Li384ELb0ELi0EEEvPKT_PKT0_PfPimiif,"axG",@progbits,_ZN5aiter24topk_softplus_kernel_optI12hip_bfloat16S1_Li384ELb0ELi0EEEvPKT_PKT0_PfPimiif,comdat
	.protected	_ZN5aiter24topk_softplus_kernel_optI12hip_bfloat16S1_Li384ELb0ELi0EEEvPKT_PKT0_PfPimiif ; -- Begin function _ZN5aiter24topk_softplus_kernel_optI12hip_bfloat16S1_Li384ELb0ELi0EEEvPKT_PKT0_PfPimiif
	.globl	_ZN5aiter24topk_softplus_kernel_optI12hip_bfloat16S1_Li384ELb0ELi0EEEvPKT_PKT0_PfPimiif
	.p2align	8
	.type	_ZN5aiter24topk_softplus_kernel_optI12hip_bfloat16S1_Li384ELb0ELi0EEEvPKT_PKT0_PfPimiif,@function
_ZN5aiter24topk_softplus_kernel_optI12hip_bfloat16S1_Li384ELb0ELi0EEEvPKT_PKT0_PfPimiif: ; @_ZN5aiter24topk_softplus_kernel_optI12hip_bfloat16S1_Li384ELb0ELi0EEEvPKT_PKT0_PfPimiif
; %bb.0:
	s_load_dwordx4 s[8:11], s[4:5], 0x0
	s_mul_i32 s0, s6, 0x180
	s_ashr_i32 s1, s0, 31
	s_lshl_b64 s[0:1], s[0:1], 1
	v_lshlrev_b32_e32 v1, 1, v0
	s_waitcnt lgkmcnt(0)
	s_add_u32 s0, s8, s0
	s_addc_u32 s1, s9, s1
	global_load_ushort v2, v1, s[0:1]
	s_mov_b32 s12, 0xc2fc0000
	v_mov_b32_e32 v7, 0x42800000
	v_mov_b32_e32 v8, 0x1f800000
	s_mov_b32 s13, 0x800000
	v_mov_b32_e32 v9, 0x4f800000
	v_mov_b32_e32 v10, 0x42000000
	s_mov_b32 s7, 0x41a00000
	s_mov_b32 s14, 0xf800000
	v_mov_b32_e32 v6, 0x260
	s_cmp_lg_u64 s[10:11], 0
	s_cselect_b64 s[8:9], -1, 0
	s_waitcnt vmcnt(0)
	v_lshlrev_b32_e32 v2, 16, v2
	v_mul_f32_e32 v3, 0x3fb8aa3b, v2
	v_cmp_gt_f32_e32 vcc, s12, v3
	v_cndmask_b32_e32 v3, 0, v7, vcc
	v_fmac_f32_e32 v3, 0x3fb8aa3b, v2
	v_exp_f32_e32 v3, v3
	v_cndmask_b32_e32 v4, 1.0, v8, vcc
	v_fma_f32 v3, v3, v4, 1.0
	v_cmp_gt_f32_e32 vcc, s13, v3
	v_cndmask_b32_e32 v4, 1.0, v9, vcc
	v_mul_f32_e32 v3, v3, v4
	v_log_f32_e32 v3, v3
	v_cndmask_b32_e32 v5, 0, v10, vcc
	v_cmp_lt_f32_e32 vcc, s7, v2
	v_mov_b32_e32 v4, s1
	v_sub_f32_e32 v3, v3, v5
	v_mul_f32_e32 v3, 0x3f317218, v3
	v_cndmask_b32_e32 v2, v3, v2, vcc
	v_mul_f32_e32 v3, 0x4f800000, v2
	v_cmp_gt_f32_e32 vcc, s14, v2
	v_cndmask_b32_e32 v5, v2, v3, vcc
	v_sqrt_f32_e32 v11, v5
	v_add_co_u32_e64 v2, s[0:1], s0, v1
	v_addc_co_u32_e64 v3, s[0:1], 0, v4, s[0:1]
	v_add_u32_e32 v4, -1, v11
	v_add_u32_e32 v12, 1, v11
	v_fma_f32 v13, -v4, v11, v5
	v_fma_f32 v14, -v12, v11, v5
	v_cmp_ge_f32_e64 s[2:3], 0, v13
	v_cndmask_b32_e64 v4, v11, v4, s[2:3]
	v_cmp_lt_f32_e64 s[2:3], 0, v14
	v_cndmask_b32_e64 v4, v4, v12, s[2:3]
	v_mul_f32_e32 v11, 0x37800000, v4
	v_cndmask_b32_e32 v4, v4, v11, vcc
	v_cmp_class_f32_e32 vcc, v5, v6
	s_and_b64 s[0:1], exec, s[8:9]
	v_cndmask_b32_e32 v4, v4, v5, vcc
	v_mov_b32_e32 v5, v4
	s_mov_b64 vcc, s[0:1]
	s_cbranch_vccz .LBB300_2
; %bb.1:
	global_load_ushort v5, v1, s[10:11]
	s_waitcnt vmcnt(0)
	v_lshlrev_b32_e32 v5, 16, v5
	v_add_f32_e32 v5, v4, v5
.LBB300_2:
	global_load_ushort v11, v[2:3], off offset:128
	s_waitcnt vmcnt(0)
	v_lshlrev_b32_e32 v11, 16, v11
	v_mul_f32_e32 v12, 0x3fb8aa3b, v11
	v_cmp_gt_f32_e32 vcc, s12, v12
	v_cndmask_b32_e32 v7, 0, v7, vcc
	v_fmac_f32_e32 v7, 0x3fb8aa3b, v11
	v_exp_f32_e32 v7, v7
	v_cndmask_b32_e32 v8, 1.0, v8, vcc
	v_fma_f32 v7, v7, v8, 1.0
	v_cmp_gt_f32_e32 vcc, s13, v7
	v_cndmask_b32_e32 v8, 1.0, v9, vcc
	v_mul_f32_e32 v7, v7, v8
	v_log_f32_e32 v7, v7
	v_cndmask_b32_e32 v8, 0, v10, vcc
	v_cmp_lt_f32_e32 vcc, s7, v11
	v_cndmask_b32_e64 v9, 0, 1, s[8:9]
	v_sub_f32_e32 v7, v7, v8
	v_mul_f32_e32 v7, 0x3f317218, v7
	v_cndmask_b32_e32 v7, v7, v11, vcc
	v_mul_f32_e32 v8, 0x4f800000, v7
	v_cmp_gt_f32_e32 vcc, s14, v7
	v_cndmask_b32_e32 v7, v7, v8, vcc
	v_sqrt_f32_e32 v8, v7
	v_cmp_ne_u32_e64 s[0:1], 1, v9
	v_add_u32_e32 v9, -1, v8
	v_add_u32_e32 v10, 1, v8
	v_fma_f32 v11, -v9, v8, v7
	v_fma_f32 v12, -v10, v8, v7
	v_cmp_ge_f32_e64 s[2:3], 0, v11
	v_cndmask_b32_e64 v8, v8, v9, s[2:3]
	v_cmp_lt_f32_e64 s[2:3], 0, v12
	v_cndmask_b32_e64 v8, v8, v10, s[2:3]
	v_mul_f32_e32 v9, 0x37800000, v8
	v_cndmask_b32_e32 v8, v8, v9, vcc
	v_cmp_class_f32_e32 vcc, v7, v6
	v_cndmask_b32_e32 v6, v8, v7, vcc
	s_andn2_b64 vcc, exec, s[8:9]
	v_mov_b32_e32 v7, v6
	s_cbranch_vccnz .LBB300_4
; %bb.3:
	global_load_ushort v7, v1, s[10:11] offset:128
	s_waitcnt vmcnt(0)
	v_lshlrev_b32_e32 v7, 16, v7
	v_add_f32_e32 v7, v6, v7
.LBB300_4:
	global_load_ushort v8, v[2:3], off offset:256
	s_mov_b32 s8, 0xc2fc0000
	v_mov_b32_e32 v11, 0x42800000
	v_mov_b32_e32 v10, 0x1f800000
	s_mov_b32 s9, 0x800000
	v_mov_b32_e32 v12, 0x4f800000
	s_mov_b32 s12, 0xf800000
	s_waitcnt vmcnt(0)
	v_lshlrev_b32_e32 v8, 16, v8
	v_mul_f32_e32 v9, 0x3fb8aa3b, v8
	v_cmp_gt_f32_e32 vcc, s8, v9
	v_cndmask_b32_e32 v9, 0, v11, vcc
	v_fmac_f32_e32 v9, 0x3fb8aa3b, v8
	v_exp_f32_e32 v9, v9
	v_cndmask_b32_e32 v13, 1.0, v10, vcc
	v_fma_f32 v9, v9, v13, 1.0
	v_cmp_gt_f32_e32 vcc, s9, v9
	v_cndmask_b32_e32 v13, 1.0, v12, vcc
	v_mul_f32_e32 v9, v9, v13
	v_log_f32_e32 v9, v9
	v_mov_b32_e32 v13, 0x42000000
	v_cndmask_b32_e32 v14, 0, v13, vcc
	v_cmp_lt_f32_e32 vcc, s7, v8
	v_sub_f32_e32 v9, v9, v14
	v_mul_f32_e32 v9, 0x3f317218, v9
	v_cndmask_b32_e32 v8, v9, v8, vcc
	v_mul_f32_e32 v9, 0x4f800000, v8
	v_cmp_gt_f32_e32 vcc, s12, v8
	v_cndmask_b32_e32 v8, v8, v9, vcc
	v_sqrt_f32_e32 v9, v8
	v_mov_b32_e32 v14, 0x260
	v_add_u32_e32 v15, -1, v9
	v_add_u32_e32 v16, 1, v9
	v_fma_f32 v17, -v15, v9, v8
	v_fma_f32 v18, -v16, v9, v8
	v_cmp_ge_f32_e64 s[2:3], 0, v17
	v_cndmask_b32_e64 v9, v9, v15, s[2:3]
	v_cmp_lt_f32_e64 s[2:3], 0, v18
	v_cndmask_b32_e64 v9, v9, v16, s[2:3]
	v_mul_f32_e32 v15, 0x37800000, v9
	v_cndmask_b32_e32 v9, v9, v15, vcc
	v_cmp_class_f32_e32 vcc, v8, v14
	v_cndmask_b32_e32 v8, v9, v8, vcc
	s_and_b64 vcc, exec, s[0:1]
	v_mov_b32_e32 v9, v8
	s_cbranch_vccnz .LBB300_6
; %bb.5:
	global_load_ushort v9, v1, s[10:11] offset:256
	s_waitcnt vmcnt(0)
	v_lshlrev_b32_e32 v9, 16, v9
	v_add_f32_e32 v9, v8, v9
.LBB300_6:
	global_load_ushort v15, v[2:3], off offset:384
	s_waitcnt vmcnt(0)
	v_lshlrev_b32_e32 v15, 16, v15
	v_mul_f32_e32 v16, 0x3fb8aa3b, v15
	v_cmp_gt_f32_e32 vcc, s8, v16
	v_cndmask_b32_e32 v11, 0, v11, vcc
	v_fmac_f32_e32 v11, 0x3fb8aa3b, v15
	v_exp_f32_e32 v11, v11
	v_cndmask_b32_e32 v10, 1.0, v10, vcc
	v_fma_f32 v10, v11, v10, 1.0
	v_cmp_gt_f32_e32 vcc, s9, v10
	v_cndmask_b32_e32 v11, 1.0, v12, vcc
	v_mul_f32_e32 v10, v10, v11
	v_log_f32_e32 v10, v10
	v_cndmask_b32_e32 v11, 0, v13, vcc
	v_cmp_lt_f32_e32 vcc, s7, v15
	v_sub_f32_e32 v10, v10, v11
	v_mul_f32_e32 v10, 0x3f317218, v10
	v_cndmask_b32_e32 v10, v10, v15, vcc
	v_mul_f32_e32 v11, 0x4f800000, v10
	v_cmp_gt_f32_e32 vcc, s12, v10
	v_cndmask_b32_e32 v10, v10, v11, vcc
	v_sqrt_f32_e32 v11, v10
	v_add_u32_e32 v12, -1, v11
	v_add_u32_e32 v13, 1, v11
	v_fma_f32 v15, -v12, v11, v10
	v_fma_f32 v16, -v13, v11, v10
	v_cmp_ge_f32_e64 s[2:3], 0, v15
	v_cndmask_b32_e64 v11, v11, v12, s[2:3]
	v_cmp_lt_f32_e64 s[2:3], 0, v16
	v_cndmask_b32_e64 v11, v11, v13, s[2:3]
	v_mul_f32_e32 v12, 0x37800000, v11
	v_cndmask_b32_e32 v11, v11, v12, vcc
	v_cmp_class_f32_e32 vcc, v10, v14
	v_cndmask_b32_e32 v10, v11, v10, vcc
	s_and_b64 vcc, exec, s[0:1]
	v_mov_b32_e32 v11, v10
	s_cbranch_vccnz .LBB300_8
; %bb.7:
	global_load_ushort v11, v1, s[10:11] offset:384
	s_waitcnt vmcnt(0)
	v_lshlrev_b32_e32 v11, 16, v11
	v_add_f32_e32 v11, v10, v11
.LBB300_8:
	global_load_ushort v12, v[2:3], off offset:512
	v_mov_b32_e32 v15, 0x42800000
	v_mov_b32_e32 v14, 0x1f800000
	;; [unrolled: 1-line block ×3, first 2 shown]
	s_waitcnt vmcnt(0)
	v_lshlrev_b32_e32 v12, 16, v12
	v_mul_f32_e32 v13, 0x3fb8aa3b, v12
	v_cmp_gt_f32_e32 vcc, s8, v13
	v_cndmask_b32_e32 v13, 0, v15, vcc
	v_fmac_f32_e32 v13, 0x3fb8aa3b, v12
	v_exp_f32_e32 v13, v13
	v_cndmask_b32_e32 v17, 1.0, v14, vcc
	v_fma_f32 v13, v13, v17, 1.0
	v_cmp_gt_f32_e32 vcc, s9, v13
	v_cndmask_b32_e32 v17, 1.0, v16, vcc
	v_mul_f32_e32 v13, v13, v17
	v_log_f32_e32 v13, v13
	v_mov_b32_e32 v17, 0x42000000
	v_cndmask_b32_e32 v18, 0, v17, vcc
	v_cmp_lt_f32_e32 vcc, s7, v12
	v_sub_f32_e32 v13, v13, v18
	v_mul_f32_e32 v13, 0x3f317218, v13
	v_cndmask_b32_e32 v12, v13, v12, vcc
	v_mul_f32_e32 v13, 0x4f800000, v12
	v_cmp_gt_f32_e32 vcc, s12, v12
	v_cndmask_b32_e32 v12, v12, v13, vcc
	v_sqrt_f32_e32 v13, v12
	v_mov_b32_e32 v18, 0x260
	v_add_u32_e32 v19, -1, v13
	v_add_u32_e32 v20, 1, v13
	v_fma_f32 v21, -v19, v13, v12
	v_fma_f32 v22, -v20, v13, v12
	v_cmp_ge_f32_e64 s[2:3], 0, v21
	v_cndmask_b32_e64 v13, v13, v19, s[2:3]
	v_cmp_lt_f32_e64 s[2:3], 0, v22
	v_cndmask_b32_e64 v13, v13, v20, s[2:3]
	v_mul_f32_e32 v19, 0x37800000, v13
	v_cndmask_b32_e32 v13, v13, v19, vcc
	v_cmp_class_f32_e32 vcc, v12, v18
	v_cndmask_b32_e32 v12, v13, v12, vcc
	s_and_b64 vcc, exec, s[0:1]
	v_mov_b32_e32 v13, v12
	s_cbranch_vccnz .LBB300_10
; %bb.9:
	global_load_ushort v13, v1, s[10:11] offset:512
	s_waitcnt vmcnt(0)
	v_lshlrev_b32_e32 v13, 16, v13
	v_add_f32_e32 v13, v12, v13
.LBB300_10:
	global_load_ushort v2, v[2:3], off offset:640
	s_waitcnt vmcnt(0)
	v_lshlrev_b32_e32 v2, 16, v2
	v_mul_f32_e32 v3, 0x3fb8aa3b, v2
	v_cmp_gt_f32_e32 vcc, s8, v3
	v_cndmask_b32_e32 v3, 0, v15, vcc
	v_fmac_f32_e32 v3, 0x3fb8aa3b, v2
	v_exp_f32_e32 v3, v3
	v_cndmask_b32_e32 v14, 1.0, v14, vcc
	v_fma_f32 v3, v3, v14, 1.0
	v_cmp_gt_f32_e32 vcc, s9, v3
	v_cndmask_b32_e32 v14, 1.0, v16, vcc
	v_mul_f32_e32 v3, v3, v14
	v_log_f32_e32 v3, v3
	v_cndmask_b32_e32 v14, 0, v17, vcc
	v_cmp_lt_f32_e32 vcc, s7, v2
	v_sub_f32_e32 v3, v3, v14
	v_mul_f32_e32 v3, 0x3f317218, v3
	v_cndmask_b32_e32 v2, v3, v2, vcc
	v_mul_f32_e32 v3, 0x4f800000, v2
	v_cmp_gt_f32_e32 vcc, s12, v2
	v_cndmask_b32_e32 v2, v2, v3, vcc
	v_sqrt_f32_e32 v3, v2
	v_add_u32_e32 v14, -1, v3
	v_add_u32_e32 v15, 1, v3
	v_fma_f32 v16, -v14, v3, v2
	v_fma_f32 v17, -v15, v3, v2
	v_cmp_ge_f32_e64 s[2:3], 0, v16
	v_cndmask_b32_e64 v3, v3, v14, s[2:3]
	v_cmp_lt_f32_e64 s[2:3], 0, v17
	v_cndmask_b32_e64 v3, v3, v15, s[2:3]
	v_mul_f32_e32 v14, 0x37800000, v3
	v_cndmask_b32_e32 v3, v3, v14, vcc
	v_cmp_class_f32_e32 vcc, v2, v18
	v_cndmask_b32_e32 v2, v3, v2, vcc
	s_and_b64 vcc, exec, s[0:1]
	v_mov_b32_e32 v3, v2
	s_cbranch_vccnz .LBB300_12
; %bb.11:
	global_load_ushort v1, v1, s[10:11] offset:640
	s_waitcnt vmcnt(0)
	v_lshlrev_b32_e32 v1, 16, v1
	v_add_f32_e32 v3, v2, v1
.LBB300_12:
	v_add_u32_e32 v1, 64, v0
	v_cmp_lt_f32_e32 vcc, v5, v7
	v_add_u32_e32 v14, 0x80, v0
	v_add_u32_e32 v15, 0xc0, v0
	v_cndmask_b32_e32 v18, v6, v4, vcc
	v_cndmask_b32_e32 v4, v4, v6, vcc
	;; [unrolled: 1-line block ×6, first 2 shown]
	v_cmp_lt_f32_e32 vcc, v9, v11
	v_add_u32_e32 v16, 0x100, v0
	v_add_u32_e32 v17, 0x140, v0
	v_cndmask_b32_e32 v7, v10, v8, vcc
	v_cndmask_b32_e32 v8, v8, v10, vcc
	v_cndmask_b32_e32 v10, v15, v14, vcc
	v_cndmask_b32_e32 v14, v14, v15, vcc
	v_cndmask_b32_e32 v15, v11, v9, vcc
	v_cndmask_b32_e32 v9, v9, v11, vcc
	v_cmp_lt_f32_e32 vcc, v13, v3
	v_cndmask_b32_e32 v11, v2, v12, vcc
	v_cndmask_b32_e32 v2, v12, v2, vcc
	v_cndmask_b32_e32 v12, v17, v16, vcc
	v_cndmask_b32_e32 v16, v16, v17, vcc
	v_cndmask_b32_e32 v17, v3, v13, vcc
	v_cndmask_b32_e32 v3, v13, v3, vcc
	v_cmp_lt_f32_e32 vcc, v5, v9
	;; [unrolled: 7-line block ×7, first 2 shown]
	v_cndmask_b32_e32 v12, v21, v23, vcc
	v_cmp_lt_f32_e64 s[0:1], v26, v13
	v_cndmask_b32_e32 v5, v22, v9, vcc
	v_cndmask_b32_e32 v8, v9, v22, vcc
	;; [unrolled: 1-line block ×3, first 2 shown]
	v_cndmask_b32_e64 v18, v1, v24, s[0:1]
	v_cndmask_b32_e64 v14, v3, v25, s[0:1]
	;; [unrolled: 1-line block ×3, first 2 shown]
	v_cmp_lt_f32_e64 s[2:3], v16, v12
	v_cndmask_b32_e32 v10, v20, v11, vcc
	v_cndmask_b32_e32 v9, v23, v21, vcc
	v_cndmask_b32_e64 v1, v24, v1, s[0:1]
	v_cndmask_b32_e64 v3, v25, v3, s[0:1]
	;; [unrolled: 1-line block ×3, first 2 shown]
	s_and_saveexec_b64 s[0:1], s[2:3]
	s_xor_b64 s[0:1], exec, s[0:1]
; %bb.13:
	v_mov_b32_e32 v13, v19
	v_mov_b32_e32 v20, v15
	;; [unrolled: 1-line block ×3, first 2 shown]
	v_swap_b32 v16, v12
	v_swap_b32 v19, v8
	v_swap_b32 v15, v10
; %bb.14:
	s_or_b64 exec, exec, s[0:1]
	s_load_dword s7, s[4:5], 0x28
	s_load_dwordx4 s[16:19], s[4:5], 0x10
	s_waitcnt lgkmcnt(0)
	s_cmp_lt_i32 s7, 1
	s_cbranch_scc1 .LBB300_20
; %bb.15:
	v_cmp_lt_f32_e32 vcc, v17, v16
	v_cndmask_b32_e32 v13, v15, v14, vcc
	v_cndmask_b32_e32 v14, v14, v15, vcc
	;; [unrolled: 1-line block ×6, first 2 shown]
	v_mbcnt_lo_u32_b32 v19, -1, 0
	v_mbcnt_hi_u32_b32 v19, -1, v19
	v_bfrev_b32_e32 v23, 0.5
	v_mov_b32_e32 v21, 0
	v_mov_b32_e32 v20, 0
	v_mov_b32_e32 v22, 0xff800000
	v_lshl_or_b32 v23, v19, 2, v23
	v_mov_b32_e32 v24, v0
	s_mov_b32 s20, s7
	v_mov_b32_e32 v19, 0
.LBB300_16:                             ; =>This Inner Loop Header: Depth=1
	v_cmp_eq_u32_e32 vcc, 1, v21
	v_cndmask_b32_e32 v25, v6, v11, vcc
	v_cmp_eq_u32_e64 s[0:1], 2, v21
	v_cndmask_b32_e64 v25, v25, v16, s[0:1]
	v_cmp_eq_u32_e64 s[2:3], 3, v21
	v_cndmask_b32_e64 v25, v25, v15, s[2:3]
	;; [unrolled: 2-line block ×4, first 2 shown]
	v_cmp_gt_u32_e64 s[12:13], 6, v21
	v_cndmask_b32_e64 v25, v22, v25, s[12:13]
	;;#ASMSTART
	v_max_f32 v26, v25, v25 quad_perm:[1,0,3,2] row_mask:0xf bank_mask:0xf bound_ctrl:1
	;;#ASMEND
	;;#ASMSTART
	v_max_f32 v27, v26, v26 quad_perm:[2,3,0,1] row_mask:0xf bank_mask:0xf bound_ctrl:1
	;;#ASMEND
	;;#ASMSTART
	v_max_f32 v26, v27, v27 row_half_mirror row_mask:0xf bank_mask:0xf bound_ctrl:1
	;;#ASMEND
	;;#ASMSTART
	v_max_f32 v27, v26, v26 row_mirror row_mask:0xf bank_mask:0xf bound_ctrl:1
	;;#ASMEND
	;;#ASMSTART
	v_max_f32 v26, v27, v27 row_ror:4 row_mask:0xf bank_mask:0xf bound_ctrl:1
	;;#ASMEND
	;;#ASMSTART
	v_max_f32 v27, v26, v26 row_ror:8 row_mask:0xf bank_mask:0xf bound_ctrl:1
	;;#ASMEND
	;;#ASMSTART
	v_max_f32 v26, v27, v27 row_bcast:15 row_mask:0xf bank_mask:0xf bound_ctrl:1
	;;#ASMEND
	;;#ASMSTART
	v_max_f32 v27, v26, v26 row_bcast:31 row_mask:0xf bank_mask:0xf bound_ctrl:1
	;;#ASMEND
	ds_bpermute_b32 v26, v23, v27
	s_waitcnt lgkmcnt(0)
	v_cmp_eq_f32_e64 s[14:15], v25, v26
	v_cndmask_b32_e32 v25, v4, v3, vcc
	v_cndmask_b32_e64 v25, v25, v14, s[0:1]
	v_cndmask_b32_e64 v25, v25, v13, s[2:3]
	;; [unrolled: 1-line block ×4, first 2 shown]
	s_ff1_i32_b64 s21, s[14:15]
	s_cmp_lg_u64 s[14:15], 0
	s_cselect_b32 s14, s21, 0
	v_cndmask_b32_e64 v26, 0, v25, s[12:13]
	v_readlane_b32 s21, v26, s14
	v_cmp_eq_u32_e64 s[14:15], s21, v25
	v_cndmask_b32_e32 v25, v2, v1, vcc
	v_cndmask_b32_e64 v25, v25, v18, s[0:1]
	v_cndmask_b32_e64 v25, v25, v17, s[2:3]
	;; [unrolled: 1-line block ×4, first 2 shown]
	s_and_b64 vcc, s[12:13], s[14:15]
	s_and_b32 s0, s21, 63
	v_cndmask_b32_e32 v25, 0, v25, vcc
	v_readlane_b32 s0, v25, s0
	v_mov_b32_e32 v25, s0
	v_cmp_eq_u32_e64 s[0:1], 0, v24
	v_cndmask_b32_e64 v20, v20, v25, s[0:1]
	v_mov_b32_e32 v25, s21
	s_add_i32 s20, s20, -1
	v_cndmask_b32_e64 v19, v19, v25, s[0:1]
	v_addc_co_u32_e32 v21, vcc, 0, v21, vcc
	s_cmp_eq_u32 s20, 0
	v_add_u32_e32 v24, -1, v24
	s_cbranch_scc0 .LBB300_16
; %bb.17:
	v_cmp_gt_i32_e32 vcc, s7, v0
	s_and_saveexec_b64 s[0:1], vcc
	s_cbranch_execz .LBB300_19
.LBB300_18:
	s_load_dword s2, s[4:5], 0x30
	s_load_dwordx2 s[0:1], s[4:5], 0x20
	s_ashr_i32 s3, s6, 31
	v_lshlrev_b32_e32 v0, 2, v0
	s_waitcnt lgkmcnt(0)
	v_mul_f32_e32 v1, s2, v20
	s_mul_i32 s1, s6, s1
	s_mul_hi_u32 s2, s6, s0
	s_add_i32 s1, s2, s1
	s_mul_i32 s3, s3, s0
	s_add_i32 s1, s1, s3
	s_mul_i32 s0, s6, s0
	s_lshl_b64 s[0:1], s[0:1], 2
	s_add_u32 s2, s16, s0
	s_addc_u32 s3, s17, s1
	s_add_u32 s0, s18, s0
	s_addc_u32 s1, s19, s1
	global_store_dword v0, v1, s[2:3]
	global_store_dword v0, v19, s[0:1]
.LBB300_19:
	s_endpgm
.LBB300_20:
	v_mov_b32_e32 v19, 0
	v_mov_b32_e32 v20, 0
	v_cmp_gt_i32_e32 vcc, s7, v0
	s_and_saveexec_b64 s[0:1], vcc
	s_cbranch_execnz .LBB300_18
	s_branch .LBB300_19
	.section	.rodata,"a",@progbits
	.p2align	6, 0x0
	.amdhsa_kernel _ZN5aiter24topk_softplus_kernel_optI12hip_bfloat16S1_Li384ELb0ELi0EEEvPKT_PKT0_PfPimiif
		.amdhsa_group_segment_fixed_size 0
		.amdhsa_private_segment_fixed_size 0
		.amdhsa_kernarg_size 52
		.amdhsa_user_sgpr_count 6
		.amdhsa_user_sgpr_private_segment_buffer 1
		.amdhsa_user_sgpr_dispatch_ptr 0
		.amdhsa_user_sgpr_queue_ptr 0
		.amdhsa_user_sgpr_kernarg_segment_ptr 1
		.amdhsa_user_sgpr_dispatch_id 0
		.amdhsa_user_sgpr_flat_scratch_init 0
		.amdhsa_user_sgpr_kernarg_preload_length 0
		.amdhsa_user_sgpr_kernarg_preload_offset 0
		.amdhsa_user_sgpr_private_segment_size 0
		.amdhsa_uses_dynamic_stack 0
		.amdhsa_system_sgpr_private_segment_wavefront_offset 0
		.amdhsa_system_sgpr_workgroup_id_x 1
		.amdhsa_system_sgpr_workgroup_id_y 0
		.amdhsa_system_sgpr_workgroup_id_z 0
		.amdhsa_system_sgpr_workgroup_info 0
		.amdhsa_system_vgpr_workitem_id 0
		.amdhsa_next_free_vgpr 28
		.amdhsa_next_free_sgpr 22
		.amdhsa_accum_offset 28
		.amdhsa_reserve_vcc 1
		.amdhsa_reserve_flat_scratch 0
		.amdhsa_float_round_mode_32 0
		.amdhsa_float_round_mode_16_64 0
		.amdhsa_float_denorm_mode_32 3
		.amdhsa_float_denorm_mode_16_64 3
		.amdhsa_dx10_clamp 1
		.amdhsa_ieee_mode 1
		.amdhsa_fp16_overflow 0
		.amdhsa_tg_split 0
		.amdhsa_exception_fp_ieee_invalid_op 0
		.amdhsa_exception_fp_denorm_src 0
		.amdhsa_exception_fp_ieee_div_zero 0
		.amdhsa_exception_fp_ieee_overflow 0
		.amdhsa_exception_fp_ieee_underflow 0
		.amdhsa_exception_fp_ieee_inexact 0
		.amdhsa_exception_int_div_zero 0
	.end_amdhsa_kernel
	.section	.text._ZN5aiter24topk_softplus_kernel_optI12hip_bfloat16S1_Li384ELb0ELi0EEEvPKT_PKT0_PfPimiif,"axG",@progbits,_ZN5aiter24topk_softplus_kernel_optI12hip_bfloat16S1_Li384ELb0ELi0EEEvPKT_PKT0_PfPimiif,comdat
.Lfunc_end300:
	.size	_ZN5aiter24topk_softplus_kernel_optI12hip_bfloat16S1_Li384ELb0ELi0EEEvPKT_PKT0_PfPimiif, .Lfunc_end300-_ZN5aiter24topk_softplus_kernel_optI12hip_bfloat16S1_Li384ELb0ELi0EEEvPKT_PKT0_PfPimiif
                                        ; -- End function
	.section	.AMDGPU.csdata,"",@progbits
; Kernel info:
; codeLenInByte = 2592
; NumSgprs: 26
; NumVgprs: 28
; NumAgprs: 0
; TotalNumVgprs: 28
; ScratchSize: 0
; MemoryBound: 0
; FloatMode: 240
; IeeeMode: 1
; LDSByteSize: 0 bytes/workgroup (compile time only)
; SGPRBlocks: 3
; VGPRBlocks: 3
; NumSGPRsForWavesPerEU: 26
; NumVGPRsForWavesPerEU: 28
; AccumOffset: 28
; Occupancy: 8
; WaveLimiterHint : 0
; COMPUTE_PGM_RSRC2:SCRATCH_EN: 0
; COMPUTE_PGM_RSRC2:USER_SGPR: 6
; COMPUTE_PGM_RSRC2:TRAP_HANDLER: 0
; COMPUTE_PGM_RSRC2:TGID_X_EN: 1
; COMPUTE_PGM_RSRC2:TGID_Y_EN: 0
; COMPUTE_PGM_RSRC2:TGID_Z_EN: 0
; COMPUTE_PGM_RSRC2:TIDIG_COMP_CNT: 0
; COMPUTE_PGM_RSRC3_GFX90A:ACCUM_OFFSET: 6
; COMPUTE_PGM_RSRC3_GFX90A:TG_SPLIT: 0
	.section	.text._ZN5aiter20topk_softplus_kernelI12hip_bfloat16S1_Dv4_fLb1ELi0EEEvPKT_PKT0_PfPimiiif,"axG",@progbits,_ZN5aiter20topk_softplus_kernelI12hip_bfloat16S1_Dv4_fLb1ELi0EEEvPKT_PKT0_PfPimiiif,comdat
	.protected	_ZN5aiter20topk_softplus_kernelI12hip_bfloat16S1_Dv4_fLb1ELi0EEEvPKT_PKT0_PfPimiiif ; -- Begin function _ZN5aiter20topk_softplus_kernelI12hip_bfloat16S1_Dv4_fLb1ELi0EEEvPKT_PKT0_PfPimiiif
	.globl	_ZN5aiter20topk_softplus_kernelI12hip_bfloat16S1_Dv4_fLb1ELi0EEEvPKT_PKT0_PfPimiiif
	.p2align	8
	.type	_ZN5aiter20topk_softplus_kernelI12hip_bfloat16S1_Dv4_fLb1ELi0EEEvPKT_PKT0_PfPimiiif,@function
_ZN5aiter20topk_softplus_kernelI12hip_bfloat16S1_Dv4_fLb1ELi0EEEvPKT_PKT0_PfPimiiif: ; @_ZN5aiter20topk_softplus_kernelI12hip_bfloat16S1_Dv4_fLb1ELi0EEEvPKT_PKT0_PfPimiiif
; %bb.0:
	s_load_dwordx2 s[20:21], s[4:5], 0x28
	s_load_dwordx8 s[12:19], s[4:5], 0x0
	v_lshlrev_b32_e32 v1, 2, v0
	v_lshl_add_u32 v12, v0, 4, 0
	s_waitcnt lgkmcnt(0)
	s_ashr_i32 s0, s20, 31
	s_lshr_b32 s0, s0, 30
	s_add_i32 s0, s20, s0
	s_mul_i32 s22, s6, s20
	s_ashr_i32 s7, s0, 2
	s_ashr_i32 s23, s22, 31
	v_cmp_gt_i32_e64 s[0:1], s7, v0
	s_and_saveexec_b64 s[24:25], s[0:1]
	s_cbranch_execz .LBB301_11
; %bb.1:
	s_load_dword s8, s[4:5], 0x44
	s_cmp_lg_u64 s[14:15], 0
	s_cselect_b64 s[2:3], -1, 0
	v_lshlrev_b32_e32 v2, 3, v0
	s_mov_b64 s[26:27], 0
	s_waitcnt lgkmcnt(0)
	s_and_b32 s28, s8, 0xffff
	s_add_u32 s29, s14, 2
	s_addc_u32 s30, s15, 0
	s_add_u32 s31, s14, 4
	s_addc_u32 s33, s15, 0
	s_add_u32 s34, s14, 6
	s_addc_u32 s35, s15, 0
	s_lshl_b64 s[8:9], s[22:23], 1
	s_add_u32 s8, s12, s8
	s_addc_u32 s9, s13, s9
	v_mov_b32_e32 v3, s9
	v_add_co_u32_e32 v6, vcc, s8, v2
	v_cndmask_b32_e64 v2, 0, 1, s[2:3]
	s_mov_b32 s36, 0
	v_addc_co_u32_e32 v7, vcc, 0, v3, vcc
	s_lshl_b32 s37, s28, 3
	v_lshlrev_b32_e32 v8, 2, v0
	s_lshl_b32 s38, s28, 2
	v_lshl_add_u32 v13, v0, 4, 0
	s_lshl_b32 s39, s28, 4
	v_mov_b32_e32 v9, 0
	s_mov_b32 s40, 0xc2fc0000
	v_mov_b32_e32 v14, 0x42800000
	v_mov_b32_e32 v15, 0x1f800000
	s_mov_b32 s41, 0x800000
	v_mov_b32_e32 v16, 0x4f800000
	;; [unrolled: 3-line block ×3, first 2 shown]
	v_cmp_ne_u32_e64 s[2:3], 1, v2
	v_mov_b32_e32 v19, 20
	v_mov_b32_e32 v20, v0
	s_branch .LBB301_3
.LBB301_2:                              ;   in Loop: Header=BB301_3 Depth=1
	ds_write_b128 v13, v[2:5]
	v_mov_b32_e32 v2, s36
	v_add_co_u32_e32 v6, vcc, s37, v6
	v_add_u32_e32 v20, s28, v20
	v_addc_co_u32_e32 v7, vcc, v7, v2, vcc
	v_cmp_le_i32_e32 vcc, s7, v20
	v_add_u32_e32 v8, s38, v8
	s_or_b64 s[26:27], vcc, s[26:27]
	v_add_u32_e32 v13, s39, v13
	s_andn2_b64 exec, exec, s[26:27]
	s_cbranch_execz .LBB301_11
.LBB301_3:                              ; =>This Inner Loop Header: Depth=1
	global_load_dwordx2 v[4:5], v[6:7], off
	s_waitcnt vmcnt(0)
	v_cvt_f32_u32_sdwa v2, v4 dst_sel:DWORD dst_unused:UNUSED_PAD src0_sel:WORD_0
	v_mul_f32_e32 v3, 0x3fb8aa3b, v2
	v_cmp_gt_f32_e32 vcc, s40, v3
	v_cndmask_b32_e32 v3, 0, v14, vcc
	v_fmac_f32_e32 v3, 0x3fb8aa3b, v2
	v_exp_f32_e32 v3, v3
	v_cndmask_b32_e32 v10, 1.0, v15, vcc
	v_fma_f32 v3, v3, v10, 1.0
	v_cmp_gt_f32_e32 vcc, s41, v3
	v_cndmask_b32_e32 v10, 1.0, v16, vcc
	v_mul_f32_e32 v3, v3, v10
	v_log_f32_e32 v3, v3
	v_cndmask_b32_e32 v10, 0, v17, vcc
	v_cmp_lt_u16_e32 vcc, 20, v4
	v_sub_f32_e32 v3, v3, v10
	v_mul_f32_e32 v3, 0x3f317218, v3
	v_cndmask_b32_e32 v2, v3, v2, vcc
	v_mul_f32_e32 v3, 0x4f800000, v2
	v_cmp_gt_f32_e64 s[8:9], s42, v2
	v_cndmask_b32_e64 v2, v2, v3, s[8:9]
	v_sqrt_f32_e32 v3, v2
	s_and_b64 vcc, exec, s[2:3]
	v_add_u32_e32 v10, -1, v3
	v_add_u32_e32 v11, 1, v3
	v_fma_f32 v21, -v10, v3, v2
	v_fma_f32 v22, -v11, v3, v2
	v_cmp_ge_f32_e64 s[10:11], 0, v21
	v_cndmask_b32_e64 v3, v3, v10, s[10:11]
	v_cmp_lt_f32_e64 s[10:11], 0, v22
	v_cndmask_b32_e64 v3, v3, v11, s[10:11]
	v_mul_f32_e32 v10, 0x37800000, v3
	v_cndmask_b32_e64 v3, v3, v10, s[8:9]
	v_cmp_class_f32_e64 s[8:9], v2, v18
	v_cndmask_b32_e64 v2, v3, v2, s[8:9]
	v_lshlrev_b64 v[10:11], 1, v[8:9]
	s_cbranch_vccnz .LBB301_5
; %bb.4:                                ;   in Loop: Header=BB301_3 Depth=1
	v_mov_b32_e32 v3, s15
	v_add_co_u32_e32 v22, vcc, s14, v10
	v_addc_co_u32_e32 v23, vcc, v3, v11, vcc
	global_load_ushort v3, v[22:23], off
	s_waitcnt vmcnt(0)
	v_lshlrev_b32_e32 v3, 16, v3
	v_add_f32_e32 v2, v2, v3
.LBB301_5:                              ;   in Loop: Header=BB301_3 Depth=1
	v_cvt_f32_u32_sdwa v3, v4 dst_sel:DWORD dst_unused:UNUSED_PAD src0_sel:WORD_1
	v_mul_f32_e32 v21, 0x3fb8aa3b, v3
	v_cmp_gt_f32_e32 vcc, s40, v21
	v_cndmask_b32_e32 v21, 0, v14, vcc
	v_fmac_f32_e32 v21, 0x3fb8aa3b, v3
	v_exp_f32_e32 v21, v21
	v_cndmask_b32_e32 v22, 1.0, v15, vcc
	v_fma_f32 v21, v21, v22, 1.0
	v_cmp_gt_f32_e32 vcc, s41, v21
	v_cndmask_b32_e32 v22, 1.0, v16, vcc
	v_mul_f32_e32 v21, v21, v22
	v_log_f32_e32 v21, v21
	v_cndmask_b32_e32 v22, 0, v17, vcc
	v_cmp_gt_u16_sdwa vcc, v4, v19 src0_sel:WORD_1 src1_sel:DWORD
	v_sub_f32_e32 v21, v21, v22
	v_mul_f32_e32 v21, 0x3f317218, v21
	v_cndmask_b32_e32 v3, v21, v3, vcc
	v_mul_f32_e32 v4, 0x4f800000, v3
	v_cmp_gt_f32_e64 s[8:9], s42, v3
	v_cndmask_b32_e64 v3, v3, v4, s[8:9]
	v_sqrt_f32_e32 v4, v3
	s_and_b64 vcc, exec, s[2:3]
	v_add_u32_e32 v21, -1, v4
	v_add_u32_e32 v22, 1, v4
	v_fma_f32 v23, -v21, v4, v3
	v_fma_f32 v24, -v22, v4, v3
	v_cmp_ge_f32_e64 s[10:11], 0, v23
	v_cndmask_b32_e64 v4, v4, v21, s[10:11]
	v_cmp_lt_f32_e64 s[10:11], 0, v24
	v_cndmask_b32_e64 v4, v4, v22, s[10:11]
	v_mul_f32_e32 v21, 0x37800000, v4
	v_cndmask_b32_e64 v4, v4, v21, s[8:9]
	v_cmp_class_f32_e64 s[8:9], v3, v18
	v_cndmask_b32_e64 v3, v4, v3, s[8:9]
	s_cbranch_vccnz .LBB301_7
; %bb.6:                                ;   in Loop: Header=BB301_3 Depth=1
	v_mov_b32_e32 v4, s30
	v_add_co_u32_e32 v22, vcc, s29, v10
	v_addc_co_u32_e32 v23, vcc, v4, v11, vcc
	global_load_ushort v4, v[22:23], off
	s_waitcnt vmcnt(0)
	v_lshlrev_b32_e32 v4, 16, v4
	v_add_f32_e32 v3, v3, v4
.LBB301_7:                              ;   in Loop: Header=BB301_3 Depth=1
	v_cvt_f32_u32_sdwa v4, v5 dst_sel:DWORD dst_unused:UNUSED_PAD src0_sel:WORD_0
	v_mul_f32_e32 v21, 0x3fb8aa3b, v4
	v_cmp_gt_f32_e32 vcc, s40, v21
	v_cndmask_b32_e32 v21, 0, v14, vcc
	v_fmac_f32_e32 v21, 0x3fb8aa3b, v4
	v_exp_f32_e32 v21, v21
	v_cndmask_b32_e32 v22, 1.0, v15, vcc
	v_fma_f32 v21, v21, v22, 1.0
	v_cmp_gt_f32_e32 vcc, s41, v21
	v_cndmask_b32_e32 v22, 1.0, v16, vcc
	v_mul_f32_e32 v21, v21, v22
	v_log_f32_e32 v21, v21
	v_cndmask_b32_e32 v22, 0, v17, vcc
	v_cmp_lt_u16_e32 vcc, 20, v5
	v_sub_f32_e32 v21, v21, v22
	v_mul_f32_e32 v21, 0x3f317218, v21
	v_cndmask_b32_e32 v4, v21, v4, vcc
	v_mul_f32_e32 v21, 0x4f800000, v4
	v_cmp_gt_f32_e64 s[8:9], s42, v4
	v_cndmask_b32_e64 v4, v4, v21, s[8:9]
	v_sqrt_f32_e32 v21, v4
	s_and_b64 vcc, exec, s[2:3]
	v_add_u32_e32 v22, -1, v21
	v_add_u32_e32 v23, 1, v21
	v_fma_f32 v24, -v22, v21, v4
	v_fma_f32 v25, -v23, v21, v4
	v_cmp_ge_f32_e64 s[10:11], 0, v24
	v_cndmask_b32_e64 v21, v21, v22, s[10:11]
	v_cmp_lt_f32_e64 s[10:11], 0, v25
	v_cndmask_b32_e64 v21, v21, v23, s[10:11]
	v_mul_f32_e32 v22, 0x37800000, v21
	v_cndmask_b32_e64 v21, v21, v22, s[8:9]
	v_cmp_class_f32_e64 s[8:9], v4, v18
	v_cndmask_b32_e64 v4, v21, v4, s[8:9]
	s_cbranch_vccnz .LBB301_9
; %bb.8:                                ;   in Loop: Header=BB301_3 Depth=1
	v_mov_b32_e32 v21, s33
	v_add_co_u32_e32 v22, vcc, s31, v10
	v_addc_co_u32_e32 v23, vcc, v21, v11, vcc
	global_load_ushort v21, v[22:23], off
	s_waitcnt vmcnt(0)
	v_lshlrev_b32_e32 v21, 16, v21
	v_add_f32_e32 v4, v4, v21
.LBB301_9:                              ;   in Loop: Header=BB301_3 Depth=1
	v_cvt_f32_u32_sdwa v21, v5 dst_sel:DWORD dst_unused:UNUSED_PAD src0_sel:WORD_1
	v_mul_f32_e32 v22, 0x3fb8aa3b, v21
	v_cmp_gt_f32_e32 vcc, s40, v22
	v_cndmask_b32_e32 v22, 0, v14, vcc
	v_fmac_f32_e32 v22, 0x3fb8aa3b, v21
	v_exp_f32_e32 v22, v22
	v_cndmask_b32_e32 v23, 1.0, v15, vcc
	v_fma_f32 v22, v22, v23, 1.0
	v_cmp_gt_f32_e32 vcc, s41, v22
	v_cndmask_b32_e32 v23, 1.0, v16, vcc
	v_mul_f32_e32 v22, v22, v23
	v_log_f32_e32 v22, v22
	v_cndmask_b32_e32 v23, 0, v17, vcc
	v_cmp_gt_u16_sdwa vcc, v5, v19 src0_sel:WORD_1 src1_sel:DWORD
	v_sub_f32_e32 v22, v22, v23
	v_mul_f32_e32 v22, 0x3f317218, v22
	v_cndmask_b32_e32 v5, v22, v21, vcc
	v_mul_f32_e32 v21, 0x4f800000, v5
	v_cmp_gt_f32_e64 s[8:9], s42, v5
	v_cndmask_b32_e64 v5, v5, v21, s[8:9]
	v_sqrt_f32_e32 v21, v5
	s_and_b64 vcc, exec, s[2:3]
	v_add_u32_e32 v22, -1, v21
	v_add_u32_e32 v23, 1, v21
	v_fma_f32 v24, -v22, v21, v5
	v_fma_f32 v25, -v23, v21, v5
	v_cmp_ge_f32_e64 s[10:11], 0, v24
	v_cndmask_b32_e64 v21, v21, v22, s[10:11]
	v_cmp_lt_f32_e64 s[10:11], 0, v25
	v_cndmask_b32_e64 v21, v21, v23, s[10:11]
	v_mul_f32_e32 v22, 0x37800000, v21
	v_cndmask_b32_e64 v21, v21, v22, s[8:9]
	v_cmp_class_f32_e64 s[8:9], v5, v18
	v_cndmask_b32_e64 v5, v21, v5, s[8:9]
	s_cbranch_vccnz .LBB301_2
; %bb.10:                               ;   in Loop: Header=BB301_3 Depth=1
	v_mov_b32_e32 v21, s35
	v_add_co_u32_e32 v10, vcc, s34, v10
	v_addc_co_u32_e32 v11, vcc, v21, v11, vcc
	global_load_ushort v10, v[10:11], off
	s_waitcnt vmcnt(0)
	v_lshlrev_b32_e32 v10, 16, v10
	v_add_f32_e32 v5, v5, v10
	s_branch .LBB301_2
.LBB301_11:
	s_or_b64 exec, exec, s[24:25]
	v_lshl_add_u32 v2, s7, 2, v0
	v_cmp_gt_i32_e32 vcc, s20, v2
	s_and_saveexec_b64 s[10:11], vcc
	s_cbranch_execz .LBB301_16
; %bb.12:
	s_load_dword s8, s[4:5], 0x44
	s_lshl_b64 s[2:3], s[22:23], 1
	s_add_u32 s22, s12, s2
	s_addc_u32 s9, s13, s3
	s_cmp_lg_u64 s[14:15], 0
	s_cselect_b64 s[2:3], -1, 0
	s_waitcnt lgkmcnt(0)
	s_and_b32 s23, s8, 0xffff
	s_lshl_b32 s8, s7, 4
	s_add_i32 s8, s8, 0
	v_cndmask_b32_e64 v3, 0, 1, s[2:3]
	s_mov_b64 s[12:13], 0
	v_lshl_add_u32 v6, v0, 2, s8
	s_lshl_b32 s24, s23, 2
	v_mov_b32_e32 v7, s9
	s_mov_b32 s25, 0x41a00000
	s_mov_b32 s26, 0xc2fc0000
	v_mov_b32_e32 v8, 0x42800000
	v_mov_b32_e32 v9, 0x1f800000
	s_mov_b32 s27, 0x800000
	v_mov_b32_e32 v10, 0x4f800000
	v_mov_b32_e32 v11, 0x42000000
	s_mov_b32 s28, 0xf800000
	v_mov_b32_e32 v13, 0x260
	v_cmp_ne_u32_e64 s[2:3], 1, v3
	s_branch .LBB301_14
.LBB301_13:                             ;   in Loop: Header=BB301_14 Depth=1
	v_add_u32_e32 v2, s23, v2
	v_cmp_le_i32_e32 vcc, s20, v2
	s_or_b64 s[12:13], vcc, s[12:13]
	v_add_u32_e32 v6, s24, v6
	s_andn2_b64 exec, exec, s[12:13]
	s_cbranch_execz .LBB301_16
.LBB301_14:                             ; =>This Inner Loop Header: Depth=1
	v_ashrrev_i32_e32 v3, 31, v2
	v_lshlrev_b64 v[4:5], 1, v[2:3]
	v_add_co_u32_e32 v14, vcc, s22, v4
	v_addc_co_u32_e32 v15, vcc, v7, v5, vcc
	global_load_ushort v3, v[14:15], off
	s_waitcnt vmcnt(0)
	v_lshlrev_b32_e32 v3, 16, v3
	v_mul_f32_e32 v14, 0x3fb8aa3b, v3
	v_cmp_gt_f32_e32 vcc, s26, v14
	v_cndmask_b32_e32 v14, 0, v8, vcc
	v_fmac_f32_e32 v14, 0x3fb8aa3b, v3
	v_exp_f32_e32 v14, v14
	v_cndmask_b32_e32 v15, 1.0, v9, vcc
	v_fma_f32 v14, v14, v15, 1.0
	v_cmp_gt_f32_e32 vcc, s27, v14
	v_cndmask_b32_e32 v15, 1.0, v10, vcc
	v_mul_f32_e32 v14, v14, v15
	v_log_f32_e32 v14, v14
	v_cndmask_b32_e32 v15, 0, v11, vcc
	v_cmp_lt_f32_e32 vcc, s25, v3
	v_sub_f32_e32 v14, v14, v15
	v_mul_f32_e32 v14, 0x3f317218, v14
	v_cndmask_b32_e32 v3, v14, v3, vcc
	v_mul_f32_e32 v14, 0x4f800000, v3
	v_cmp_gt_f32_e32 vcc, s28, v3
	v_cndmask_b32_e32 v3, v3, v14, vcc
	v_sqrt_f32_e32 v14, v3
	v_add_u32_e32 v15, -1, v14
	v_add_u32_e32 v16, 1, v14
	v_fma_f32 v17, -v15, v14, v3
	v_fma_f32 v18, -v16, v14, v3
	v_cmp_ge_f32_e64 s[8:9], 0, v17
	v_cndmask_b32_e64 v14, v14, v15, s[8:9]
	v_cmp_lt_f32_e64 s[8:9], 0, v18
	v_cndmask_b32_e64 v14, v14, v16, s[8:9]
	v_mul_f32_e32 v15, 0x37800000, v14
	v_cndmask_b32_e32 v14, v14, v15, vcc
	v_cmp_class_f32_e32 vcc, v3, v13
	v_cndmask_b32_e32 v3, v14, v3, vcc
	s_and_b64 vcc, exec, s[2:3]
	ds_write_b32 v6, v3
	s_cbranch_vccnz .LBB301_13
; %bb.15:                               ;   in Loop: Header=BB301_14 Depth=1
	v_mov_b32_e32 v14, s15
	v_add_co_u32_e32 v4, vcc, s14, v4
	v_addc_co_u32_e32 v5, vcc, v14, v5, vcc
	global_load_ushort v4, v[4:5], off
	s_waitcnt vmcnt(0)
	v_lshlrev_b32_e32 v4, 16, v4
	v_add_f32_e32 v3, v3, v4
	ds_write_b32 v6, v3
	s_branch .LBB301_13
.LBB301_16:
	s_or_b64 exec, exec, s[10:11]
	s_cmp_lt_i32 s21, 1
	v_mov_b32_e32 v3, 0
	s_waitcnt lgkmcnt(0)
	s_barrier
	s_cbranch_scc1 .LBB301_25
; %bb.17:
	s_add_u32 s2, s4, 56
	s_addc_u32 s3, s5, 0
	v_mbcnt_lo_u32_b32 v2, -1, 0
	s_cmp_lg_u64 s[14:15], 0
	v_mbcnt_hi_u32_b32 v2, -1, v2
	v_bfrev_b32_e32 v4, 0.5
	s_cselect_b64 s[8:9], -1, 0
	s_mov_b32 s20, 0
	v_mov_b32_e32 v3, 0
	v_lshl_or_b32 v5, v2, 2, v4
	v_mov_b32_e32 v6, 0
	v_mov_b32_e32 v7, 0xff800000
	;; [unrolled: 1-line block ×4, first 2 shown]
	s_branch .LBB301_19
.LBB301_18:                             ;   in Loop: Header=BB301_19 Depth=1
	s_lshl_b32 s11, s10, 2
	s_add_i32 s11, s11, 0
	v_mov_b32_e32 v8, s11
	ds_write_b32 v8, v7
	v_mov_b32_e32 v8, s10
	v_cmp_eq_u32_e32 vcc, s20, v0
	s_add_i32 s20, s20, 1
	v_cndmask_b32_e32 v2, v2, v8, vcc
	v_cndmask_b32_e32 v3, v3, v10, vcc
	s_cmp_eq_u32 s20, s21
	v_add_f32_e32 v4, v4, v10
	s_cbranch_scc1 .LBB301_26
.LBB301_19:                             ; =>This Loop Header: Depth=1
                                        ;     Child Loop BB301_21 Depth 2
	v_mov_b32_e32 v8, s20
	v_mov_b32_e32 v9, 0xff800000
	s_and_saveexec_b64 s[10:11], s[0:1]
	s_cbranch_execz .LBB301_23
; %bb.20:                               ;   in Loop: Header=BB301_19 Depth=1
	s_load_dword s22, s[2:3], 0xc
	s_mov_b64 s[12:13], 0
	v_mov_b32_e32 v8, s20
	v_mov_b32_e32 v9, 0xff800000
	;; [unrolled: 1-line block ×3, first 2 shown]
	s_waitcnt lgkmcnt(0)
	s_and_b32 s22, s22, 0xffff
	s_lshl_b32 s23, s22, 2
	s_lshl_b32 s24, s22, 4
	v_mov_b32_e32 v11, v1
	v_mov_b32_e32 v13, v0
.LBB301_21:                             ;   Parent Loop BB301_19 Depth=1
                                        ; =>  This Inner Loop Header: Depth=2
	ds_read_b128 v[14:17], v10
	v_add_u32_e32 v13, s22, v13
	v_cmp_le_i32_e32 vcc, s7, v13
	s_or_b64 s[12:13], vcc, s[12:13]
	v_add_u32_e32 v18, 1, v11
	s_waitcnt lgkmcnt(0)
	v_cmp_gt_f32_e32 vcc, v14, v9
	v_cndmask_b32_e32 v9, v9, v14, vcc
	v_cndmask_b32_e32 v8, v8, v11, vcc
	v_cmp_gt_f32_e32 vcc, v15, v9
	v_cndmask_b32_e32 v9, v9, v15, vcc
	v_cndmask_b32_e32 v8, v8, v18, vcc
	v_cmp_gt_f32_e32 vcc, v16, v9
	v_add_u32_e32 v19, 2, v11
	v_cndmask_b32_e32 v9, v9, v16, vcc
	v_add_u32_e32 v20, 3, v11
	v_cndmask_b32_e32 v8, v8, v19, vcc
	v_cmp_gt_f32_e32 vcc, v17, v9
	v_add_u32_e32 v10, s24, v10
	v_add_u32_e32 v11, s23, v11
	v_cndmask_b32_e32 v9, v9, v17, vcc
	v_cndmask_b32_e32 v8, v8, v20, vcc
	s_andn2_b64 exec, exec, s[12:13]
	s_cbranch_execnz .LBB301_21
; %bb.22:                               ;   in Loop: Header=BB301_19 Depth=1
	s_or_b64 exec, exec, s[12:13]
.LBB301_23:                             ;   in Loop: Header=BB301_19 Depth=1
	s_or_b64 exec, exec, s[10:11]
	;;#ASMSTART
	v_max_f32 v10, v9, v9 quad_perm:[1,0,3,2] row_mask:0xf bank_mask:0xf bound_ctrl:1
	;;#ASMEND
	;;#ASMSTART
	v_max_f32 v11, v10, v10 quad_perm:[2,3,0,1] row_mask:0xf bank_mask:0xf bound_ctrl:1
	;;#ASMEND
	;;#ASMSTART
	v_max_f32 v10, v11, v11 row_half_mirror row_mask:0xf bank_mask:0xf bound_ctrl:1
	;;#ASMEND
	;;#ASMSTART
	v_max_f32 v11, v10, v10 row_mirror row_mask:0xf bank_mask:0xf bound_ctrl:1
	;;#ASMEND
	;;#ASMSTART
	v_max_f32 v10, v11, v11 row_ror:4 row_mask:0xf bank_mask:0xf bound_ctrl:1
	;;#ASMEND
	;;#ASMSTART
	v_max_f32 v11, v10, v10 row_ror:8 row_mask:0xf bank_mask:0xf bound_ctrl:1
	;;#ASMEND
	;;#ASMSTART
	v_max_f32 v10, v11, v11 row_bcast:15 row_mask:0xf bank_mask:0xf bound_ctrl:1
	;;#ASMEND
	;;#ASMSTART
	v_max_f32 v11, v10, v10 row_bcast:31 row_mask:0xf bank_mask:0xf bound_ctrl:1
	;;#ASMEND
	ds_bpermute_b32 v10, v5, v11
	s_waitcnt lgkmcnt(0)
	v_cmp_eq_f32_e32 vcc, v9, v10
	s_ff1_i32_b64 s10, vcc
	s_cmp_lg_u64 vcc, 0
	s_cselect_b32 s10, s10, 0
	s_and_b64 vcc, exec, s[8:9]
	v_readlane_b32 s10, v8, s10
	s_cbranch_vccz .LBB301_18
; %bb.24:                               ;   in Loop: Header=BB301_19 Depth=1
	s_ashr_i32 s11, s10, 31
	s_lshl_b64 s[12:13], s[10:11], 1
	s_add_u32 s12, s14, s12
	s_addc_u32 s13, s15, s13
	global_load_ushort v8, v6, s[12:13]
	s_waitcnt vmcnt(0)
	v_lshlrev_b32_e32 v8, 16, v8
	v_sub_f32_e32 v10, v10, v8
	s_branch .LBB301_18
.LBB301_25:
	v_mov_b32_e32 v2, 0
	v_mov_b32_e32 v4, 0
.LBB301_26:
	v_cmp_gt_i32_e32 vcc, s21, v0
	s_and_saveexec_b64 s[0:1], vcc
	s_cbranch_execz .LBB301_29
; %bb.27:
	s_load_dword s2, s[4:5], 0x34
	v_max_f32_e32 v1, v4, v4
	v_max_f32_e32 v1, 0x1e3ce508, v1
	s_load_dword s3, s[4:5], 0x44
	s_waitcnt lgkmcnt(0)
	v_div_scale_f32 v4, s[0:1], v1, v1, s2
	s_load_dwordx2 s[0:1], s[4:5], 0x20
	v_rcp_f32_e32 v5, v4
	v_div_scale_f32 v6, vcc, s2, v1, s2
	s_and_b32 s3, s3, 0xffff
	v_fma_f32 v7, -v4, v5, 1.0
	v_fmac_f32_e32 v5, v7, v5
	v_mul_f32_e32 v7, v6, v5
	v_fma_f32 v8, -v4, v7, v6
	v_fmac_f32_e32 v7, v8, v5
	v_fma_f32 v4, -v4, v7, v6
	v_div_fmas_f32 v4, v4, v5, v7
	v_div_fixup_f32 v1, v4, v1, s2
	s_ashr_i32 s2, s6, 31
	s_waitcnt lgkmcnt(0)
	s_mul_i32 s1, s6, s1
	s_mul_hi_u32 s4, s6, s0
	s_add_i32 s1, s4, s1
	s_mul_i32 s2, s2, s0
	s_add_i32 s4, s1, s2
	v_mul_f32_e32 v1, v3, v1
	s_mul_i32 s2, s6, s0
	s_mov_b64 s[0:1], 0
	v_mov_b32_e32 v3, s4
	v_mov_b32_e32 v4, s17
	;; [unrolled: 1-line block ×3, first 2 shown]
.LBB301_28:                             ; =>This Inner Loop Header: Depth=1
	v_ashrrev_i32_e32 v7, 31, v0
	v_add_co_u32_e32 v6, vcc, s2, v0
	v_addc_co_u32_e32 v7, vcc, v3, v7, vcc
	v_add_u32_e32 v0, s3, v0
	v_cmp_le_i32_e32 vcc, s21, v0
	v_lshlrev_b64 v[6:7], 2, v[6:7]
	s_or_b64 s[0:1], vcc, s[0:1]
	v_add_co_u32_e32 v8, vcc, s16, v6
	v_addc_co_u32_e32 v9, vcc, v4, v7, vcc
	v_add_co_u32_e32 v6, vcc, s18, v6
	v_addc_co_u32_e32 v7, vcc, v5, v7, vcc
	global_store_dword v[8:9], v1, off
	global_store_dword v[6:7], v2, off
	s_andn2_b64 exec, exec, s[0:1]
	s_cbranch_execnz .LBB301_28
.LBB301_29:
	s_endpgm
	.section	.rodata,"a",@progbits
	.p2align	6, 0x0
	.amdhsa_kernel _ZN5aiter20topk_softplus_kernelI12hip_bfloat16S1_Dv4_fLb1ELi0EEEvPKT_PKT0_PfPimiiif
		.amdhsa_group_segment_fixed_size 0
		.amdhsa_private_segment_fixed_size 0
		.amdhsa_kernarg_size 312
		.amdhsa_user_sgpr_count 6
		.amdhsa_user_sgpr_private_segment_buffer 1
		.amdhsa_user_sgpr_dispatch_ptr 0
		.amdhsa_user_sgpr_queue_ptr 0
		.amdhsa_user_sgpr_kernarg_segment_ptr 1
		.amdhsa_user_sgpr_dispatch_id 0
		.amdhsa_user_sgpr_flat_scratch_init 0
		.amdhsa_user_sgpr_kernarg_preload_length 0
		.amdhsa_user_sgpr_kernarg_preload_offset 0
		.amdhsa_user_sgpr_private_segment_size 0
		.amdhsa_uses_dynamic_stack 0
		.amdhsa_system_sgpr_private_segment_wavefront_offset 0
		.amdhsa_system_sgpr_workgroup_id_x 1
		.amdhsa_system_sgpr_workgroup_id_y 0
		.amdhsa_system_sgpr_workgroup_id_z 0
		.amdhsa_system_sgpr_workgroup_info 0
		.amdhsa_system_vgpr_workitem_id 0
		.amdhsa_next_free_vgpr 26
		.amdhsa_next_free_sgpr 43
		.amdhsa_accum_offset 28
		.amdhsa_reserve_vcc 1
		.amdhsa_reserve_flat_scratch 0
		.amdhsa_float_round_mode_32 0
		.amdhsa_float_round_mode_16_64 0
		.amdhsa_float_denorm_mode_32 3
		.amdhsa_float_denorm_mode_16_64 3
		.amdhsa_dx10_clamp 1
		.amdhsa_ieee_mode 1
		.amdhsa_fp16_overflow 0
		.amdhsa_tg_split 0
		.amdhsa_exception_fp_ieee_invalid_op 0
		.amdhsa_exception_fp_denorm_src 0
		.amdhsa_exception_fp_ieee_div_zero 0
		.amdhsa_exception_fp_ieee_overflow 0
		.amdhsa_exception_fp_ieee_underflow 0
		.amdhsa_exception_fp_ieee_inexact 0
		.amdhsa_exception_int_div_zero 0
	.end_amdhsa_kernel
	.section	.text._ZN5aiter20topk_softplus_kernelI12hip_bfloat16S1_Dv4_fLb1ELi0EEEvPKT_PKT0_PfPimiiif,"axG",@progbits,_ZN5aiter20topk_softplus_kernelI12hip_bfloat16S1_Dv4_fLb1ELi0EEEvPKT_PKT0_PfPimiiif,comdat
.Lfunc_end301:
	.size	_ZN5aiter20topk_softplus_kernelI12hip_bfloat16S1_Dv4_fLb1ELi0EEEvPKT_PKT0_PfPimiiif, .Lfunc_end301-_ZN5aiter20topk_softplus_kernelI12hip_bfloat16S1_Dv4_fLb1ELi0EEEvPKT_PKT0_PfPimiiif
                                        ; -- End function
	.section	.AMDGPU.csdata,"",@progbits
; Kernel info:
; codeLenInByte = 2568
; NumSgprs: 47
; NumVgprs: 26
; NumAgprs: 0
; TotalNumVgprs: 26
; ScratchSize: 0
; MemoryBound: 0
; FloatMode: 240
; IeeeMode: 1
; LDSByteSize: 0 bytes/workgroup (compile time only)
; SGPRBlocks: 5
; VGPRBlocks: 3
; NumSGPRsForWavesPerEU: 47
; NumVGPRsForWavesPerEU: 26
; AccumOffset: 28
; Occupancy: 8
; WaveLimiterHint : 0
; COMPUTE_PGM_RSRC2:SCRATCH_EN: 0
; COMPUTE_PGM_RSRC2:USER_SGPR: 6
; COMPUTE_PGM_RSRC2:TRAP_HANDLER: 0
; COMPUTE_PGM_RSRC2:TGID_X_EN: 1
; COMPUTE_PGM_RSRC2:TGID_Y_EN: 0
; COMPUTE_PGM_RSRC2:TGID_Z_EN: 0
; COMPUTE_PGM_RSRC2:TIDIG_COMP_CNT: 0
; COMPUTE_PGM_RSRC3_GFX90A:ACCUM_OFFSET: 6
; COMPUTE_PGM_RSRC3_GFX90A:TG_SPLIT: 0
	.section	.text._ZN5aiter20topk_softplus_kernelI12hip_bfloat16S1_Dv4_fLb0ELi0EEEvPKT_PKT0_PfPimiiif,"axG",@progbits,_ZN5aiter20topk_softplus_kernelI12hip_bfloat16S1_Dv4_fLb0ELi0EEEvPKT_PKT0_PfPimiiif,comdat
	.protected	_ZN5aiter20topk_softplus_kernelI12hip_bfloat16S1_Dv4_fLb0ELi0EEEvPKT_PKT0_PfPimiiif ; -- Begin function _ZN5aiter20topk_softplus_kernelI12hip_bfloat16S1_Dv4_fLb0ELi0EEEvPKT_PKT0_PfPimiiif
	.globl	_ZN5aiter20topk_softplus_kernelI12hip_bfloat16S1_Dv4_fLb0ELi0EEEvPKT_PKT0_PfPimiiif
	.p2align	8
	.type	_ZN5aiter20topk_softplus_kernelI12hip_bfloat16S1_Dv4_fLb0ELi0EEEvPKT_PKT0_PfPimiiif,@function
_ZN5aiter20topk_softplus_kernelI12hip_bfloat16S1_Dv4_fLb0ELi0EEEvPKT_PKT0_PfPimiiif: ; @_ZN5aiter20topk_softplus_kernelI12hip_bfloat16S1_Dv4_fLb0ELi0EEEvPKT_PKT0_PfPimiiif
; %bb.0:
	s_load_dwordx2 s[20:21], s[4:5], 0x28
	s_load_dwordx8 s[12:19], s[4:5], 0x0
	v_lshlrev_b32_e32 v1, 2, v0
	v_lshl_add_u32 v12, v0, 4, 0
	s_waitcnt lgkmcnt(0)
	s_ashr_i32 s0, s20, 31
	s_lshr_b32 s0, s0, 30
	s_add_i32 s0, s20, s0
	s_mul_i32 s22, s6, s20
	s_ashr_i32 s7, s0, 2
	s_ashr_i32 s23, s22, 31
	v_cmp_gt_i32_e64 s[0:1], s7, v0
	s_and_saveexec_b64 s[24:25], s[0:1]
	s_cbranch_execz .LBB302_11
; %bb.1:
	s_load_dword s8, s[4:5], 0x44
	s_cmp_lg_u64 s[14:15], 0
	s_cselect_b64 s[2:3], -1, 0
	v_lshlrev_b32_e32 v2, 3, v0
	s_mov_b64 s[26:27], 0
	s_waitcnt lgkmcnt(0)
	s_and_b32 s28, s8, 0xffff
	s_add_u32 s29, s14, 2
	s_addc_u32 s30, s15, 0
	s_add_u32 s31, s14, 4
	s_addc_u32 s33, s15, 0
	;; [unrolled: 2-line block ×3, first 2 shown]
	s_lshl_b64 s[8:9], s[22:23], 1
	s_add_u32 s8, s12, s8
	s_addc_u32 s9, s13, s9
	v_mov_b32_e32 v3, s9
	v_add_co_u32_e32 v6, vcc, s8, v2
	v_cndmask_b32_e64 v2, 0, 1, s[2:3]
	s_mov_b32 s36, 0
	v_addc_co_u32_e32 v7, vcc, 0, v3, vcc
	s_lshl_b32 s37, s28, 3
	v_lshlrev_b32_e32 v8, 2, v0
	s_lshl_b32 s38, s28, 2
	v_lshl_add_u32 v13, v0, 4, 0
	s_lshl_b32 s39, s28, 4
	v_mov_b32_e32 v9, 0
	s_mov_b32 s40, 0xc2fc0000
	v_mov_b32_e32 v14, 0x42800000
	v_mov_b32_e32 v15, 0x1f800000
	s_mov_b32 s41, 0x800000
	v_mov_b32_e32 v16, 0x4f800000
	;; [unrolled: 3-line block ×3, first 2 shown]
	v_cmp_ne_u32_e64 s[2:3], 1, v2
	v_mov_b32_e32 v19, 20
	v_mov_b32_e32 v20, v0
	s_branch .LBB302_3
.LBB302_2:                              ;   in Loop: Header=BB302_3 Depth=1
	ds_write_b128 v13, v[2:5]
	v_mov_b32_e32 v2, s36
	v_add_co_u32_e32 v6, vcc, s37, v6
	v_add_u32_e32 v20, s28, v20
	v_addc_co_u32_e32 v7, vcc, v7, v2, vcc
	v_cmp_le_i32_e32 vcc, s7, v20
	v_add_u32_e32 v8, s38, v8
	s_or_b64 s[26:27], vcc, s[26:27]
	v_add_u32_e32 v13, s39, v13
	s_andn2_b64 exec, exec, s[26:27]
	s_cbranch_execz .LBB302_11
.LBB302_3:                              ; =>This Inner Loop Header: Depth=1
	global_load_dwordx2 v[4:5], v[6:7], off
	s_waitcnt vmcnt(0)
	v_cvt_f32_u32_sdwa v2, v4 dst_sel:DWORD dst_unused:UNUSED_PAD src0_sel:WORD_0
	v_mul_f32_e32 v3, 0x3fb8aa3b, v2
	v_cmp_gt_f32_e32 vcc, s40, v3
	v_cndmask_b32_e32 v3, 0, v14, vcc
	v_fmac_f32_e32 v3, 0x3fb8aa3b, v2
	v_exp_f32_e32 v3, v3
	v_cndmask_b32_e32 v10, 1.0, v15, vcc
	v_fma_f32 v3, v3, v10, 1.0
	v_cmp_gt_f32_e32 vcc, s41, v3
	v_cndmask_b32_e32 v10, 1.0, v16, vcc
	v_mul_f32_e32 v3, v3, v10
	v_log_f32_e32 v3, v3
	v_cndmask_b32_e32 v10, 0, v17, vcc
	v_cmp_lt_u16_e32 vcc, 20, v4
	v_sub_f32_e32 v3, v3, v10
	v_mul_f32_e32 v3, 0x3f317218, v3
	v_cndmask_b32_e32 v2, v3, v2, vcc
	v_mul_f32_e32 v3, 0x4f800000, v2
	v_cmp_gt_f32_e64 s[8:9], s42, v2
	v_cndmask_b32_e64 v2, v2, v3, s[8:9]
	v_sqrt_f32_e32 v3, v2
	s_and_b64 vcc, exec, s[2:3]
	v_add_u32_e32 v10, -1, v3
	v_add_u32_e32 v11, 1, v3
	v_fma_f32 v21, -v10, v3, v2
	v_fma_f32 v22, -v11, v3, v2
	v_cmp_ge_f32_e64 s[10:11], 0, v21
	v_cndmask_b32_e64 v3, v3, v10, s[10:11]
	v_cmp_lt_f32_e64 s[10:11], 0, v22
	v_cndmask_b32_e64 v3, v3, v11, s[10:11]
	v_mul_f32_e32 v10, 0x37800000, v3
	v_cndmask_b32_e64 v3, v3, v10, s[8:9]
	v_cmp_class_f32_e64 s[8:9], v2, v18
	v_cndmask_b32_e64 v2, v3, v2, s[8:9]
	v_lshlrev_b64 v[10:11], 1, v[8:9]
	s_cbranch_vccnz .LBB302_5
; %bb.4:                                ;   in Loop: Header=BB302_3 Depth=1
	v_mov_b32_e32 v3, s15
	v_add_co_u32_e32 v22, vcc, s14, v10
	v_addc_co_u32_e32 v23, vcc, v3, v11, vcc
	global_load_ushort v3, v[22:23], off
	s_waitcnt vmcnt(0)
	v_lshlrev_b32_e32 v3, 16, v3
	v_add_f32_e32 v2, v2, v3
.LBB302_5:                              ;   in Loop: Header=BB302_3 Depth=1
	v_cvt_f32_u32_sdwa v3, v4 dst_sel:DWORD dst_unused:UNUSED_PAD src0_sel:WORD_1
	v_mul_f32_e32 v21, 0x3fb8aa3b, v3
	v_cmp_gt_f32_e32 vcc, s40, v21
	v_cndmask_b32_e32 v21, 0, v14, vcc
	v_fmac_f32_e32 v21, 0x3fb8aa3b, v3
	v_exp_f32_e32 v21, v21
	v_cndmask_b32_e32 v22, 1.0, v15, vcc
	v_fma_f32 v21, v21, v22, 1.0
	v_cmp_gt_f32_e32 vcc, s41, v21
	v_cndmask_b32_e32 v22, 1.0, v16, vcc
	v_mul_f32_e32 v21, v21, v22
	v_log_f32_e32 v21, v21
	v_cndmask_b32_e32 v22, 0, v17, vcc
	v_cmp_gt_u16_sdwa vcc, v4, v19 src0_sel:WORD_1 src1_sel:DWORD
	v_sub_f32_e32 v21, v21, v22
	v_mul_f32_e32 v21, 0x3f317218, v21
	v_cndmask_b32_e32 v3, v21, v3, vcc
	v_mul_f32_e32 v4, 0x4f800000, v3
	v_cmp_gt_f32_e64 s[8:9], s42, v3
	v_cndmask_b32_e64 v3, v3, v4, s[8:9]
	v_sqrt_f32_e32 v4, v3
	s_and_b64 vcc, exec, s[2:3]
	v_add_u32_e32 v21, -1, v4
	v_add_u32_e32 v22, 1, v4
	v_fma_f32 v23, -v21, v4, v3
	v_fma_f32 v24, -v22, v4, v3
	v_cmp_ge_f32_e64 s[10:11], 0, v23
	v_cndmask_b32_e64 v4, v4, v21, s[10:11]
	v_cmp_lt_f32_e64 s[10:11], 0, v24
	v_cndmask_b32_e64 v4, v4, v22, s[10:11]
	v_mul_f32_e32 v21, 0x37800000, v4
	v_cndmask_b32_e64 v4, v4, v21, s[8:9]
	v_cmp_class_f32_e64 s[8:9], v3, v18
	v_cndmask_b32_e64 v3, v4, v3, s[8:9]
	s_cbranch_vccnz .LBB302_7
; %bb.6:                                ;   in Loop: Header=BB302_3 Depth=1
	v_mov_b32_e32 v4, s30
	v_add_co_u32_e32 v22, vcc, s29, v10
	v_addc_co_u32_e32 v23, vcc, v4, v11, vcc
	global_load_ushort v4, v[22:23], off
	s_waitcnt vmcnt(0)
	v_lshlrev_b32_e32 v4, 16, v4
	v_add_f32_e32 v3, v3, v4
.LBB302_7:                              ;   in Loop: Header=BB302_3 Depth=1
	v_cvt_f32_u32_sdwa v4, v5 dst_sel:DWORD dst_unused:UNUSED_PAD src0_sel:WORD_0
	v_mul_f32_e32 v21, 0x3fb8aa3b, v4
	v_cmp_gt_f32_e32 vcc, s40, v21
	v_cndmask_b32_e32 v21, 0, v14, vcc
	v_fmac_f32_e32 v21, 0x3fb8aa3b, v4
	v_exp_f32_e32 v21, v21
	v_cndmask_b32_e32 v22, 1.0, v15, vcc
	v_fma_f32 v21, v21, v22, 1.0
	v_cmp_gt_f32_e32 vcc, s41, v21
	v_cndmask_b32_e32 v22, 1.0, v16, vcc
	v_mul_f32_e32 v21, v21, v22
	v_log_f32_e32 v21, v21
	v_cndmask_b32_e32 v22, 0, v17, vcc
	v_cmp_lt_u16_e32 vcc, 20, v5
	v_sub_f32_e32 v21, v21, v22
	v_mul_f32_e32 v21, 0x3f317218, v21
	v_cndmask_b32_e32 v4, v21, v4, vcc
	v_mul_f32_e32 v21, 0x4f800000, v4
	v_cmp_gt_f32_e64 s[8:9], s42, v4
	v_cndmask_b32_e64 v4, v4, v21, s[8:9]
	v_sqrt_f32_e32 v21, v4
	s_and_b64 vcc, exec, s[2:3]
	v_add_u32_e32 v22, -1, v21
	v_add_u32_e32 v23, 1, v21
	v_fma_f32 v24, -v22, v21, v4
	v_fma_f32 v25, -v23, v21, v4
	v_cmp_ge_f32_e64 s[10:11], 0, v24
	v_cndmask_b32_e64 v21, v21, v22, s[10:11]
	v_cmp_lt_f32_e64 s[10:11], 0, v25
	v_cndmask_b32_e64 v21, v21, v23, s[10:11]
	v_mul_f32_e32 v22, 0x37800000, v21
	v_cndmask_b32_e64 v21, v21, v22, s[8:9]
	v_cmp_class_f32_e64 s[8:9], v4, v18
	v_cndmask_b32_e64 v4, v21, v4, s[8:9]
	s_cbranch_vccnz .LBB302_9
; %bb.8:                                ;   in Loop: Header=BB302_3 Depth=1
	v_mov_b32_e32 v21, s33
	v_add_co_u32_e32 v22, vcc, s31, v10
	v_addc_co_u32_e32 v23, vcc, v21, v11, vcc
	global_load_ushort v21, v[22:23], off
	s_waitcnt vmcnt(0)
	v_lshlrev_b32_e32 v21, 16, v21
	v_add_f32_e32 v4, v4, v21
.LBB302_9:                              ;   in Loop: Header=BB302_3 Depth=1
	v_cvt_f32_u32_sdwa v21, v5 dst_sel:DWORD dst_unused:UNUSED_PAD src0_sel:WORD_1
	v_mul_f32_e32 v22, 0x3fb8aa3b, v21
	v_cmp_gt_f32_e32 vcc, s40, v22
	v_cndmask_b32_e32 v22, 0, v14, vcc
	v_fmac_f32_e32 v22, 0x3fb8aa3b, v21
	v_exp_f32_e32 v22, v22
	v_cndmask_b32_e32 v23, 1.0, v15, vcc
	v_fma_f32 v22, v22, v23, 1.0
	v_cmp_gt_f32_e32 vcc, s41, v22
	v_cndmask_b32_e32 v23, 1.0, v16, vcc
	v_mul_f32_e32 v22, v22, v23
	v_log_f32_e32 v22, v22
	v_cndmask_b32_e32 v23, 0, v17, vcc
	v_cmp_gt_u16_sdwa vcc, v5, v19 src0_sel:WORD_1 src1_sel:DWORD
	v_sub_f32_e32 v22, v22, v23
	v_mul_f32_e32 v22, 0x3f317218, v22
	v_cndmask_b32_e32 v5, v22, v21, vcc
	v_mul_f32_e32 v21, 0x4f800000, v5
	v_cmp_gt_f32_e64 s[8:9], s42, v5
	v_cndmask_b32_e64 v5, v5, v21, s[8:9]
	v_sqrt_f32_e32 v21, v5
	s_and_b64 vcc, exec, s[2:3]
	v_add_u32_e32 v22, -1, v21
	v_add_u32_e32 v23, 1, v21
	v_fma_f32 v24, -v22, v21, v5
	v_fma_f32 v25, -v23, v21, v5
	v_cmp_ge_f32_e64 s[10:11], 0, v24
	v_cndmask_b32_e64 v21, v21, v22, s[10:11]
	v_cmp_lt_f32_e64 s[10:11], 0, v25
	v_cndmask_b32_e64 v21, v21, v23, s[10:11]
	v_mul_f32_e32 v22, 0x37800000, v21
	v_cndmask_b32_e64 v21, v21, v22, s[8:9]
	v_cmp_class_f32_e64 s[8:9], v5, v18
	v_cndmask_b32_e64 v5, v21, v5, s[8:9]
	s_cbranch_vccnz .LBB302_2
; %bb.10:                               ;   in Loop: Header=BB302_3 Depth=1
	v_mov_b32_e32 v21, s35
	v_add_co_u32_e32 v10, vcc, s34, v10
	v_addc_co_u32_e32 v11, vcc, v21, v11, vcc
	global_load_ushort v10, v[10:11], off
	s_waitcnt vmcnt(0)
	v_lshlrev_b32_e32 v10, 16, v10
	v_add_f32_e32 v5, v5, v10
	s_branch .LBB302_2
.LBB302_11:
	s_or_b64 exec, exec, s[24:25]
	v_lshl_add_u32 v2, s7, 2, v0
	v_cmp_gt_i32_e32 vcc, s20, v2
	s_and_saveexec_b64 s[10:11], vcc
	s_cbranch_execz .LBB302_16
; %bb.12:
	s_load_dword s8, s[4:5], 0x44
	s_lshl_b64 s[2:3], s[22:23], 1
	s_add_u32 s22, s12, s2
	s_addc_u32 s9, s13, s3
	s_cmp_lg_u64 s[14:15], 0
	s_cselect_b64 s[2:3], -1, 0
	s_waitcnt lgkmcnt(0)
	s_and_b32 s23, s8, 0xffff
	s_lshl_b32 s8, s7, 4
	s_add_i32 s8, s8, 0
	v_cndmask_b32_e64 v3, 0, 1, s[2:3]
	s_mov_b64 s[12:13], 0
	v_lshl_add_u32 v6, v0, 2, s8
	s_lshl_b32 s24, s23, 2
	v_mov_b32_e32 v7, s9
	s_mov_b32 s25, 0x41a00000
	s_mov_b32 s26, 0xc2fc0000
	v_mov_b32_e32 v8, 0x42800000
	v_mov_b32_e32 v9, 0x1f800000
	s_mov_b32 s27, 0x800000
	v_mov_b32_e32 v10, 0x4f800000
	v_mov_b32_e32 v11, 0x42000000
	s_mov_b32 s28, 0xf800000
	v_mov_b32_e32 v13, 0x260
	v_cmp_ne_u32_e64 s[2:3], 1, v3
	s_branch .LBB302_14
.LBB302_13:                             ;   in Loop: Header=BB302_14 Depth=1
	v_add_u32_e32 v2, s23, v2
	v_cmp_le_i32_e32 vcc, s20, v2
	s_or_b64 s[12:13], vcc, s[12:13]
	v_add_u32_e32 v6, s24, v6
	s_andn2_b64 exec, exec, s[12:13]
	s_cbranch_execz .LBB302_16
.LBB302_14:                             ; =>This Inner Loop Header: Depth=1
	v_ashrrev_i32_e32 v3, 31, v2
	v_lshlrev_b64 v[4:5], 1, v[2:3]
	v_add_co_u32_e32 v14, vcc, s22, v4
	v_addc_co_u32_e32 v15, vcc, v7, v5, vcc
	global_load_ushort v3, v[14:15], off
	s_waitcnt vmcnt(0)
	v_lshlrev_b32_e32 v3, 16, v3
	v_mul_f32_e32 v14, 0x3fb8aa3b, v3
	v_cmp_gt_f32_e32 vcc, s26, v14
	v_cndmask_b32_e32 v14, 0, v8, vcc
	v_fmac_f32_e32 v14, 0x3fb8aa3b, v3
	v_exp_f32_e32 v14, v14
	v_cndmask_b32_e32 v15, 1.0, v9, vcc
	v_fma_f32 v14, v14, v15, 1.0
	v_cmp_gt_f32_e32 vcc, s27, v14
	v_cndmask_b32_e32 v15, 1.0, v10, vcc
	v_mul_f32_e32 v14, v14, v15
	v_log_f32_e32 v14, v14
	v_cndmask_b32_e32 v15, 0, v11, vcc
	v_cmp_lt_f32_e32 vcc, s25, v3
	v_sub_f32_e32 v14, v14, v15
	v_mul_f32_e32 v14, 0x3f317218, v14
	v_cndmask_b32_e32 v3, v14, v3, vcc
	v_mul_f32_e32 v14, 0x4f800000, v3
	v_cmp_gt_f32_e32 vcc, s28, v3
	v_cndmask_b32_e32 v3, v3, v14, vcc
	v_sqrt_f32_e32 v14, v3
	v_add_u32_e32 v15, -1, v14
	v_add_u32_e32 v16, 1, v14
	v_fma_f32 v17, -v15, v14, v3
	v_fma_f32 v18, -v16, v14, v3
	v_cmp_ge_f32_e64 s[8:9], 0, v17
	v_cndmask_b32_e64 v14, v14, v15, s[8:9]
	v_cmp_lt_f32_e64 s[8:9], 0, v18
	v_cndmask_b32_e64 v14, v14, v16, s[8:9]
	v_mul_f32_e32 v15, 0x37800000, v14
	v_cndmask_b32_e32 v14, v14, v15, vcc
	v_cmp_class_f32_e32 vcc, v3, v13
	v_cndmask_b32_e32 v3, v14, v3, vcc
	s_and_b64 vcc, exec, s[2:3]
	ds_write_b32 v6, v3
	s_cbranch_vccnz .LBB302_13
; %bb.15:                               ;   in Loop: Header=BB302_14 Depth=1
	v_mov_b32_e32 v14, s15
	v_add_co_u32_e32 v4, vcc, s14, v4
	v_addc_co_u32_e32 v5, vcc, v14, v5, vcc
	global_load_ushort v4, v[4:5], off
	s_waitcnt vmcnt(0)
	v_lshlrev_b32_e32 v4, 16, v4
	v_add_f32_e32 v3, v3, v4
	ds_write_b32 v6, v3
	s_branch .LBB302_13
.LBB302_16:
	s_or_b64 exec, exec, s[10:11]
	s_cmp_lt_i32 s21, 1
	s_waitcnt lgkmcnt(0)
	s_barrier
	s_cbranch_scc1 .LBB302_25
; %bb.17:
	s_add_u32 s2, s4, 56
	s_addc_u32 s3, s5, 0
	v_mbcnt_lo_u32_b32 v3, -1, 0
	s_cmp_lg_u64 s[14:15], 0
	v_mbcnt_hi_u32_b32 v3, -1, v3
	v_bfrev_b32_e32 v5, 0.5
	s_cselect_b64 s[8:9], -1, 0
	s_mov_b32 s20, 0
	v_mov_b32_e32 v2, 0
	v_mov_b32_e32 v4, 0
	v_lshl_or_b32 v5, v3, 2, v5
	v_mov_b32_e32 v6, 0xff800000
	v_mov_b32_e32 v3, 0
	s_branch .LBB302_19
.LBB302_18:                             ;   in Loop: Header=BB302_19 Depth=1
	s_lshl_b32 s11, s10, 2
	s_add_i32 s11, s11, 0
	v_mov_b32_e32 v7, s11
	ds_write_b32 v7, v6
	v_mov_b32_e32 v7, s10
	v_cmp_eq_u32_e32 vcc, s20, v0
	s_add_i32 s20, s20, 1
	v_cndmask_b32_e32 v2, v2, v7, vcc
	s_cmp_eq_u32 s20, s21
	v_cndmask_b32_e32 v3, v3, v9, vcc
	s_cbranch_scc1 .LBB302_26
.LBB302_19:                             ; =>This Loop Header: Depth=1
                                        ;     Child Loop BB302_21 Depth 2
	v_mov_b32_e32 v7, s20
	v_mov_b32_e32 v8, 0xff800000
	s_and_saveexec_b64 s[10:11], s[0:1]
	s_cbranch_execz .LBB302_23
; %bb.20:                               ;   in Loop: Header=BB302_19 Depth=1
	s_load_dword s22, s[2:3], 0xc
	s_mov_b64 s[12:13], 0
	v_mov_b32_e32 v7, s20
	v_mov_b32_e32 v8, 0xff800000
	;; [unrolled: 1-line block ×3, first 2 shown]
	s_waitcnt lgkmcnt(0)
	s_and_b32 s22, s22, 0xffff
	s_lshl_b32 s23, s22, 2
	s_lshl_b32 s24, s22, 4
	v_mov_b32_e32 v10, v1
	v_mov_b32_e32 v11, v0
.LBB302_21:                             ;   Parent Loop BB302_19 Depth=1
                                        ; =>  This Inner Loop Header: Depth=2
	ds_read_b128 v[14:17], v9
	v_add_u32_e32 v11, s22, v11
	v_cmp_le_i32_e32 vcc, s7, v11
	s_or_b64 s[12:13], vcc, s[12:13]
	v_add_u32_e32 v13, 1, v10
	s_waitcnt lgkmcnt(0)
	v_cmp_gt_f32_e32 vcc, v14, v8
	v_cndmask_b32_e32 v8, v8, v14, vcc
	v_cndmask_b32_e32 v7, v7, v10, vcc
	v_cmp_gt_f32_e32 vcc, v15, v8
	v_cndmask_b32_e32 v8, v8, v15, vcc
	v_cndmask_b32_e32 v7, v7, v13, vcc
	v_cmp_gt_f32_e32 vcc, v16, v8
	v_add_u32_e32 v18, 2, v10
	v_cndmask_b32_e32 v8, v8, v16, vcc
	v_add_u32_e32 v19, 3, v10
	v_cndmask_b32_e32 v7, v7, v18, vcc
	v_cmp_gt_f32_e32 vcc, v17, v8
	v_add_u32_e32 v9, s24, v9
	v_add_u32_e32 v10, s23, v10
	v_cndmask_b32_e32 v8, v8, v17, vcc
	v_cndmask_b32_e32 v7, v7, v19, vcc
	s_andn2_b64 exec, exec, s[12:13]
	s_cbranch_execnz .LBB302_21
; %bb.22:                               ;   in Loop: Header=BB302_19 Depth=1
	s_or_b64 exec, exec, s[12:13]
.LBB302_23:                             ;   in Loop: Header=BB302_19 Depth=1
	s_or_b64 exec, exec, s[10:11]
	;;#ASMSTART
	v_max_f32 v9, v8, v8 quad_perm:[1,0,3,2] row_mask:0xf bank_mask:0xf bound_ctrl:1
	;;#ASMEND
	;;#ASMSTART
	v_max_f32 v10, v9, v9 quad_perm:[2,3,0,1] row_mask:0xf bank_mask:0xf bound_ctrl:1
	;;#ASMEND
	;;#ASMSTART
	v_max_f32 v9, v10, v10 row_half_mirror row_mask:0xf bank_mask:0xf bound_ctrl:1
	;;#ASMEND
	;;#ASMSTART
	v_max_f32 v10, v9, v9 row_mirror row_mask:0xf bank_mask:0xf bound_ctrl:1
	;;#ASMEND
	;;#ASMSTART
	v_max_f32 v9, v10, v10 row_ror:4 row_mask:0xf bank_mask:0xf bound_ctrl:1
	;;#ASMEND
	;;#ASMSTART
	v_max_f32 v10, v9, v9 row_ror:8 row_mask:0xf bank_mask:0xf bound_ctrl:1
	;;#ASMEND
	;;#ASMSTART
	v_max_f32 v9, v10, v10 row_bcast:15 row_mask:0xf bank_mask:0xf bound_ctrl:1
	;;#ASMEND
	;;#ASMSTART
	v_max_f32 v10, v9, v9 row_bcast:31 row_mask:0xf bank_mask:0xf bound_ctrl:1
	;;#ASMEND
	ds_bpermute_b32 v9, v5, v10
	s_waitcnt lgkmcnt(0)
	v_cmp_eq_f32_e32 vcc, v8, v9
	s_ff1_i32_b64 s10, vcc
	s_cmp_lg_u64 vcc, 0
	s_cselect_b32 s10, s10, 0
	s_and_b64 vcc, exec, s[8:9]
	v_readlane_b32 s10, v7, s10
	s_cbranch_vccz .LBB302_18
; %bb.24:                               ;   in Loop: Header=BB302_19 Depth=1
	s_ashr_i32 s11, s10, 31
	s_lshl_b64 s[12:13], s[10:11], 1
	s_add_u32 s12, s14, s12
	s_addc_u32 s13, s15, s13
	global_load_ushort v7, v4, s[12:13]
	s_waitcnt vmcnt(0)
	v_lshlrev_b32_e32 v7, 16, v7
	v_sub_f32_e32 v9, v9, v7
	s_branch .LBB302_18
.LBB302_25:
	v_mov_b32_e32 v3, 0
	v_mov_b32_e32 v2, 0
.LBB302_26:
	v_cmp_gt_i32_e32 vcc, s21, v0
	s_and_saveexec_b64 s[0:1], vcc
	s_cbranch_execz .LBB302_29
; %bb.27:
	s_load_dword s2, s[4:5], 0x34
	s_load_dwordx2 s[0:1], s[4:5], 0x20
	s_ashr_i32 s3, s6, 31
	s_load_dword s4, s[4:5], 0x44
	v_mov_b32_e32 v4, s17
	s_waitcnt lgkmcnt(0)
	v_mul_f32_e32 v1, s2, v3
	s_mul_i32 s1, s6, s1
	s_mul_hi_u32 s2, s6, s0
	s_add_i32 s1, s2, s1
	s_mul_i32 s3, s3, s0
	s_add_i32 s5, s1, s3
	s_mul_i32 s2, s6, s0
	s_and_b32 s3, s4, 0xffff
	s_mov_b64 s[0:1], 0
	v_mov_b32_e32 v3, s5
	v_mov_b32_e32 v5, s19
.LBB302_28:                             ; =>This Inner Loop Header: Depth=1
	v_ashrrev_i32_e32 v7, 31, v0
	v_add_co_u32_e32 v6, vcc, s2, v0
	v_addc_co_u32_e32 v7, vcc, v3, v7, vcc
	v_add_u32_e32 v0, s3, v0
	v_cmp_le_i32_e32 vcc, s21, v0
	v_lshlrev_b64 v[6:7], 2, v[6:7]
	s_or_b64 s[0:1], vcc, s[0:1]
	v_add_co_u32_e32 v8, vcc, s16, v6
	v_addc_co_u32_e32 v9, vcc, v4, v7, vcc
	v_add_co_u32_e32 v6, vcc, s18, v6
	v_addc_co_u32_e32 v7, vcc, v5, v7, vcc
	global_store_dword v[8:9], v1, off
	global_store_dword v[6:7], v2, off
	s_andn2_b64 exec, exec, s[0:1]
	s_cbranch_execnz .LBB302_28
.LBB302_29:
	s_endpgm
	.section	.rodata,"a",@progbits
	.p2align	6, 0x0
	.amdhsa_kernel _ZN5aiter20topk_softplus_kernelI12hip_bfloat16S1_Dv4_fLb0ELi0EEEvPKT_PKT0_PfPimiiif
		.amdhsa_group_segment_fixed_size 0
		.amdhsa_private_segment_fixed_size 0
		.amdhsa_kernarg_size 312
		.amdhsa_user_sgpr_count 6
		.amdhsa_user_sgpr_private_segment_buffer 1
		.amdhsa_user_sgpr_dispatch_ptr 0
		.amdhsa_user_sgpr_queue_ptr 0
		.amdhsa_user_sgpr_kernarg_segment_ptr 1
		.amdhsa_user_sgpr_dispatch_id 0
		.amdhsa_user_sgpr_flat_scratch_init 0
		.amdhsa_user_sgpr_kernarg_preload_length 0
		.amdhsa_user_sgpr_kernarg_preload_offset 0
		.amdhsa_user_sgpr_private_segment_size 0
		.amdhsa_uses_dynamic_stack 0
		.amdhsa_system_sgpr_private_segment_wavefront_offset 0
		.amdhsa_system_sgpr_workgroup_id_x 1
		.amdhsa_system_sgpr_workgroup_id_y 0
		.amdhsa_system_sgpr_workgroup_id_z 0
		.amdhsa_system_sgpr_workgroup_info 0
		.amdhsa_system_vgpr_workitem_id 0
		.amdhsa_next_free_vgpr 26
		.amdhsa_next_free_sgpr 43
		.amdhsa_accum_offset 28
		.amdhsa_reserve_vcc 1
		.amdhsa_reserve_flat_scratch 0
		.amdhsa_float_round_mode_32 0
		.amdhsa_float_round_mode_16_64 0
		.amdhsa_float_denorm_mode_32 3
		.amdhsa_float_denorm_mode_16_64 3
		.amdhsa_dx10_clamp 1
		.amdhsa_ieee_mode 1
		.amdhsa_fp16_overflow 0
		.amdhsa_tg_split 0
		.amdhsa_exception_fp_ieee_invalid_op 0
		.amdhsa_exception_fp_denorm_src 0
		.amdhsa_exception_fp_ieee_div_zero 0
		.amdhsa_exception_fp_ieee_overflow 0
		.amdhsa_exception_fp_ieee_underflow 0
		.amdhsa_exception_fp_ieee_inexact 0
		.amdhsa_exception_int_div_zero 0
	.end_amdhsa_kernel
	.section	.text._ZN5aiter20topk_softplus_kernelI12hip_bfloat16S1_Dv4_fLb0ELi0EEEvPKT_PKT0_PfPimiiif,"axG",@progbits,_ZN5aiter20topk_softplus_kernelI12hip_bfloat16S1_Dv4_fLb0ELi0EEEvPKT_PKT0_PfPimiiif,comdat
.Lfunc_end302:
	.size	_ZN5aiter20topk_softplus_kernelI12hip_bfloat16S1_Dv4_fLb0ELi0EEEvPKT_PKT0_PfPimiiif, .Lfunc_end302-_ZN5aiter20topk_softplus_kernelI12hip_bfloat16S1_Dv4_fLb0ELi0EEEvPKT_PKT0_PfPimiiif
                                        ; -- End function
	.section	.AMDGPU.csdata,"",@progbits
; Kernel info:
; codeLenInByte = 2468
; NumSgprs: 47
; NumVgprs: 26
; NumAgprs: 0
; TotalNumVgprs: 26
; ScratchSize: 0
; MemoryBound: 0
; FloatMode: 240
; IeeeMode: 1
; LDSByteSize: 0 bytes/workgroup (compile time only)
; SGPRBlocks: 5
; VGPRBlocks: 3
; NumSGPRsForWavesPerEU: 47
; NumVGPRsForWavesPerEU: 26
; AccumOffset: 28
; Occupancy: 8
; WaveLimiterHint : 0
; COMPUTE_PGM_RSRC2:SCRATCH_EN: 0
; COMPUTE_PGM_RSRC2:USER_SGPR: 6
; COMPUTE_PGM_RSRC2:TRAP_HANDLER: 0
; COMPUTE_PGM_RSRC2:TGID_X_EN: 1
; COMPUTE_PGM_RSRC2:TGID_Y_EN: 0
; COMPUTE_PGM_RSRC2:TGID_Z_EN: 0
; COMPUTE_PGM_RSRC2:TIDIG_COMP_CNT: 0
; COMPUTE_PGM_RSRC3_GFX90A:ACCUM_OFFSET: 6
; COMPUTE_PGM_RSRC3_GFX90A:TG_SPLIT: 0
	.section	.text._ZN5aiter20topk_softplus_kernelI12hip_bfloat16S1_Dv2_fLb1ELi0EEEvPKT_PKT0_PfPimiiif,"axG",@progbits,_ZN5aiter20topk_softplus_kernelI12hip_bfloat16S1_Dv2_fLb1ELi0EEEvPKT_PKT0_PfPimiiif,comdat
	.protected	_ZN5aiter20topk_softplus_kernelI12hip_bfloat16S1_Dv2_fLb1ELi0EEEvPKT_PKT0_PfPimiiif ; -- Begin function _ZN5aiter20topk_softplus_kernelI12hip_bfloat16S1_Dv2_fLb1ELi0EEEvPKT_PKT0_PfPimiiif
	.globl	_ZN5aiter20topk_softplus_kernelI12hip_bfloat16S1_Dv2_fLb1ELi0EEEvPKT_PKT0_PfPimiiif
	.p2align	8
	.type	_ZN5aiter20topk_softplus_kernelI12hip_bfloat16S1_Dv2_fLb1ELi0EEEvPKT_PKT0_PfPimiiif,@function
_ZN5aiter20topk_softplus_kernelI12hip_bfloat16S1_Dv2_fLb1ELi0EEEvPKT_PKT0_PfPimiiif: ; @_ZN5aiter20topk_softplus_kernelI12hip_bfloat16S1_Dv2_fLb1ELi0EEEvPKT_PKT0_PfPimiiif
; %bb.0:
	s_load_dwordx2 s[20:21], s[4:5], 0x28
	s_load_dwordx8 s[12:19], s[4:5], 0x0
	v_lshl_add_u32 v6, v0, 3, 0
	s_waitcnt lgkmcnt(0)
	s_lshr_b32 s1, s20, 31
	s_mul_i32 s0, s6, s20
	s_add_i32 s1, s20, s1
	s_ashr_i32 s7, s1, 1
	s_ashr_i32 s1, s0, 31
	s_lshl_b64 s[0:1], s[0:1], 1
	s_add_u32 s24, s12, s0
	s_addc_u32 s25, s13, s1
	v_cmp_gt_i32_e64 s[0:1], s7, v0
	s_and_saveexec_b64 s[12:13], s[0:1]
	s_cbranch_execz .LBB303_7
; %bb.1:
	s_load_dword s8, s[4:5], 0x44
	s_cmp_lg_u64 s[14:15], 0
	s_cselect_b64 s[2:3], -1, 0
	v_cndmask_b32_e64 v4, 0, 1, s[2:3]
	s_mov_b64 s[22:23], 0
	s_waitcnt lgkmcnt(0)
	s_and_b32 s26, s8, 0xffff
	s_mov_b32 s8, 0
	v_lshlrev_b32_e32 v2, 2, v0
	v_mov_b32_e32 v1, 0
	s_lshl_b32 s27, s26, 2
	v_lshl_add_u32 v3, v0, 3, 0
	s_lshl_b32 s28, s26, 3
	v_mov_b32_e32 v7, s25
	s_mov_b32 s29, 0xc2fc0000
	v_mov_b32_e32 v8, 0x42800000
	v_mov_b32_e32 v9, 0x1f800000
	s_mov_b32 s30, 0x800000
	v_mov_b32_e32 v10, 0x4f800000
	;; [unrolled: 3-line block ×3, first 2 shown]
	v_cmp_ne_u32_e64 s[2:3], 1, v4
	v_mov_b32_e32 v13, s8
	v_mov_b32_e32 v14, 20
	;; [unrolled: 1-line block ×3, first 2 shown]
	s_branch .LBB303_3
.LBB303_2:                              ;   in Loop: Header=BB303_3 Depth=1
	v_add_co_u32_e32 v2, vcc, s27, v2
	v_add_u32_e32 v15, s26, v15
	v_addc_co_u32_e32 v1, vcc, v1, v13, vcc
	v_cmp_le_i32_e32 vcc, s7, v15
	ds_write_b64 v3, v[4:5]
	s_or_b64 s[22:23], vcc, s[22:23]
	v_add_u32_e32 v3, s28, v3
	s_andn2_b64 exec, exec, s[22:23]
	s_cbranch_execz .LBB303_7
.LBB303_3:                              ; =>This Inner Loop Header: Depth=1
	v_add_co_u32_e32 v4, vcc, s24, v2
	v_addc_co_u32_e32 v5, vcc, v7, v1, vcc
	global_load_dword v5, v[4:5], off
	s_waitcnt vmcnt(0)
	v_cvt_f32_u32_sdwa v4, v5 dst_sel:DWORD dst_unused:UNUSED_PAD src0_sel:WORD_0
	v_mul_f32_e32 v16, 0x3fb8aa3b, v4
	v_cmp_gt_f32_e32 vcc, s29, v16
	v_cndmask_b32_e32 v16, 0, v8, vcc
	v_fmac_f32_e32 v16, 0x3fb8aa3b, v4
	v_exp_f32_e32 v16, v16
	v_cndmask_b32_e32 v17, 1.0, v9, vcc
	v_fma_f32 v16, v16, v17, 1.0
	v_cmp_gt_f32_e32 vcc, s30, v16
	v_cndmask_b32_e32 v17, 1.0, v10, vcc
	v_mul_f32_e32 v16, v16, v17
	v_log_f32_e32 v16, v16
	v_cndmask_b32_e32 v17, 0, v11, vcc
	v_cmp_lt_u16_e32 vcc, 20, v5
	v_sub_f32_e32 v16, v16, v17
	v_mul_f32_e32 v16, 0x3f317218, v16
	v_cndmask_b32_e32 v4, v16, v4, vcc
	v_mul_f32_e32 v16, 0x4f800000, v4
	v_cmp_gt_f32_e64 s[8:9], s31, v4
	v_cndmask_b32_e64 v4, v4, v16, s[8:9]
	v_sqrt_f32_e32 v16, v4
	s_and_b64 vcc, exec, s[2:3]
	v_add_u32_e32 v17, -1, v16
	v_add_u32_e32 v18, 1, v16
	v_fma_f32 v19, -v17, v16, v4
	v_fma_f32 v20, -v18, v16, v4
	v_cmp_ge_f32_e64 s[10:11], 0, v19
	v_cndmask_b32_e64 v16, v16, v17, s[10:11]
	v_cmp_lt_f32_e64 s[10:11], 0, v20
	v_cndmask_b32_e64 v16, v16, v18, s[10:11]
	v_mul_f32_e32 v17, 0x37800000, v16
	v_cndmask_b32_e64 v16, v16, v17, s[8:9]
	v_cmp_class_f32_e64 s[8:9], v4, v12
	v_cndmask_b32_e64 v4, v16, v4, s[8:9]
	s_cbranch_vccnz .LBB303_5
; %bb.4:                                ;   in Loop: Header=BB303_3 Depth=1
	v_mov_b32_e32 v17, s15
	v_add_co_u32_e32 v16, vcc, s14, v2
	v_addc_co_u32_e32 v17, vcc, v17, v1, vcc
	global_load_ushort v16, v[16:17], off
	s_waitcnt vmcnt(0)
	v_lshlrev_b32_e32 v16, 16, v16
	v_add_f32_e32 v4, v4, v16
.LBB303_5:                              ;   in Loop: Header=BB303_3 Depth=1
	v_cvt_f32_u32_sdwa v16, v5 dst_sel:DWORD dst_unused:UNUSED_PAD src0_sel:WORD_1
	v_mul_f32_e32 v17, 0x3fb8aa3b, v16
	v_cmp_gt_f32_e32 vcc, s29, v17
	v_cndmask_b32_e32 v17, 0, v8, vcc
	v_fmac_f32_e32 v17, 0x3fb8aa3b, v16
	v_exp_f32_e32 v17, v17
	v_cndmask_b32_e32 v18, 1.0, v9, vcc
	v_fma_f32 v17, v17, v18, 1.0
	v_cmp_gt_f32_e32 vcc, s30, v17
	v_cndmask_b32_e32 v18, 1.0, v10, vcc
	v_mul_f32_e32 v17, v17, v18
	v_log_f32_e32 v17, v17
	v_cndmask_b32_e32 v18, 0, v11, vcc
	v_cmp_gt_u16_sdwa vcc, v5, v14 src0_sel:WORD_1 src1_sel:DWORD
	v_sub_f32_e32 v17, v17, v18
	v_mul_f32_e32 v17, 0x3f317218, v17
	v_cndmask_b32_e32 v5, v17, v16, vcc
	v_mul_f32_e32 v16, 0x4f800000, v5
	v_cmp_gt_f32_e64 s[8:9], s31, v5
	v_cndmask_b32_e64 v5, v5, v16, s[8:9]
	v_sqrt_f32_e32 v16, v5
	s_and_b64 vcc, exec, s[2:3]
	v_add_u32_e32 v17, -1, v16
	v_add_u32_e32 v18, 1, v16
	v_fma_f32 v19, -v17, v16, v5
	v_fma_f32 v20, -v18, v16, v5
	v_cmp_ge_f32_e64 s[10:11], 0, v19
	v_cndmask_b32_e64 v16, v16, v17, s[10:11]
	v_cmp_lt_f32_e64 s[10:11], 0, v20
	v_cndmask_b32_e64 v16, v16, v18, s[10:11]
	v_mul_f32_e32 v17, 0x37800000, v16
	v_cndmask_b32_e64 v16, v16, v17, s[8:9]
	v_cmp_class_f32_e64 s[8:9], v5, v12
	v_cndmask_b32_e64 v5, v16, v5, s[8:9]
	s_cbranch_vccnz .LBB303_2
; %bb.6:                                ;   in Loop: Header=BB303_3 Depth=1
	v_mov_b32_e32 v17, s15
	v_add_co_u32_e32 v16, vcc, s14, v2
	v_addc_co_u32_e32 v17, vcc, v17, v1, vcc
	global_load_ushort v16, v[16:17], off offset:2
	s_waitcnt vmcnt(0)
	v_lshlrev_b32_e32 v16, 16, v16
	v_add_f32_e32 v5, v5, v16
	s_branch .LBB303_2
.LBB303_7:
	s_or_b64 exec, exec, s[12:13]
	v_lshl_add_u32 v2, s7, 1, v0
	v_cmp_gt_i32_e32 vcc, s20, v2
	s_and_saveexec_b64 s[10:11], vcc
	s_cbranch_execz .LBB303_12
; %bb.8:
	s_load_dword s8, s[4:5], 0x44
	s_cmp_lg_u64 s[14:15], 0
	s_cselect_b64 s[2:3], -1, 0
	s_lshl_b32 s9, s7, 3
	v_cndmask_b32_e64 v3, 0, 1, s[2:3]
	s_waitcnt lgkmcnt(0)
	s_and_b32 s22, s8, 0xffff
	s_add_i32 s8, s9, 0
	s_mov_b64 s[12:13], 0
	v_lshl_add_u32 v1, v0, 2, s8
	s_lshl_b32 s23, s22, 2
	v_mov_b32_e32 v7, s25
	s_mov_b32 s25, 0x41a00000
	s_mov_b32 s26, 0xc2fc0000
	v_mov_b32_e32 v8, 0x42800000
	v_mov_b32_e32 v9, 0x1f800000
	s_mov_b32 s27, 0x800000
	v_mov_b32_e32 v10, 0x4f800000
	v_mov_b32_e32 v11, 0x42000000
	s_mov_b32 s28, 0xf800000
	v_mov_b32_e32 v12, 0x260
	v_cmp_ne_u32_e64 s[2:3], 1, v3
	s_branch .LBB303_10
.LBB303_9:                              ;   in Loop: Header=BB303_10 Depth=1
	v_add_u32_e32 v2, s22, v2
	v_cmp_le_i32_e32 vcc, s20, v2
	s_or_b64 s[12:13], vcc, s[12:13]
	v_add_u32_e32 v1, s23, v1
	s_andn2_b64 exec, exec, s[12:13]
	s_cbranch_execz .LBB303_12
.LBB303_10:                             ; =>This Inner Loop Header: Depth=1
	v_ashrrev_i32_e32 v3, 31, v2
	v_lshlrev_b64 v[4:5], 1, v[2:3]
	v_add_co_u32_e32 v14, vcc, s24, v4
	v_addc_co_u32_e32 v15, vcc, v7, v5, vcc
	global_load_ushort v3, v[14:15], off
	s_waitcnt vmcnt(0)
	v_lshlrev_b32_e32 v3, 16, v3
	v_mul_f32_e32 v13, 0x3fb8aa3b, v3
	v_cmp_gt_f32_e32 vcc, s26, v13
	v_cndmask_b32_e32 v13, 0, v8, vcc
	v_fmac_f32_e32 v13, 0x3fb8aa3b, v3
	v_exp_f32_e32 v13, v13
	v_cndmask_b32_e32 v14, 1.0, v9, vcc
	v_fma_f32 v13, v13, v14, 1.0
	v_cmp_gt_f32_e32 vcc, s27, v13
	v_cndmask_b32_e32 v14, 1.0, v10, vcc
	v_mul_f32_e32 v13, v13, v14
	v_log_f32_e32 v13, v13
	v_cndmask_b32_e32 v14, 0, v11, vcc
	v_cmp_lt_f32_e32 vcc, s25, v3
	v_sub_f32_e32 v13, v13, v14
	v_mul_f32_e32 v13, 0x3f317218, v13
	v_cndmask_b32_e32 v3, v13, v3, vcc
	v_mul_f32_e32 v13, 0x4f800000, v3
	v_cmp_gt_f32_e32 vcc, s28, v3
	v_cndmask_b32_e32 v3, v3, v13, vcc
	v_sqrt_f32_e32 v13, v3
	v_add_u32_e32 v14, -1, v13
	v_add_u32_e32 v15, 1, v13
	v_fma_f32 v16, -v14, v13, v3
	v_fma_f32 v17, -v15, v13, v3
	v_cmp_ge_f32_e64 s[8:9], 0, v16
	v_cndmask_b32_e64 v13, v13, v14, s[8:9]
	v_cmp_lt_f32_e64 s[8:9], 0, v17
	v_cndmask_b32_e64 v13, v13, v15, s[8:9]
	v_mul_f32_e32 v14, 0x37800000, v13
	v_cndmask_b32_e32 v13, v13, v14, vcc
	v_cmp_class_f32_e32 vcc, v3, v12
	v_cndmask_b32_e32 v3, v13, v3, vcc
	s_and_b64 vcc, exec, s[2:3]
	ds_write_b32 v1, v3
	s_cbranch_vccnz .LBB303_9
; %bb.11:                               ;   in Loop: Header=BB303_10 Depth=1
	v_mov_b32_e32 v13, s15
	v_add_co_u32_e32 v4, vcc, s14, v4
	v_addc_co_u32_e32 v5, vcc, v13, v5, vcc
	global_load_ushort v4, v[4:5], off
	s_waitcnt vmcnt(0)
	v_lshlrev_b32_e32 v4, 16, v4
	v_add_f32_e32 v3, v3, v4
	ds_write_b32 v1, v3
	s_branch .LBB303_9
.LBB303_12:
	s_or_b64 exec, exec, s[10:11]
	s_cmp_lt_i32 s21, 1
	v_mov_b32_e32 v2, 0
	s_waitcnt lgkmcnt(0)
	s_barrier
	s_cbranch_scc1 .LBB303_21
; %bb.13:
	s_add_u32 s2, s4, 56
	s_addc_u32 s3, s5, 0
	v_mbcnt_lo_u32_b32 v1, -1, 0
	s_cmp_lg_u64 s[14:15], 0
	v_mbcnt_hi_u32_b32 v1, -1, v1
	v_bfrev_b32_e32 v3, 0.5
	s_cselect_b64 s[8:9], -1, 0
	v_lshlrev_b32_e32 v4, 1, v0
	s_mov_b32 s20, 0
	v_mov_b32_e32 v2, 0
	v_lshl_or_b32 v5, v1, 2, v3
	v_mov_b32_e32 v7, 0
	v_mov_b32_e32 v8, 0xff800000
	;; [unrolled: 1-line block ×4, first 2 shown]
	s_branch .LBB303_15
.LBB303_14:                             ;   in Loop: Header=BB303_15 Depth=1
	s_lshl_b32 s11, s10, 2
	s_add_i32 s11, s11, 0
	v_mov_b32_e32 v9, s11
	ds_write_b32 v9, v8
	v_mov_b32_e32 v9, s10
	v_cmp_eq_u32_e32 vcc, s20, v0
	s_add_i32 s20, s20, 1
	v_cndmask_b32_e32 v1, v1, v9, vcc
	v_cndmask_b32_e32 v2, v2, v11, vcc
	s_cmp_eq_u32 s20, s21
	v_add_f32_e32 v3, v3, v11
	s_cbranch_scc1 .LBB303_22
.LBB303_15:                             ; =>This Loop Header: Depth=1
                                        ;     Child Loop BB303_17 Depth 2
	v_mov_b32_e32 v9, s20
	v_mov_b32_e32 v10, 0xff800000
	s_and_saveexec_b64 s[10:11], s[0:1]
	s_cbranch_execz .LBB303_19
; %bb.16:                               ;   in Loop: Header=BB303_15 Depth=1
	s_load_dword s22, s[2:3], 0xc
	s_mov_b64 s[12:13], 0
	v_mov_b32_e32 v9, s20
	v_mov_b32_e32 v10, 0xff800000
	;; [unrolled: 1-line block ×3, first 2 shown]
	s_waitcnt lgkmcnt(0)
	s_and_b32 s22, s22, 0xffff
	s_lshl_b32 s23, s22, 1
	s_lshl_b32 s24, s22, 3
	v_mov_b32_e32 v12, v4
	v_mov_b32_e32 v13, v0
.LBB303_17:                             ;   Parent Loop BB303_15 Depth=1
                                        ; =>  This Inner Loop Header: Depth=2
	ds_read_b64 v[14:15], v11
	v_add_u32_e32 v13, s22, v13
	v_cmp_le_i32_e32 vcc, s7, v13
	s_or_b64 s[12:13], vcc, s[12:13]
	v_add_u32_e32 v16, 1, v12
	s_waitcnt lgkmcnt(0)
	v_cmp_gt_f32_e32 vcc, v14, v10
	v_cndmask_b32_e32 v10, v10, v14, vcc
	v_cndmask_b32_e32 v9, v9, v12, vcc
	v_cmp_gt_f32_e32 vcc, v15, v10
	v_add_u32_e32 v11, s24, v11
	v_cndmask_b32_e32 v10, v10, v15, vcc
	v_add_u32_e32 v12, s23, v12
	v_cndmask_b32_e32 v9, v9, v16, vcc
	s_andn2_b64 exec, exec, s[12:13]
	s_cbranch_execnz .LBB303_17
; %bb.18:                               ;   in Loop: Header=BB303_15 Depth=1
	s_or_b64 exec, exec, s[12:13]
.LBB303_19:                             ;   in Loop: Header=BB303_15 Depth=1
	s_or_b64 exec, exec, s[10:11]
	;;#ASMSTART
	v_max_f32 v11, v10, v10 quad_perm:[1,0,3,2] row_mask:0xf bank_mask:0xf bound_ctrl:1
	;;#ASMEND
	;;#ASMSTART
	v_max_f32 v12, v11, v11 quad_perm:[2,3,0,1] row_mask:0xf bank_mask:0xf bound_ctrl:1
	;;#ASMEND
	;;#ASMSTART
	v_max_f32 v11, v12, v12 row_half_mirror row_mask:0xf bank_mask:0xf bound_ctrl:1
	;;#ASMEND
	;;#ASMSTART
	v_max_f32 v12, v11, v11 row_mirror row_mask:0xf bank_mask:0xf bound_ctrl:1
	;;#ASMEND
	;;#ASMSTART
	v_max_f32 v11, v12, v12 row_ror:4 row_mask:0xf bank_mask:0xf bound_ctrl:1
	;;#ASMEND
	;;#ASMSTART
	v_max_f32 v12, v11, v11 row_ror:8 row_mask:0xf bank_mask:0xf bound_ctrl:1
	;;#ASMEND
	;;#ASMSTART
	v_max_f32 v11, v12, v12 row_bcast:15 row_mask:0xf bank_mask:0xf bound_ctrl:1
	;;#ASMEND
	;;#ASMSTART
	v_max_f32 v12, v11, v11 row_bcast:31 row_mask:0xf bank_mask:0xf bound_ctrl:1
	;;#ASMEND
	ds_bpermute_b32 v11, v5, v12
	s_waitcnt lgkmcnt(0)
	v_cmp_eq_f32_e32 vcc, v10, v11
	s_ff1_i32_b64 s10, vcc
	s_cmp_lg_u64 vcc, 0
	s_cselect_b32 s10, s10, 0
	s_and_b64 vcc, exec, s[8:9]
	v_readlane_b32 s10, v9, s10
	s_cbranch_vccz .LBB303_14
; %bb.20:                               ;   in Loop: Header=BB303_15 Depth=1
	s_ashr_i32 s11, s10, 31
	s_lshl_b64 s[12:13], s[10:11], 1
	s_add_u32 s12, s14, s12
	s_addc_u32 s13, s15, s13
	global_load_ushort v9, v7, s[12:13]
	s_waitcnt vmcnt(0)
	v_lshlrev_b32_e32 v9, 16, v9
	v_sub_f32_e32 v11, v11, v9
	s_branch .LBB303_14
.LBB303_21:
	v_mov_b32_e32 v1, 0
	v_mov_b32_e32 v3, 0
.LBB303_22:
	v_cmp_gt_i32_e32 vcc, s21, v0
	s_and_saveexec_b64 s[0:1], vcc
	s_cbranch_execz .LBB303_25
; %bb.23:
	s_load_dword s2, s[4:5], 0x34
	v_max_f32_e32 v3, v3, v3
	v_max_f32_e32 v3, 0x1e3ce508, v3
	s_load_dword s3, s[4:5], 0x44
	s_waitcnt lgkmcnt(0)
	v_div_scale_f32 v4, s[0:1], v3, v3, s2
	s_load_dwordx2 s[0:1], s[4:5], 0x20
	v_rcp_f32_e32 v5, v4
	v_div_scale_f32 v6, vcc, s2, v3, s2
	s_and_b32 s3, s3, 0xffff
	v_fma_f32 v7, -v4, v5, 1.0
	v_fmac_f32_e32 v5, v7, v5
	v_mul_f32_e32 v7, v6, v5
	v_fma_f32 v8, -v4, v7, v6
	v_fmac_f32_e32 v7, v8, v5
	v_fma_f32 v4, -v4, v7, v6
	v_div_fmas_f32 v4, v4, v5, v7
	v_div_fixup_f32 v3, v4, v3, s2
	s_ashr_i32 s2, s6, 31
	s_waitcnt lgkmcnt(0)
	s_mul_i32 s1, s6, s1
	s_mul_hi_u32 s4, s6, s0
	s_add_i32 s1, s4, s1
	s_mul_i32 s2, s2, s0
	s_add_i32 s4, s1, s2
	v_mul_f32_e32 v2, v2, v3
	s_mul_i32 s2, s6, s0
	s_mov_b64 s[0:1], 0
	v_mov_b32_e32 v3, s4
	v_mov_b32_e32 v4, s17
	;; [unrolled: 1-line block ×3, first 2 shown]
.LBB303_24:                             ; =>This Inner Loop Header: Depth=1
	v_ashrrev_i32_e32 v7, 31, v0
	v_add_co_u32_e32 v6, vcc, s2, v0
	v_addc_co_u32_e32 v7, vcc, v3, v7, vcc
	v_add_u32_e32 v0, s3, v0
	v_cmp_le_i32_e32 vcc, s21, v0
	v_lshlrev_b64 v[6:7], 2, v[6:7]
	s_or_b64 s[0:1], vcc, s[0:1]
	v_add_co_u32_e32 v8, vcc, s16, v6
	v_addc_co_u32_e32 v9, vcc, v4, v7, vcc
	v_add_co_u32_e32 v6, vcc, s18, v6
	v_addc_co_u32_e32 v7, vcc, v5, v7, vcc
	global_store_dword v[8:9], v2, off
	global_store_dword v[6:7], v1, off
	s_andn2_b64 exec, exec, s[0:1]
	s_cbranch_execnz .LBB303_24
.LBB303_25:
	s_endpgm
	.section	.rodata,"a",@progbits
	.p2align	6, 0x0
	.amdhsa_kernel _ZN5aiter20topk_softplus_kernelI12hip_bfloat16S1_Dv2_fLb1ELi0EEEvPKT_PKT0_PfPimiiif
		.amdhsa_group_segment_fixed_size 0
		.amdhsa_private_segment_fixed_size 0
		.amdhsa_kernarg_size 312
		.amdhsa_user_sgpr_count 6
		.amdhsa_user_sgpr_private_segment_buffer 1
		.amdhsa_user_sgpr_dispatch_ptr 0
		.amdhsa_user_sgpr_queue_ptr 0
		.amdhsa_user_sgpr_kernarg_segment_ptr 1
		.amdhsa_user_sgpr_dispatch_id 0
		.amdhsa_user_sgpr_flat_scratch_init 0
		.amdhsa_user_sgpr_kernarg_preload_length 0
		.amdhsa_user_sgpr_kernarg_preload_offset 0
		.amdhsa_user_sgpr_private_segment_size 0
		.amdhsa_uses_dynamic_stack 0
		.amdhsa_system_sgpr_private_segment_wavefront_offset 0
		.amdhsa_system_sgpr_workgroup_id_x 1
		.amdhsa_system_sgpr_workgroup_id_y 0
		.amdhsa_system_sgpr_workgroup_id_z 0
		.amdhsa_system_sgpr_workgroup_info 0
		.amdhsa_system_vgpr_workitem_id 0
		.amdhsa_next_free_vgpr 21
		.amdhsa_next_free_sgpr 32
		.amdhsa_accum_offset 24
		.amdhsa_reserve_vcc 1
		.amdhsa_reserve_flat_scratch 0
		.amdhsa_float_round_mode_32 0
		.amdhsa_float_round_mode_16_64 0
		.amdhsa_float_denorm_mode_32 3
		.amdhsa_float_denorm_mode_16_64 3
		.amdhsa_dx10_clamp 1
		.amdhsa_ieee_mode 1
		.amdhsa_fp16_overflow 0
		.amdhsa_tg_split 0
		.amdhsa_exception_fp_ieee_invalid_op 0
		.amdhsa_exception_fp_denorm_src 0
		.amdhsa_exception_fp_ieee_div_zero 0
		.amdhsa_exception_fp_ieee_overflow 0
		.amdhsa_exception_fp_ieee_underflow 0
		.amdhsa_exception_fp_ieee_inexact 0
		.amdhsa_exception_int_div_zero 0
	.end_amdhsa_kernel
	.section	.text._ZN5aiter20topk_softplus_kernelI12hip_bfloat16S1_Dv2_fLb1ELi0EEEvPKT_PKT0_PfPimiiif,"axG",@progbits,_ZN5aiter20topk_softplus_kernelI12hip_bfloat16S1_Dv2_fLb1ELi0EEEvPKT_PKT0_PfPimiiif,comdat
.Lfunc_end303:
	.size	_ZN5aiter20topk_softplus_kernelI12hip_bfloat16S1_Dv2_fLb1ELi0EEEvPKT_PKT0_PfPimiiif, .Lfunc_end303-_ZN5aiter20topk_softplus_kernelI12hip_bfloat16S1_Dv2_fLb1ELi0EEEvPKT_PKT0_PfPimiiif
                                        ; -- End function
	.section	.AMDGPU.csdata,"",@progbits
; Kernel info:
; codeLenInByte = 1984
; NumSgprs: 36
; NumVgprs: 21
; NumAgprs: 0
; TotalNumVgprs: 21
; ScratchSize: 0
; MemoryBound: 0
; FloatMode: 240
; IeeeMode: 1
; LDSByteSize: 0 bytes/workgroup (compile time only)
; SGPRBlocks: 4
; VGPRBlocks: 2
; NumSGPRsForWavesPerEU: 36
; NumVGPRsForWavesPerEU: 21
; AccumOffset: 24
; Occupancy: 8
; WaveLimiterHint : 0
; COMPUTE_PGM_RSRC2:SCRATCH_EN: 0
; COMPUTE_PGM_RSRC2:USER_SGPR: 6
; COMPUTE_PGM_RSRC2:TRAP_HANDLER: 0
; COMPUTE_PGM_RSRC2:TGID_X_EN: 1
; COMPUTE_PGM_RSRC2:TGID_Y_EN: 0
; COMPUTE_PGM_RSRC2:TGID_Z_EN: 0
; COMPUTE_PGM_RSRC2:TIDIG_COMP_CNT: 0
; COMPUTE_PGM_RSRC3_GFX90A:ACCUM_OFFSET: 5
; COMPUTE_PGM_RSRC3_GFX90A:TG_SPLIT: 0
	.section	.text._ZN5aiter20topk_softplus_kernelI12hip_bfloat16S1_Dv2_fLb0ELi0EEEvPKT_PKT0_PfPimiiif,"axG",@progbits,_ZN5aiter20topk_softplus_kernelI12hip_bfloat16S1_Dv2_fLb0ELi0EEEvPKT_PKT0_PfPimiiif,comdat
	.protected	_ZN5aiter20topk_softplus_kernelI12hip_bfloat16S1_Dv2_fLb0ELi0EEEvPKT_PKT0_PfPimiiif ; -- Begin function _ZN5aiter20topk_softplus_kernelI12hip_bfloat16S1_Dv2_fLb0ELi0EEEvPKT_PKT0_PfPimiiif
	.globl	_ZN5aiter20topk_softplus_kernelI12hip_bfloat16S1_Dv2_fLb0ELi0EEEvPKT_PKT0_PfPimiiif
	.p2align	8
	.type	_ZN5aiter20topk_softplus_kernelI12hip_bfloat16S1_Dv2_fLb0ELi0EEEvPKT_PKT0_PfPimiiif,@function
_ZN5aiter20topk_softplus_kernelI12hip_bfloat16S1_Dv2_fLb0ELi0EEEvPKT_PKT0_PfPimiiif: ; @_ZN5aiter20topk_softplus_kernelI12hip_bfloat16S1_Dv2_fLb0ELi0EEEvPKT_PKT0_PfPimiiif
; %bb.0:
	s_load_dwordx2 s[20:21], s[4:5], 0x28
	s_load_dwordx8 s[12:19], s[4:5], 0x0
	v_lshl_add_u32 v6, v0, 3, 0
	s_waitcnt lgkmcnt(0)
	s_lshr_b32 s1, s20, 31
	s_mul_i32 s0, s6, s20
	s_add_i32 s1, s20, s1
	s_ashr_i32 s7, s1, 1
	s_ashr_i32 s1, s0, 31
	s_lshl_b64 s[0:1], s[0:1], 1
	s_add_u32 s24, s12, s0
	s_addc_u32 s25, s13, s1
	v_cmp_gt_i32_e64 s[0:1], s7, v0
	s_and_saveexec_b64 s[12:13], s[0:1]
	s_cbranch_execz .LBB304_7
; %bb.1:
	s_load_dword s8, s[4:5], 0x44
	s_cmp_lg_u64 s[14:15], 0
	s_cselect_b64 s[2:3], -1, 0
	v_cndmask_b32_e64 v4, 0, 1, s[2:3]
	s_mov_b64 s[22:23], 0
	s_waitcnt lgkmcnt(0)
	s_and_b32 s26, s8, 0xffff
	s_mov_b32 s8, 0
	v_lshlrev_b32_e32 v2, 2, v0
	v_mov_b32_e32 v1, 0
	s_lshl_b32 s27, s26, 2
	v_lshl_add_u32 v3, v0, 3, 0
	s_lshl_b32 s28, s26, 3
	v_mov_b32_e32 v7, s25
	s_mov_b32 s29, 0xc2fc0000
	v_mov_b32_e32 v8, 0x42800000
	v_mov_b32_e32 v9, 0x1f800000
	s_mov_b32 s30, 0x800000
	v_mov_b32_e32 v10, 0x4f800000
	;; [unrolled: 3-line block ×3, first 2 shown]
	v_cmp_ne_u32_e64 s[2:3], 1, v4
	v_mov_b32_e32 v13, s8
	v_mov_b32_e32 v14, 20
	;; [unrolled: 1-line block ×3, first 2 shown]
	s_branch .LBB304_3
.LBB304_2:                              ;   in Loop: Header=BB304_3 Depth=1
	v_add_co_u32_e32 v2, vcc, s27, v2
	v_add_u32_e32 v15, s26, v15
	v_addc_co_u32_e32 v1, vcc, v1, v13, vcc
	v_cmp_le_i32_e32 vcc, s7, v15
	ds_write_b64 v3, v[4:5]
	s_or_b64 s[22:23], vcc, s[22:23]
	v_add_u32_e32 v3, s28, v3
	s_andn2_b64 exec, exec, s[22:23]
	s_cbranch_execz .LBB304_7
.LBB304_3:                              ; =>This Inner Loop Header: Depth=1
	v_add_co_u32_e32 v4, vcc, s24, v2
	v_addc_co_u32_e32 v5, vcc, v7, v1, vcc
	global_load_dword v5, v[4:5], off
	s_waitcnt vmcnt(0)
	v_cvt_f32_u32_sdwa v4, v5 dst_sel:DWORD dst_unused:UNUSED_PAD src0_sel:WORD_0
	v_mul_f32_e32 v16, 0x3fb8aa3b, v4
	v_cmp_gt_f32_e32 vcc, s29, v16
	v_cndmask_b32_e32 v16, 0, v8, vcc
	v_fmac_f32_e32 v16, 0x3fb8aa3b, v4
	v_exp_f32_e32 v16, v16
	v_cndmask_b32_e32 v17, 1.0, v9, vcc
	v_fma_f32 v16, v16, v17, 1.0
	v_cmp_gt_f32_e32 vcc, s30, v16
	v_cndmask_b32_e32 v17, 1.0, v10, vcc
	v_mul_f32_e32 v16, v16, v17
	v_log_f32_e32 v16, v16
	v_cndmask_b32_e32 v17, 0, v11, vcc
	v_cmp_lt_u16_e32 vcc, 20, v5
	v_sub_f32_e32 v16, v16, v17
	v_mul_f32_e32 v16, 0x3f317218, v16
	v_cndmask_b32_e32 v4, v16, v4, vcc
	v_mul_f32_e32 v16, 0x4f800000, v4
	v_cmp_gt_f32_e64 s[8:9], s31, v4
	v_cndmask_b32_e64 v4, v4, v16, s[8:9]
	v_sqrt_f32_e32 v16, v4
	s_and_b64 vcc, exec, s[2:3]
	v_add_u32_e32 v17, -1, v16
	v_add_u32_e32 v18, 1, v16
	v_fma_f32 v19, -v17, v16, v4
	v_fma_f32 v20, -v18, v16, v4
	v_cmp_ge_f32_e64 s[10:11], 0, v19
	v_cndmask_b32_e64 v16, v16, v17, s[10:11]
	v_cmp_lt_f32_e64 s[10:11], 0, v20
	v_cndmask_b32_e64 v16, v16, v18, s[10:11]
	v_mul_f32_e32 v17, 0x37800000, v16
	v_cndmask_b32_e64 v16, v16, v17, s[8:9]
	v_cmp_class_f32_e64 s[8:9], v4, v12
	v_cndmask_b32_e64 v4, v16, v4, s[8:9]
	s_cbranch_vccnz .LBB304_5
; %bb.4:                                ;   in Loop: Header=BB304_3 Depth=1
	v_mov_b32_e32 v17, s15
	v_add_co_u32_e32 v16, vcc, s14, v2
	v_addc_co_u32_e32 v17, vcc, v17, v1, vcc
	global_load_ushort v16, v[16:17], off
	s_waitcnt vmcnt(0)
	v_lshlrev_b32_e32 v16, 16, v16
	v_add_f32_e32 v4, v4, v16
.LBB304_5:                              ;   in Loop: Header=BB304_3 Depth=1
	v_cvt_f32_u32_sdwa v16, v5 dst_sel:DWORD dst_unused:UNUSED_PAD src0_sel:WORD_1
	v_mul_f32_e32 v17, 0x3fb8aa3b, v16
	v_cmp_gt_f32_e32 vcc, s29, v17
	v_cndmask_b32_e32 v17, 0, v8, vcc
	v_fmac_f32_e32 v17, 0x3fb8aa3b, v16
	v_exp_f32_e32 v17, v17
	v_cndmask_b32_e32 v18, 1.0, v9, vcc
	v_fma_f32 v17, v17, v18, 1.0
	v_cmp_gt_f32_e32 vcc, s30, v17
	v_cndmask_b32_e32 v18, 1.0, v10, vcc
	v_mul_f32_e32 v17, v17, v18
	v_log_f32_e32 v17, v17
	v_cndmask_b32_e32 v18, 0, v11, vcc
	v_cmp_gt_u16_sdwa vcc, v5, v14 src0_sel:WORD_1 src1_sel:DWORD
	v_sub_f32_e32 v17, v17, v18
	v_mul_f32_e32 v17, 0x3f317218, v17
	v_cndmask_b32_e32 v5, v17, v16, vcc
	v_mul_f32_e32 v16, 0x4f800000, v5
	v_cmp_gt_f32_e64 s[8:9], s31, v5
	v_cndmask_b32_e64 v5, v5, v16, s[8:9]
	v_sqrt_f32_e32 v16, v5
	s_and_b64 vcc, exec, s[2:3]
	v_add_u32_e32 v17, -1, v16
	v_add_u32_e32 v18, 1, v16
	v_fma_f32 v19, -v17, v16, v5
	v_fma_f32 v20, -v18, v16, v5
	v_cmp_ge_f32_e64 s[10:11], 0, v19
	v_cndmask_b32_e64 v16, v16, v17, s[10:11]
	v_cmp_lt_f32_e64 s[10:11], 0, v20
	v_cndmask_b32_e64 v16, v16, v18, s[10:11]
	v_mul_f32_e32 v17, 0x37800000, v16
	v_cndmask_b32_e64 v16, v16, v17, s[8:9]
	v_cmp_class_f32_e64 s[8:9], v5, v12
	v_cndmask_b32_e64 v5, v16, v5, s[8:9]
	s_cbranch_vccnz .LBB304_2
; %bb.6:                                ;   in Loop: Header=BB304_3 Depth=1
	v_mov_b32_e32 v17, s15
	v_add_co_u32_e32 v16, vcc, s14, v2
	v_addc_co_u32_e32 v17, vcc, v17, v1, vcc
	global_load_ushort v16, v[16:17], off offset:2
	s_waitcnt vmcnt(0)
	v_lshlrev_b32_e32 v16, 16, v16
	v_add_f32_e32 v5, v5, v16
	s_branch .LBB304_2
.LBB304_7:
	s_or_b64 exec, exec, s[12:13]
	v_lshl_add_u32 v2, s7, 1, v0
	v_cmp_gt_i32_e32 vcc, s20, v2
	s_and_saveexec_b64 s[10:11], vcc
	s_cbranch_execz .LBB304_12
; %bb.8:
	s_load_dword s8, s[4:5], 0x44
	s_cmp_lg_u64 s[14:15], 0
	s_cselect_b64 s[2:3], -1, 0
	s_lshl_b32 s9, s7, 3
	v_cndmask_b32_e64 v3, 0, 1, s[2:3]
	s_waitcnt lgkmcnt(0)
	s_and_b32 s22, s8, 0xffff
	s_add_i32 s8, s9, 0
	s_mov_b64 s[12:13], 0
	v_lshl_add_u32 v1, v0, 2, s8
	s_lshl_b32 s23, s22, 2
	v_mov_b32_e32 v7, s25
	s_mov_b32 s25, 0x41a00000
	s_mov_b32 s26, 0xc2fc0000
	v_mov_b32_e32 v8, 0x42800000
	v_mov_b32_e32 v9, 0x1f800000
	s_mov_b32 s27, 0x800000
	v_mov_b32_e32 v10, 0x4f800000
	v_mov_b32_e32 v11, 0x42000000
	s_mov_b32 s28, 0xf800000
	v_mov_b32_e32 v12, 0x260
	v_cmp_ne_u32_e64 s[2:3], 1, v3
	s_branch .LBB304_10
.LBB304_9:                              ;   in Loop: Header=BB304_10 Depth=1
	v_add_u32_e32 v2, s22, v2
	v_cmp_le_i32_e32 vcc, s20, v2
	s_or_b64 s[12:13], vcc, s[12:13]
	v_add_u32_e32 v1, s23, v1
	s_andn2_b64 exec, exec, s[12:13]
	s_cbranch_execz .LBB304_12
.LBB304_10:                             ; =>This Inner Loop Header: Depth=1
	v_ashrrev_i32_e32 v3, 31, v2
	v_lshlrev_b64 v[4:5], 1, v[2:3]
	v_add_co_u32_e32 v14, vcc, s24, v4
	v_addc_co_u32_e32 v15, vcc, v7, v5, vcc
	global_load_ushort v3, v[14:15], off
	s_waitcnt vmcnt(0)
	v_lshlrev_b32_e32 v3, 16, v3
	v_mul_f32_e32 v13, 0x3fb8aa3b, v3
	v_cmp_gt_f32_e32 vcc, s26, v13
	v_cndmask_b32_e32 v13, 0, v8, vcc
	v_fmac_f32_e32 v13, 0x3fb8aa3b, v3
	v_exp_f32_e32 v13, v13
	v_cndmask_b32_e32 v14, 1.0, v9, vcc
	v_fma_f32 v13, v13, v14, 1.0
	v_cmp_gt_f32_e32 vcc, s27, v13
	v_cndmask_b32_e32 v14, 1.0, v10, vcc
	v_mul_f32_e32 v13, v13, v14
	v_log_f32_e32 v13, v13
	v_cndmask_b32_e32 v14, 0, v11, vcc
	v_cmp_lt_f32_e32 vcc, s25, v3
	v_sub_f32_e32 v13, v13, v14
	v_mul_f32_e32 v13, 0x3f317218, v13
	v_cndmask_b32_e32 v3, v13, v3, vcc
	v_mul_f32_e32 v13, 0x4f800000, v3
	v_cmp_gt_f32_e32 vcc, s28, v3
	v_cndmask_b32_e32 v3, v3, v13, vcc
	v_sqrt_f32_e32 v13, v3
	v_add_u32_e32 v14, -1, v13
	v_add_u32_e32 v15, 1, v13
	v_fma_f32 v16, -v14, v13, v3
	v_fma_f32 v17, -v15, v13, v3
	v_cmp_ge_f32_e64 s[8:9], 0, v16
	v_cndmask_b32_e64 v13, v13, v14, s[8:9]
	v_cmp_lt_f32_e64 s[8:9], 0, v17
	v_cndmask_b32_e64 v13, v13, v15, s[8:9]
	v_mul_f32_e32 v14, 0x37800000, v13
	v_cndmask_b32_e32 v13, v13, v14, vcc
	v_cmp_class_f32_e32 vcc, v3, v12
	v_cndmask_b32_e32 v3, v13, v3, vcc
	s_and_b64 vcc, exec, s[2:3]
	ds_write_b32 v1, v3
	s_cbranch_vccnz .LBB304_9
; %bb.11:                               ;   in Loop: Header=BB304_10 Depth=1
	v_mov_b32_e32 v13, s15
	v_add_co_u32_e32 v4, vcc, s14, v4
	v_addc_co_u32_e32 v5, vcc, v13, v5, vcc
	global_load_ushort v4, v[4:5], off
	s_waitcnt vmcnt(0)
	v_lshlrev_b32_e32 v4, 16, v4
	v_add_f32_e32 v3, v3, v4
	ds_write_b32 v1, v3
	s_branch .LBB304_9
.LBB304_12:
	s_or_b64 exec, exec, s[10:11]
	s_cmp_lt_i32 s21, 1
	s_waitcnt lgkmcnt(0)
	s_barrier
	s_cbranch_scc1 .LBB304_21
; %bb.13:
	s_add_u32 s2, s4, 56
	s_addc_u32 s3, s5, 0
	v_mbcnt_lo_u32_b32 v2, -1, 0
	s_cmp_lg_u64 s[14:15], 0
	v_mbcnt_hi_u32_b32 v2, -1, v2
	v_bfrev_b32_e32 v5, 0.5
	s_cselect_b64 s[8:9], -1, 0
	v_lshlrev_b32_e32 v3, 1, v0
	s_mov_b32 s20, 0
	v_mov_b32_e32 v1, 0
	v_mov_b32_e32 v4, 0
	v_lshl_or_b32 v5, v2, 2, v5
	v_mov_b32_e32 v7, 0xff800000
	v_mov_b32_e32 v2, 0
	s_branch .LBB304_15
.LBB304_14:                             ;   in Loop: Header=BB304_15 Depth=1
	s_lshl_b32 s11, s10, 2
	s_add_i32 s11, s11, 0
	v_mov_b32_e32 v8, s11
	ds_write_b32 v8, v7
	v_mov_b32_e32 v8, s10
	v_cmp_eq_u32_e32 vcc, s20, v0
	s_add_i32 s20, s20, 1
	v_cndmask_b32_e32 v1, v1, v8, vcc
	s_cmp_eq_u32 s20, s21
	v_cndmask_b32_e32 v2, v2, v10, vcc
	s_cbranch_scc1 .LBB304_22
.LBB304_15:                             ; =>This Loop Header: Depth=1
                                        ;     Child Loop BB304_17 Depth 2
	v_mov_b32_e32 v8, s20
	v_mov_b32_e32 v9, 0xff800000
	s_and_saveexec_b64 s[10:11], s[0:1]
	s_cbranch_execz .LBB304_19
; %bb.16:                               ;   in Loop: Header=BB304_15 Depth=1
	s_load_dword s22, s[2:3], 0xc
	s_mov_b64 s[12:13], 0
	v_mov_b32_e32 v8, s20
	v_mov_b32_e32 v9, 0xff800000
	;; [unrolled: 1-line block ×3, first 2 shown]
	s_waitcnt lgkmcnt(0)
	s_and_b32 s22, s22, 0xffff
	s_lshl_b32 s23, s22, 1
	s_lshl_b32 s24, s22, 3
	v_mov_b32_e32 v11, v3
	v_mov_b32_e32 v12, v0
.LBB304_17:                             ;   Parent Loop BB304_15 Depth=1
                                        ; =>  This Inner Loop Header: Depth=2
	ds_read_b64 v[14:15], v10
	v_add_u32_e32 v12, s22, v12
	v_cmp_le_i32_e32 vcc, s7, v12
	s_or_b64 s[12:13], vcc, s[12:13]
	v_add_u32_e32 v13, 1, v11
	s_waitcnt lgkmcnt(0)
	v_cmp_gt_f32_e32 vcc, v14, v9
	v_cndmask_b32_e32 v9, v9, v14, vcc
	v_cndmask_b32_e32 v8, v8, v11, vcc
	v_cmp_gt_f32_e32 vcc, v15, v9
	v_add_u32_e32 v10, s24, v10
	v_cndmask_b32_e32 v9, v9, v15, vcc
	v_add_u32_e32 v11, s23, v11
	v_cndmask_b32_e32 v8, v8, v13, vcc
	s_andn2_b64 exec, exec, s[12:13]
	s_cbranch_execnz .LBB304_17
; %bb.18:                               ;   in Loop: Header=BB304_15 Depth=1
	s_or_b64 exec, exec, s[12:13]
.LBB304_19:                             ;   in Loop: Header=BB304_15 Depth=1
	s_or_b64 exec, exec, s[10:11]
	;;#ASMSTART
	v_max_f32 v10, v9, v9 quad_perm:[1,0,3,2] row_mask:0xf bank_mask:0xf bound_ctrl:1
	;;#ASMEND
	;;#ASMSTART
	v_max_f32 v11, v10, v10 quad_perm:[2,3,0,1] row_mask:0xf bank_mask:0xf bound_ctrl:1
	;;#ASMEND
	;;#ASMSTART
	v_max_f32 v10, v11, v11 row_half_mirror row_mask:0xf bank_mask:0xf bound_ctrl:1
	;;#ASMEND
	;;#ASMSTART
	v_max_f32 v11, v10, v10 row_mirror row_mask:0xf bank_mask:0xf bound_ctrl:1
	;;#ASMEND
	;;#ASMSTART
	v_max_f32 v10, v11, v11 row_ror:4 row_mask:0xf bank_mask:0xf bound_ctrl:1
	;;#ASMEND
	;;#ASMSTART
	v_max_f32 v11, v10, v10 row_ror:8 row_mask:0xf bank_mask:0xf bound_ctrl:1
	;;#ASMEND
	;;#ASMSTART
	v_max_f32 v10, v11, v11 row_bcast:15 row_mask:0xf bank_mask:0xf bound_ctrl:1
	;;#ASMEND
	;;#ASMSTART
	v_max_f32 v11, v10, v10 row_bcast:31 row_mask:0xf bank_mask:0xf bound_ctrl:1
	;;#ASMEND
	ds_bpermute_b32 v10, v5, v11
	s_waitcnt lgkmcnt(0)
	v_cmp_eq_f32_e32 vcc, v9, v10
	s_ff1_i32_b64 s10, vcc
	s_cmp_lg_u64 vcc, 0
	s_cselect_b32 s10, s10, 0
	s_and_b64 vcc, exec, s[8:9]
	v_readlane_b32 s10, v8, s10
	s_cbranch_vccz .LBB304_14
; %bb.20:                               ;   in Loop: Header=BB304_15 Depth=1
	s_ashr_i32 s11, s10, 31
	s_lshl_b64 s[12:13], s[10:11], 1
	s_add_u32 s12, s14, s12
	s_addc_u32 s13, s15, s13
	global_load_ushort v8, v4, s[12:13]
	s_waitcnt vmcnt(0)
	v_lshlrev_b32_e32 v8, 16, v8
	v_sub_f32_e32 v10, v10, v8
	s_branch .LBB304_14
.LBB304_21:
	v_mov_b32_e32 v2, 0
	v_mov_b32_e32 v1, 0
.LBB304_22:
	v_cmp_gt_i32_e32 vcc, s21, v0
	s_and_saveexec_b64 s[0:1], vcc
	s_cbranch_execz .LBB304_25
; %bb.23:
	s_load_dword s2, s[4:5], 0x34
	s_load_dwordx2 s[0:1], s[4:5], 0x20
	s_ashr_i32 s3, s6, 31
	s_load_dword s4, s[4:5], 0x44
	v_mov_b32_e32 v4, s17
	s_waitcnt lgkmcnt(0)
	v_mul_f32_e32 v2, s2, v2
	s_mul_i32 s1, s6, s1
	s_mul_hi_u32 s2, s6, s0
	s_add_i32 s1, s2, s1
	s_mul_i32 s3, s3, s0
	s_add_i32 s5, s1, s3
	s_mul_i32 s2, s6, s0
	s_and_b32 s3, s4, 0xffff
	s_mov_b64 s[0:1], 0
	v_mov_b32_e32 v3, s5
	v_mov_b32_e32 v5, s19
.LBB304_24:                             ; =>This Inner Loop Header: Depth=1
	v_ashrrev_i32_e32 v7, 31, v0
	v_add_co_u32_e32 v6, vcc, s2, v0
	v_addc_co_u32_e32 v7, vcc, v3, v7, vcc
	v_add_u32_e32 v0, s3, v0
	v_cmp_le_i32_e32 vcc, s21, v0
	v_lshlrev_b64 v[6:7], 2, v[6:7]
	s_or_b64 s[0:1], vcc, s[0:1]
	v_add_co_u32_e32 v8, vcc, s16, v6
	v_addc_co_u32_e32 v9, vcc, v4, v7, vcc
	v_add_co_u32_e32 v6, vcc, s18, v6
	v_addc_co_u32_e32 v7, vcc, v5, v7, vcc
	global_store_dword v[8:9], v2, off
	global_store_dword v[6:7], v1, off
	s_andn2_b64 exec, exec, s[0:1]
	s_cbranch_execnz .LBB304_24
.LBB304_25:
	s_endpgm
	.section	.rodata,"a",@progbits
	.p2align	6, 0x0
	.amdhsa_kernel _ZN5aiter20topk_softplus_kernelI12hip_bfloat16S1_Dv2_fLb0ELi0EEEvPKT_PKT0_PfPimiiif
		.amdhsa_group_segment_fixed_size 0
		.amdhsa_private_segment_fixed_size 0
		.amdhsa_kernarg_size 312
		.amdhsa_user_sgpr_count 6
		.amdhsa_user_sgpr_private_segment_buffer 1
		.amdhsa_user_sgpr_dispatch_ptr 0
		.amdhsa_user_sgpr_queue_ptr 0
		.amdhsa_user_sgpr_kernarg_segment_ptr 1
		.amdhsa_user_sgpr_dispatch_id 0
		.amdhsa_user_sgpr_flat_scratch_init 0
		.amdhsa_user_sgpr_kernarg_preload_length 0
		.amdhsa_user_sgpr_kernarg_preload_offset 0
		.amdhsa_user_sgpr_private_segment_size 0
		.amdhsa_uses_dynamic_stack 0
		.amdhsa_system_sgpr_private_segment_wavefront_offset 0
		.amdhsa_system_sgpr_workgroup_id_x 1
		.amdhsa_system_sgpr_workgroup_id_y 0
		.amdhsa_system_sgpr_workgroup_id_z 0
		.amdhsa_system_sgpr_workgroup_info 0
		.amdhsa_system_vgpr_workitem_id 0
		.amdhsa_next_free_vgpr 21
		.amdhsa_next_free_sgpr 32
		.amdhsa_accum_offset 24
		.amdhsa_reserve_vcc 1
		.amdhsa_reserve_flat_scratch 0
		.amdhsa_float_round_mode_32 0
		.amdhsa_float_round_mode_16_64 0
		.amdhsa_float_denorm_mode_32 3
		.amdhsa_float_denorm_mode_16_64 3
		.amdhsa_dx10_clamp 1
		.amdhsa_ieee_mode 1
		.amdhsa_fp16_overflow 0
		.amdhsa_tg_split 0
		.amdhsa_exception_fp_ieee_invalid_op 0
		.amdhsa_exception_fp_denorm_src 0
		.amdhsa_exception_fp_ieee_div_zero 0
		.amdhsa_exception_fp_ieee_overflow 0
		.amdhsa_exception_fp_ieee_underflow 0
		.amdhsa_exception_fp_ieee_inexact 0
		.amdhsa_exception_int_div_zero 0
	.end_amdhsa_kernel
	.section	.text._ZN5aiter20topk_softplus_kernelI12hip_bfloat16S1_Dv2_fLb0ELi0EEEvPKT_PKT0_PfPimiiif,"axG",@progbits,_ZN5aiter20topk_softplus_kernelI12hip_bfloat16S1_Dv2_fLb0ELi0EEEvPKT_PKT0_PfPimiiif,comdat
.Lfunc_end304:
	.size	_ZN5aiter20topk_softplus_kernelI12hip_bfloat16S1_Dv2_fLb0ELi0EEEvPKT_PKT0_PfPimiiif, .Lfunc_end304-_ZN5aiter20topk_softplus_kernelI12hip_bfloat16S1_Dv2_fLb0ELi0EEEvPKT_PKT0_PfPimiiif
                                        ; -- End function
	.section	.AMDGPU.csdata,"",@progbits
; Kernel info:
; codeLenInByte = 1884
; NumSgprs: 36
; NumVgprs: 21
; NumAgprs: 0
; TotalNumVgprs: 21
; ScratchSize: 0
; MemoryBound: 0
; FloatMode: 240
; IeeeMode: 1
; LDSByteSize: 0 bytes/workgroup (compile time only)
; SGPRBlocks: 4
; VGPRBlocks: 2
; NumSGPRsForWavesPerEU: 36
; NumVGPRsForWavesPerEU: 21
; AccumOffset: 24
; Occupancy: 8
; WaveLimiterHint : 0
; COMPUTE_PGM_RSRC2:SCRATCH_EN: 0
; COMPUTE_PGM_RSRC2:USER_SGPR: 6
; COMPUTE_PGM_RSRC2:TRAP_HANDLER: 0
; COMPUTE_PGM_RSRC2:TGID_X_EN: 1
; COMPUTE_PGM_RSRC2:TGID_Y_EN: 0
; COMPUTE_PGM_RSRC2:TGID_Z_EN: 0
; COMPUTE_PGM_RSRC2:TIDIG_COMP_CNT: 0
; COMPUTE_PGM_RSRC3_GFX90A:ACCUM_OFFSET: 5
; COMPUTE_PGM_RSRC3_GFX90A:TG_SPLIT: 0
	.section	.text._ZN5aiter20topk_softplus_kernelI12hip_bfloat16S1_Dv1_fLb1ELi0EEEvPKT_PKT0_PfPimiiif,"axG",@progbits,_ZN5aiter20topk_softplus_kernelI12hip_bfloat16S1_Dv1_fLb1ELi0EEEvPKT_PKT0_PfPimiiif,comdat
	.protected	_ZN5aiter20topk_softplus_kernelI12hip_bfloat16S1_Dv1_fLb1ELi0EEEvPKT_PKT0_PfPimiiif ; -- Begin function _ZN5aiter20topk_softplus_kernelI12hip_bfloat16S1_Dv1_fLb1ELi0EEEvPKT_PKT0_PfPimiiif
	.globl	_ZN5aiter20topk_softplus_kernelI12hip_bfloat16S1_Dv1_fLb1ELi0EEEvPKT_PKT0_PfPimiiif
	.p2align	8
	.type	_ZN5aiter20topk_softplus_kernelI12hip_bfloat16S1_Dv1_fLb1ELi0EEEvPKT_PKT0_PfPimiiif,@function
_ZN5aiter20topk_softplus_kernelI12hip_bfloat16S1_Dv1_fLb1ELi0EEEvPKT_PKT0_PfPimiiif: ; @_ZN5aiter20topk_softplus_kernelI12hip_bfloat16S1_Dv1_fLb1ELi0EEEvPKT_PKT0_PfPimiiif
; %bb.0:
	s_load_dwordx2 s[20:21], s[4:5], 0x28
	s_load_dwordx8 s[12:19], s[4:5], 0x0
	v_lshl_add_u32 v1, v0, 2, 0
	s_waitcnt lgkmcnt(0)
	s_mul_i32 s2, s6, s20
	s_ashr_i32 s3, s2, 31
	s_lshl_b64 s[2:3], s[2:3], 1
	s_add_u32 s7, s12, s2
	v_cmp_gt_i32_e64 s[0:1], s20, v0
	s_addc_u32 s24, s13, s3
	s_and_saveexec_b64 s[12:13], s[0:1]
	s_cbranch_execz .LBB305_5
; %bb.1:
	s_load_dword s8, s[4:5], 0x44
	s_cmp_lg_u64 s[14:15], 0
	s_cselect_b64 s[2:3], -1, 0
	v_cndmask_b32_e64 v2, 0, 1, s[2:3]
	s_mov_b64 s[22:23], 0
	s_waitcnt lgkmcnt(0)
	s_and_b32 s25, s8, 0xffff
	v_lshl_add_u32 v6, v0, 2, 0
	s_lshl_b32 s26, s25, 2
	v_mov_b32_e32 v7, s24
	s_mov_b32 s27, 0xc2fc0000
	v_mov_b32_e32 v8, 0x42800000
	v_mov_b32_e32 v9, 0x1f800000
	s_mov_b32 s28, 0x800000
	v_mov_b32_e32 v10, 0x4f800000
	;; [unrolled: 3-line block ×3, first 2 shown]
	v_cmp_ne_u32_e64 s[2:3], 1, v2
	v_mov_b32_e32 v2, v0
	s_branch .LBB305_3
.LBB305_2:                              ;   in Loop: Header=BB305_3 Depth=1
	v_add_u32_e32 v2, s25, v2
	v_cmp_le_i32_e32 vcc, s20, v2
	ds_write_b32 v6, v3
	s_or_b64 s[22:23], vcc, s[22:23]
	v_add_u32_e32 v6, s26, v6
	s_andn2_b64 exec, exec, s[22:23]
	s_cbranch_execz .LBB305_5
.LBB305_3:                              ; =>This Inner Loop Header: Depth=1
	v_ashrrev_i32_e32 v3, 31, v2
	v_lshlrev_b64 v[4:5], 1, v[2:3]
	v_add_co_u32_e32 v14, vcc, s7, v4
	v_addc_co_u32_e32 v15, vcc, v7, v5, vcc
	global_load_ushort v3, v[14:15], off
	s_waitcnt vmcnt(0)
	v_cvt_f32_u32_e32 v13, v3
	v_mul_f32_e32 v14, 0x3fb8aa3b, v13
	v_cmp_gt_f32_e32 vcc, s27, v14
	v_cndmask_b32_e32 v14, 0, v8, vcc
	v_fmac_f32_e32 v14, 0x3fb8aa3b, v13
	v_exp_f32_e32 v14, v14
	v_cndmask_b32_e32 v15, 1.0, v9, vcc
	v_fma_f32 v14, v14, v15, 1.0
	v_cmp_gt_f32_e32 vcc, s28, v14
	v_cndmask_b32_e32 v15, 1.0, v10, vcc
	v_mul_f32_e32 v14, v14, v15
	v_log_f32_e32 v14, v14
	v_cndmask_b32_e32 v15, 0, v11, vcc
	v_cmp_lt_u32_e32 vcc, 20, v3
	v_sub_f32_e32 v14, v14, v15
	v_mul_f32_e32 v14, 0x3f317218, v14
	v_cndmask_b32_e32 v3, v14, v13, vcc
	v_mul_f32_e32 v13, 0x4f800000, v3
	v_cmp_gt_f32_e64 s[8:9], s29, v3
	v_cndmask_b32_e64 v3, v3, v13, s[8:9]
	v_sqrt_f32_e32 v13, v3
	s_and_b64 vcc, exec, s[2:3]
	v_add_u32_e32 v14, -1, v13
	v_add_u32_e32 v15, 1, v13
	v_fma_f32 v16, -v14, v13, v3
	v_fma_f32 v17, -v15, v13, v3
	v_cmp_ge_f32_e64 s[10:11], 0, v16
	v_cndmask_b32_e64 v13, v13, v14, s[10:11]
	v_cmp_lt_f32_e64 s[10:11], 0, v17
	v_cndmask_b32_e64 v13, v13, v15, s[10:11]
	v_mul_f32_e32 v14, 0x37800000, v13
	v_cndmask_b32_e64 v13, v13, v14, s[8:9]
	v_cmp_class_f32_e64 s[8:9], v3, v12
	v_cndmask_b32_e64 v3, v13, v3, s[8:9]
	s_cbranch_vccnz .LBB305_2
; %bb.4:                                ;   in Loop: Header=BB305_3 Depth=1
	v_mov_b32_e32 v13, s15
	v_add_co_u32_e32 v4, vcc, s14, v4
	v_addc_co_u32_e32 v5, vcc, v13, v5, vcc
	global_load_ushort v4, v[4:5], off
	s_waitcnt vmcnt(0)
	v_lshlrev_b32_e32 v4, 16, v4
	v_add_f32_e32 v3, v3, v4
	s_branch .LBB305_2
.LBB305_5:
	s_or_b64 exec, exec, s[12:13]
	v_add_u32_e32 v2, s20, v0
	v_cmp_gt_i32_e32 vcc, s20, v2
	s_and_saveexec_b64 s[10:11], vcc
	s_cbranch_execz .LBB305_10
; %bb.6:
	s_load_dword s8, s[4:5], 0x44
	s_cmp_lg_u64 s[14:15], 0
	s_cselect_b64 s[2:3], -1, 0
	v_cndmask_b32_e64 v3, 0, 1, s[2:3]
	s_mov_b64 s[12:13], 0
	s_waitcnt lgkmcnt(0)
	s_and_b32 s22, s8, 0xffff
	v_lshl_add_u32 v6, v2, 2, 0
	s_lshl_b32 s23, s22, 2
	v_mov_b32_e32 v7, s24
	s_mov_b32 s24, 0x41a00000
	s_mov_b32 s25, 0xc2fc0000
	v_mov_b32_e32 v8, 0x42800000
	v_mov_b32_e32 v9, 0x1f800000
	s_mov_b32 s26, 0x800000
	v_mov_b32_e32 v10, 0x4f800000
	v_mov_b32_e32 v11, 0x42000000
	s_mov_b32 s27, 0xf800000
	v_mov_b32_e32 v12, 0x260
	v_cmp_ne_u32_e64 s[2:3], 1, v3
	s_branch .LBB305_8
.LBB305_7:                              ;   in Loop: Header=BB305_8 Depth=1
	v_add_u32_e32 v2, s22, v2
	v_cmp_le_i32_e32 vcc, s20, v2
	s_or_b64 s[12:13], vcc, s[12:13]
	v_add_u32_e32 v6, s23, v6
	s_andn2_b64 exec, exec, s[12:13]
	s_cbranch_execz .LBB305_10
.LBB305_8:                              ; =>This Inner Loop Header: Depth=1
	v_ashrrev_i32_e32 v3, 31, v2
	v_lshlrev_b64 v[4:5], 1, v[2:3]
	v_add_co_u32_e32 v14, vcc, s7, v4
	v_addc_co_u32_e32 v15, vcc, v7, v5, vcc
	global_load_ushort v3, v[14:15], off
	s_waitcnt vmcnt(0)
	v_lshlrev_b32_e32 v3, 16, v3
	v_mul_f32_e32 v13, 0x3fb8aa3b, v3
	v_cmp_gt_f32_e32 vcc, s25, v13
	v_cndmask_b32_e32 v13, 0, v8, vcc
	v_fmac_f32_e32 v13, 0x3fb8aa3b, v3
	v_exp_f32_e32 v13, v13
	v_cndmask_b32_e32 v14, 1.0, v9, vcc
	v_fma_f32 v13, v13, v14, 1.0
	v_cmp_gt_f32_e32 vcc, s26, v13
	v_cndmask_b32_e32 v14, 1.0, v10, vcc
	v_mul_f32_e32 v13, v13, v14
	v_log_f32_e32 v13, v13
	v_cndmask_b32_e32 v14, 0, v11, vcc
	v_cmp_lt_f32_e32 vcc, s24, v3
	v_sub_f32_e32 v13, v13, v14
	v_mul_f32_e32 v13, 0x3f317218, v13
	v_cndmask_b32_e32 v3, v13, v3, vcc
	v_mul_f32_e32 v13, 0x4f800000, v3
	v_cmp_gt_f32_e32 vcc, s27, v3
	v_cndmask_b32_e32 v3, v3, v13, vcc
	v_sqrt_f32_e32 v13, v3
	v_add_u32_e32 v14, -1, v13
	v_add_u32_e32 v15, 1, v13
	v_fma_f32 v16, -v14, v13, v3
	v_fma_f32 v17, -v15, v13, v3
	v_cmp_ge_f32_e64 s[8:9], 0, v16
	v_cndmask_b32_e64 v13, v13, v14, s[8:9]
	v_cmp_lt_f32_e64 s[8:9], 0, v17
	v_cndmask_b32_e64 v13, v13, v15, s[8:9]
	v_mul_f32_e32 v14, 0x37800000, v13
	v_cndmask_b32_e32 v13, v13, v14, vcc
	v_cmp_class_f32_e32 vcc, v3, v12
	v_cndmask_b32_e32 v3, v13, v3, vcc
	s_and_b64 vcc, exec, s[2:3]
	ds_write_b32 v6, v3
	s_cbranch_vccnz .LBB305_7
; %bb.9:                                ;   in Loop: Header=BB305_8 Depth=1
	v_mov_b32_e32 v13, s15
	v_add_co_u32_e32 v4, vcc, s14, v4
	v_addc_co_u32_e32 v5, vcc, v13, v5, vcc
	global_load_ushort v4, v[4:5], off
	s_waitcnt vmcnt(0)
	v_lshlrev_b32_e32 v4, 16, v4
	v_add_f32_e32 v3, v3, v4
	ds_write_b32 v6, v3
	s_branch .LBB305_7
.LBB305_10:
	s_or_b64 exec, exec, s[10:11]
	s_cmp_lt_i32 s21, 1
	v_mov_b32_e32 v3, 0
	s_waitcnt lgkmcnt(0)
	s_barrier
	s_cbranch_scc1 .LBB305_19
; %bb.11:
	s_add_u32 s2, s4, 56
	s_addc_u32 s3, s5, 0
	v_mbcnt_lo_u32_b32 v2, -1, 0
	s_cmp_lg_u64 s[14:15], 0
	v_mbcnt_hi_u32_b32 v2, -1, v2
	v_bfrev_b32_e32 v4, 0.5
	s_cselect_b64 s[8:9], -1, 0
	s_mov_b32 s7, 0
	v_mov_b32_e32 v3, 0
	v_lshl_or_b32 v5, v2, 2, v4
	v_mov_b32_e32 v6, 0
	v_mov_b32_e32 v7, 0xff800000
	;; [unrolled: 1-line block ×4, first 2 shown]
	s_branch .LBB305_13
.LBB305_12:                             ;   in Loop: Header=BB305_13 Depth=1
	s_lshl_b32 s11, s10, 2
	s_add_i32 s11, s11, 0
	v_mov_b32_e32 v8, s11
	ds_write_b32 v8, v7
	v_mov_b32_e32 v8, s10
	v_cmp_eq_u32_e32 vcc, s7, v0
	s_add_i32 s7, s7, 1
	v_cndmask_b32_e32 v2, v2, v8, vcc
	v_cndmask_b32_e32 v3, v3, v10, vcc
	s_cmp_eq_u32 s7, s21
	v_add_f32_e32 v4, v4, v10
	s_cbranch_scc1 .LBB305_20
.LBB305_13:                             ; =>This Loop Header: Depth=1
                                        ;     Child Loop BB305_15 Depth 2
	v_mov_b32_e32 v8, s7
	v_mov_b32_e32 v9, 0xff800000
	s_and_saveexec_b64 s[10:11], s[0:1]
	s_cbranch_execz .LBB305_17
; %bb.14:                               ;   in Loop: Header=BB305_13 Depth=1
	s_load_dword s22, s[2:3], 0xc
	s_mov_b64 s[12:13], 0
	v_mov_b32_e32 v8, s7
	v_mov_b32_e32 v9, 0xff800000
	;; [unrolled: 1-line block ×3, first 2 shown]
	s_waitcnt lgkmcnt(0)
	s_and_b32 s22, s22, 0xffff
	s_lshl_b32 s23, s22, 2
	v_mov_b32_e32 v11, v0
.LBB305_15:                             ;   Parent Loop BB305_13 Depth=1
                                        ; =>  This Inner Loop Header: Depth=2
	ds_read_b32 v12, v10
	v_add_u32_e32 v10, s23, v10
	s_waitcnt lgkmcnt(0)
	v_cmp_gt_f32_e32 vcc, v12, v9
	v_cndmask_b32_e32 v8, v8, v11, vcc
	v_add_u32_e32 v11, s22, v11
	v_cndmask_b32_e32 v9, v9, v12, vcc
	v_cmp_le_i32_e32 vcc, s20, v11
	s_or_b64 s[12:13], vcc, s[12:13]
	s_andn2_b64 exec, exec, s[12:13]
	s_cbranch_execnz .LBB305_15
; %bb.16:                               ;   in Loop: Header=BB305_13 Depth=1
	s_or_b64 exec, exec, s[12:13]
.LBB305_17:                             ;   in Loop: Header=BB305_13 Depth=1
	s_or_b64 exec, exec, s[10:11]
	;;#ASMSTART
	v_max_f32 v10, v9, v9 quad_perm:[1,0,3,2] row_mask:0xf bank_mask:0xf bound_ctrl:1
	;;#ASMEND
	;;#ASMSTART
	v_max_f32 v11, v10, v10 quad_perm:[2,3,0,1] row_mask:0xf bank_mask:0xf bound_ctrl:1
	;;#ASMEND
	;;#ASMSTART
	v_max_f32 v10, v11, v11 row_half_mirror row_mask:0xf bank_mask:0xf bound_ctrl:1
	;;#ASMEND
	;;#ASMSTART
	v_max_f32 v11, v10, v10 row_mirror row_mask:0xf bank_mask:0xf bound_ctrl:1
	;;#ASMEND
	;;#ASMSTART
	v_max_f32 v10, v11, v11 row_ror:4 row_mask:0xf bank_mask:0xf bound_ctrl:1
	;;#ASMEND
	;;#ASMSTART
	v_max_f32 v11, v10, v10 row_ror:8 row_mask:0xf bank_mask:0xf bound_ctrl:1
	;;#ASMEND
	;;#ASMSTART
	v_max_f32 v10, v11, v11 row_bcast:15 row_mask:0xf bank_mask:0xf bound_ctrl:1
	;;#ASMEND
	;;#ASMSTART
	v_max_f32 v11, v10, v10 row_bcast:31 row_mask:0xf bank_mask:0xf bound_ctrl:1
	;;#ASMEND
	ds_bpermute_b32 v10, v5, v11
	s_waitcnt lgkmcnt(0)
	v_cmp_eq_f32_e32 vcc, v9, v10
	s_ff1_i32_b64 s10, vcc
	s_cmp_lg_u64 vcc, 0
	s_cselect_b32 s10, s10, 0
	s_and_b64 vcc, exec, s[8:9]
	v_readlane_b32 s10, v8, s10
	s_cbranch_vccz .LBB305_12
; %bb.18:                               ;   in Loop: Header=BB305_13 Depth=1
	s_ashr_i32 s11, s10, 31
	s_lshl_b64 s[12:13], s[10:11], 1
	s_add_u32 s12, s14, s12
	s_addc_u32 s13, s15, s13
	global_load_ushort v8, v6, s[12:13]
	s_waitcnt vmcnt(0)
	v_lshlrev_b32_e32 v8, 16, v8
	v_sub_f32_e32 v10, v10, v8
	s_branch .LBB305_12
.LBB305_19:
	v_mov_b32_e32 v2, 0
	v_mov_b32_e32 v4, 0
.LBB305_20:
	v_cmp_gt_i32_e32 vcc, s21, v0
	s_and_saveexec_b64 s[0:1], vcc
	s_cbranch_execz .LBB305_23
; %bb.21:
	s_load_dword s2, s[4:5], 0x34
	v_max_f32_e32 v1, v4, v4
	v_max_f32_e32 v1, 0x1e3ce508, v1
	s_load_dword s3, s[4:5], 0x44
	s_waitcnt lgkmcnt(0)
	v_div_scale_f32 v4, s[0:1], v1, v1, s2
	s_load_dwordx2 s[0:1], s[4:5], 0x20
	v_rcp_f32_e32 v5, v4
	v_div_scale_f32 v6, vcc, s2, v1, s2
	s_and_b32 s3, s3, 0xffff
	v_fma_f32 v7, -v4, v5, 1.0
	v_fmac_f32_e32 v5, v7, v5
	v_mul_f32_e32 v7, v6, v5
	v_fma_f32 v8, -v4, v7, v6
	v_fmac_f32_e32 v7, v8, v5
	v_fma_f32 v4, -v4, v7, v6
	v_div_fmas_f32 v4, v4, v5, v7
	v_div_fixup_f32 v1, v4, v1, s2
	s_ashr_i32 s2, s6, 31
	s_waitcnt lgkmcnt(0)
	s_mul_i32 s1, s6, s1
	s_mul_hi_u32 s4, s6, s0
	s_add_i32 s1, s4, s1
	s_mul_i32 s2, s2, s0
	s_add_i32 s4, s1, s2
	v_mul_f32_e32 v1, v3, v1
	s_mul_i32 s2, s6, s0
	s_mov_b64 s[0:1], 0
	v_mov_b32_e32 v3, s4
	v_mov_b32_e32 v4, s17
	;; [unrolled: 1-line block ×3, first 2 shown]
.LBB305_22:                             ; =>This Inner Loop Header: Depth=1
	v_ashrrev_i32_e32 v7, 31, v0
	v_add_co_u32_e32 v6, vcc, s2, v0
	v_addc_co_u32_e32 v7, vcc, v3, v7, vcc
	v_add_u32_e32 v0, s3, v0
	v_cmp_le_i32_e32 vcc, s21, v0
	v_lshlrev_b64 v[6:7], 2, v[6:7]
	s_or_b64 s[0:1], vcc, s[0:1]
	v_add_co_u32_e32 v8, vcc, s16, v6
	v_addc_co_u32_e32 v9, vcc, v4, v7, vcc
	v_add_co_u32_e32 v6, vcc, s18, v6
	v_addc_co_u32_e32 v7, vcc, v5, v7, vcc
	global_store_dword v[8:9], v1, off
	global_store_dword v[6:7], v2, off
	s_andn2_b64 exec, exec, s[0:1]
	s_cbranch_execnz .LBB305_22
.LBB305_23:
	s_endpgm
	.section	.rodata,"a",@progbits
	.p2align	6, 0x0
	.amdhsa_kernel _ZN5aiter20topk_softplus_kernelI12hip_bfloat16S1_Dv1_fLb1ELi0EEEvPKT_PKT0_PfPimiiif
		.amdhsa_group_segment_fixed_size 0
		.amdhsa_private_segment_fixed_size 0
		.amdhsa_kernarg_size 312
		.amdhsa_user_sgpr_count 6
		.amdhsa_user_sgpr_private_segment_buffer 1
		.amdhsa_user_sgpr_dispatch_ptr 0
		.amdhsa_user_sgpr_queue_ptr 0
		.amdhsa_user_sgpr_kernarg_segment_ptr 1
		.amdhsa_user_sgpr_dispatch_id 0
		.amdhsa_user_sgpr_flat_scratch_init 0
		.amdhsa_user_sgpr_kernarg_preload_length 0
		.amdhsa_user_sgpr_kernarg_preload_offset 0
		.amdhsa_user_sgpr_private_segment_size 0
		.amdhsa_uses_dynamic_stack 0
		.amdhsa_system_sgpr_private_segment_wavefront_offset 0
		.amdhsa_system_sgpr_workgroup_id_x 1
		.amdhsa_system_sgpr_workgroup_id_y 0
		.amdhsa_system_sgpr_workgroup_id_z 0
		.amdhsa_system_sgpr_workgroup_info 0
		.amdhsa_system_vgpr_workitem_id 0
		.amdhsa_next_free_vgpr 18
		.amdhsa_next_free_sgpr 30
		.amdhsa_accum_offset 20
		.amdhsa_reserve_vcc 1
		.amdhsa_reserve_flat_scratch 0
		.amdhsa_float_round_mode_32 0
		.amdhsa_float_round_mode_16_64 0
		.amdhsa_float_denorm_mode_32 3
		.amdhsa_float_denorm_mode_16_64 3
		.amdhsa_dx10_clamp 1
		.amdhsa_ieee_mode 1
		.amdhsa_fp16_overflow 0
		.amdhsa_tg_split 0
		.amdhsa_exception_fp_ieee_invalid_op 0
		.amdhsa_exception_fp_denorm_src 0
		.amdhsa_exception_fp_ieee_div_zero 0
		.amdhsa_exception_fp_ieee_overflow 0
		.amdhsa_exception_fp_ieee_underflow 0
		.amdhsa_exception_fp_ieee_inexact 0
		.amdhsa_exception_int_div_zero 0
	.end_amdhsa_kernel
	.section	.text._ZN5aiter20topk_softplus_kernelI12hip_bfloat16S1_Dv1_fLb1ELi0EEEvPKT_PKT0_PfPimiiif,"axG",@progbits,_ZN5aiter20topk_softplus_kernelI12hip_bfloat16S1_Dv1_fLb1ELi0EEEvPKT_PKT0_PfPimiiif,comdat
.Lfunc_end305:
	.size	_ZN5aiter20topk_softplus_kernelI12hip_bfloat16S1_Dv1_fLb1ELi0EEEvPKT_PKT0_PfPimiiif, .Lfunc_end305-_ZN5aiter20topk_softplus_kernelI12hip_bfloat16S1_Dv1_fLb1ELi0EEEvPKT_PKT0_PfPimiiif
                                        ; -- End function
	.section	.AMDGPU.csdata,"",@progbits
; Kernel info:
; codeLenInByte = 1656
; NumSgprs: 34
; NumVgprs: 18
; NumAgprs: 0
; TotalNumVgprs: 18
; ScratchSize: 0
; MemoryBound: 0
; FloatMode: 240
; IeeeMode: 1
; LDSByteSize: 0 bytes/workgroup (compile time only)
; SGPRBlocks: 4
; VGPRBlocks: 2
; NumSGPRsForWavesPerEU: 34
; NumVGPRsForWavesPerEU: 18
; AccumOffset: 20
; Occupancy: 8
; WaveLimiterHint : 0
; COMPUTE_PGM_RSRC2:SCRATCH_EN: 0
; COMPUTE_PGM_RSRC2:USER_SGPR: 6
; COMPUTE_PGM_RSRC2:TRAP_HANDLER: 0
; COMPUTE_PGM_RSRC2:TGID_X_EN: 1
; COMPUTE_PGM_RSRC2:TGID_Y_EN: 0
; COMPUTE_PGM_RSRC2:TGID_Z_EN: 0
; COMPUTE_PGM_RSRC2:TIDIG_COMP_CNT: 0
; COMPUTE_PGM_RSRC3_GFX90A:ACCUM_OFFSET: 4
; COMPUTE_PGM_RSRC3_GFX90A:TG_SPLIT: 0
	.section	.text._ZN5aiter20topk_softplus_kernelI12hip_bfloat16S1_Dv1_fLb0ELi0EEEvPKT_PKT0_PfPimiiif,"axG",@progbits,_ZN5aiter20topk_softplus_kernelI12hip_bfloat16S1_Dv1_fLb0ELi0EEEvPKT_PKT0_PfPimiiif,comdat
	.protected	_ZN5aiter20topk_softplus_kernelI12hip_bfloat16S1_Dv1_fLb0ELi0EEEvPKT_PKT0_PfPimiiif ; -- Begin function _ZN5aiter20topk_softplus_kernelI12hip_bfloat16S1_Dv1_fLb0ELi0EEEvPKT_PKT0_PfPimiiif
	.globl	_ZN5aiter20topk_softplus_kernelI12hip_bfloat16S1_Dv1_fLb0ELi0EEEvPKT_PKT0_PfPimiiif
	.p2align	8
	.type	_ZN5aiter20topk_softplus_kernelI12hip_bfloat16S1_Dv1_fLb0ELi0EEEvPKT_PKT0_PfPimiiif,@function
_ZN5aiter20topk_softplus_kernelI12hip_bfloat16S1_Dv1_fLb0ELi0EEEvPKT_PKT0_PfPimiiif: ; @_ZN5aiter20topk_softplus_kernelI12hip_bfloat16S1_Dv1_fLb0ELi0EEEvPKT_PKT0_PfPimiiif
; %bb.0:
	s_load_dwordx2 s[20:21], s[4:5], 0x28
	s_load_dwordx8 s[12:19], s[4:5], 0x0
	v_lshl_add_u32 v1, v0, 2, 0
	s_waitcnt lgkmcnt(0)
	s_mul_i32 s2, s6, s20
	s_ashr_i32 s3, s2, 31
	s_lshl_b64 s[2:3], s[2:3], 1
	s_add_u32 s7, s12, s2
	v_cmp_gt_i32_e64 s[0:1], s20, v0
	s_addc_u32 s24, s13, s3
	s_and_saveexec_b64 s[12:13], s[0:1]
	s_cbranch_execz .LBB306_5
; %bb.1:
	s_load_dword s8, s[4:5], 0x44
	s_cmp_lg_u64 s[14:15], 0
	s_cselect_b64 s[2:3], -1, 0
	v_cndmask_b32_e64 v2, 0, 1, s[2:3]
	s_mov_b64 s[22:23], 0
	s_waitcnt lgkmcnt(0)
	s_and_b32 s25, s8, 0xffff
	v_lshl_add_u32 v6, v0, 2, 0
	s_lshl_b32 s26, s25, 2
	v_mov_b32_e32 v7, s24
	s_mov_b32 s27, 0xc2fc0000
	v_mov_b32_e32 v8, 0x42800000
	v_mov_b32_e32 v9, 0x1f800000
	s_mov_b32 s28, 0x800000
	v_mov_b32_e32 v10, 0x4f800000
	;; [unrolled: 3-line block ×3, first 2 shown]
	v_cmp_ne_u32_e64 s[2:3], 1, v2
	v_mov_b32_e32 v2, v0
	s_branch .LBB306_3
.LBB306_2:                              ;   in Loop: Header=BB306_3 Depth=1
	v_add_u32_e32 v2, s25, v2
	v_cmp_le_i32_e32 vcc, s20, v2
	ds_write_b32 v6, v3
	s_or_b64 s[22:23], vcc, s[22:23]
	v_add_u32_e32 v6, s26, v6
	s_andn2_b64 exec, exec, s[22:23]
	s_cbranch_execz .LBB306_5
.LBB306_3:                              ; =>This Inner Loop Header: Depth=1
	v_ashrrev_i32_e32 v3, 31, v2
	v_lshlrev_b64 v[4:5], 1, v[2:3]
	v_add_co_u32_e32 v14, vcc, s7, v4
	v_addc_co_u32_e32 v15, vcc, v7, v5, vcc
	global_load_ushort v3, v[14:15], off
	s_waitcnt vmcnt(0)
	v_cvt_f32_u32_e32 v13, v3
	v_mul_f32_e32 v14, 0x3fb8aa3b, v13
	v_cmp_gt_f32_e32 vcc, s27, v14
	v_cndmask_b32_e32 v14, 0, v8, vcc
	v_fmac_f32_e32 v14, 0x3fb8aa3b, v13
	v_exp_f32_e32 v14, v14
	v_cndmask_b32_e32 v15, 1.0, v9, vcc
	v_fma_f32 v14, v14, v15, 1.0
	v_cmp_gt_f32_e32 vcc, s28, v14
	v_cndmask_b32_e32 v15, 1.0, v10, vcc
	v_mul_f32_e32 v14, v14, v15
	v_log_f32_e32 v14, v14
	v_cndmask_b32_e32 v15, 0, v11, vcc
	v_cmp_lt_u32_e32 vcc, 20, v3
	v_sub_f32_e32 v14, v14, v15
	v_mul_f32_e32 v14, 0x3f317218, v14
	v_cndmask_b32_e32 v3, v14, v13, vcc
	v_mul_f32_e32 v13, 0x4f800000, v3
	v_cmp_gt_f32_e64 s[8:9], s29, v3
	v_cndmask_b32_e64 v3, v3, v13, s[8:9]
	v_sqrt_f32_e32 v13, v3
	s_and_b64 vcc, exec, s[2:3]
	v_add_u32_e32 v14, -1, v13
	v_add_u32_e32 v15, 1, v13
	v_fma_f32 v16, -v14, v13, v3
	v_fma_f32 v17, -v15, v13, v3
	v_cmp_ge_f32_e64 s[10:11], 0, v16
	v_cndmask_b32_e64 v13, v13, v14, s[10:11]
	v_cmp_lt_f32_e64 s[10:11], 0, v17
	v_cndmask_b32_e64 v13, v13, v15, s[10:11]
	v_mul_f32_e32 v14, 0x37800000, v13
	v_cndmask_b32_e64 v13, v13, v14, s[8:9]
	v_cmp_class_f32_e64 s[8:9], v3, v12
	v_cndmask_b32_e64 v3, v13, v3, s[8:9]
	s_cbranch_vccnz .LBB306_2
; %bb.4:                                ;   in Loop: Header=BB306_3 Depth=1
	v_mov_b32_e32 v13, s15
	v_add_co_u32_e32 v4, vcc, s14, v4
	v_addc_co_u32_e32 v5, vcc, v13, v5, vcc
	global_load_ushort v4, v[4:5], off
	s_waitcnt vmcnt(0)
	v_lshlrev_b32_e32 v4, 16, v4
	v_add_f32_e32 v3, v3, v4
	s_branch .LBB306_2
.LBB306_5:
	s_or_b64 exec, exec, s[12:13]
	v_add_u32_e32 v2, s20, v0
	v_cmp_gt_i32_e32 vcc, s20, v2
	s_and_saveexec_b64 s[10:11], vcc
	s_cbranch_execz .LBB306_10
; %bb.6:
	s_load_dword s8, s[4:5], 0x44
	s_cmp_lg_u64 s[14:15], 0
	s_cselect_b64 s[2:3], -1, 0
	v_cndmask_b32_e64 v3, 0, 1, s[2:3]
	s_mov_b64 s[12:13], 0
	s_waitcnt lgkmcnt(0)
	s_and_b32 s22, s8, 0xffff
	v_lshl_add_u32 v6, v2, 2, 0
	s_lshl_b32 s23, s22, 2
	v_mov_b32_e32 v7, s24
	s_mov_b32 s24, 0x41a00000
	s_mov_b32 s25, 0xc2fc0000
	v_mov_b32_e32 v8, 0x42800000
	v_mov_b32_e32 v9, 0x1f800000
	s_mov_b32 s26, 0x800000
	v_mov_b32_e32 v10, 0x4f800000
	v_mov_b32_e32 v11, 0x42000000
	s_mov_b32 s27, 0xf800000
	v_mov_b32_e32 v12, 0x260
	v_cmp_ne_u32_e64 s[2:3], 1, v3
	s_branch .LBB306_8
.LBB306_7:                              ;   in Loop: Header=BB306_8 Depth=1
	v_add_u32_e32 v2, s22, v2
	v_cmp_le_i32_e32 vcc, s20, v2
	s_or_b64 s[12:13], vcc, s[12:13]
	v_add_u32_e32 v6, s23, v6
	s_andn2_b64 exec, exec, s[12:13]
	s_cbranch_execz .LBB306_10
.LBB306_8:                              ; =>This Inner Loop Header: Depth=1
	v_ashrrev_i32_e32 v3, 31, v2
	v_lshlrev_b64 v[4:5], 1, v[2:3]
	v_add_co_u32_e32 v14, vcc, s7, v4
	v_addc_co_u32_e32 v15, vcc, v7, v5, vcc
	global_load_ushort v3, v[14:15], off
	s_waitcnt vmcnt(0)
	v_lshlrev_b32_e32 v3, 16, v3
	v_mul_f32_e32 v13, 0x3fb8aa3b, v3
	v_cmp_gt_f32_e32 vcc, s25, v13
	v_cndmask_b32_e32 v13, 0, v8, vcc
	v_fmac_f32_e32 v13, 0x3fb8aa3b, v3
	v_exp_f32_e32 v13, v13
	v_cndmask_b32_e32 v14, 1.0, v9, vcc
	v_fma_f32 v13, v13, v14, 1.0
	v_cmp_gt_f32_e32 vcc, s26, v13
	v_cndmask_b32_e32 v14, 1.0, v10, vcc
	v_mul_f32_e32 v13, v13, v14
	v_log_f32_e32 v13, v13
	v_cndmask_b32_e32 v14, 0, v11, vcc
	v_cmp_lt_f32_e32 vcc, s24, v3
	v_sub_f32_e32 v13, v13, v14
	v_mul_f32_e32 v13, 0x3f317218, v13
	v_cndmask_b32_e32 v3, v13, v3, vcc
	v_mul_f32_e32 v13, 0x4f800000, v3
	v_cmp_gt_f32_e32 vcc, s27, v3
	v_cndmask_b32_e32 v3, v3, v13, vcc
	v_sqrt_f32_e32 v13, v3
	v_add_u32_e32 v14, -1, v13
	v_add_u32_e32 v15, 1, v13
	v_fma_f32 v16, -v14, v13, v3
	v_fma_f32 v17, -v15, v13, v3
	v_cmp_ge_f32_e64 s[8:9], 0, v16
	v_cndmask_b32_e64 v13, v13, v14, s[8:9]
	v_cmp_lt_f32_e64 s[8:9], 0, v17
	v_cndmask_b32_e64 v13, v13, v15, s[8:9]
	v_mul_f32_e32 v14, 0x37800000, v13
	v_cndmask_b32_e32 v13, v13, v14, vcc
	v_cmp_class_f32_e32 vcc, v3, v12
	v_cndmask_b32_e32 v3, v13, v3, vcc
	s_and_b64 vcc, exec, s[2:3]
	ds_write_b32 v6, v3
	s_cbranch_vccnz .LBB306_7
; %bb.9:                                ;   in Loop: Header=BB306_8 Depth=1
	v_mov_b32_e32 v13, s15
	v_add_co_u32_e32 v4, vcc, s14, v4
	v_addc_co_u32_e32 v5, vcc, v13, v5, vcc
	global_load_ushort v4, v[4:5], off
	s_waitcnt vmcnt(0)
	v_lshlrev_b32_e32 v4, 16, v4
	v_add_f32_e32 v3, v3, v4
	ds_write_b32 v6, v3
	s_branch .LBB306_7
.LBB306_10:
	s_or_b64 exec, exec, s[10:11]
	s_cmp_lt_i32 s21, 1
	s_waitcnt lgkmcnt(0)
	s_barrier
	s_cbranch_scc1 .LBB306_19
; %bb.11:
	s_add_u32 s2, s4, 56
	s_addc_u32 s3, s5, 0
	v_mbcnt_lo_u32_b32 v3, -1, 0
	s_cmp_lg_u64 s[14:15], 0
	v_mbcnt_hi_u32_b32 v3, -1, v3
	v_bfrev_b32_e32 v5, 0.5
	s_cselect_b64 s[8:9], -1, 0
	s_mov_b32 s7, 0
	v_mov_b32_e32 v2, 0
	v_mov_b32_e32 v4, 0
	v_lshl_or_b32 v5, v3, 2, v5
	v_mov_b32_e32 v6, 0xff800000
	v_mov_b32_e32 v3, 0
	s_branch .LBB306_13
.LBB306_12:                             ;   in Loop: Header=BB306_13 Depth=1
	s_lshl_b32 s11, s10, 2
	s_add_i32 s11, s11, 0
	v_mov_b32_e32 v7, s11
	ds_write_b32 v7, v6
	v_mov_b32_e32 v7, s10
	v_cmp_eq_u32_e32 vcc, s7, v0
	s_add_i32 s7, s7, 1
	v_cndmask_b32_e32 v2, v2, v7, vcc
	s_cmp_eq_u32 s7, s21
	v_cndmask_b32_e32 v3, v3, v9, vcc
	s_cbranch_scc1 .LBB306_20
.LBB306_13:                             ; =>This Loop Header: Depth=1
                                        ;     Child Loop BB306_15 Depth 2
	v_mov_b32_e32 v7, s7
	v_mov_b32_e32 v8, 0xff800000
	s_and_saveexec_b64 s[10:11], s[0:1]
	s_cbranch_execz .LBB306_17
; %bb.14:                               ;   in Loop: Header=BB306_13 Depth=1
	s_load_dword s22, s[2:3], 0xc
	s_mov_b64 s[12:13], 0
	v_mov_b32_e32 v7, s7
	v_mov_b32_e32 v8, 0xff800000
	;; [unrolled: 1-line block ×3, first 2 shown]
	s_waitcnt lgkmcnt(0)
	s_and_b32 s22, s22, 0xffff
	s_lshl_b32 s23, s22, 2
	v_mov_b32_e32 v10, v0
.LBB306_15:                             ;   Parent Loop BB306_13 Depth=1
                                        ; =>  This Inner Loop Header: Depth=2
	ds_read_b32 v11, v9
	v_add_u32_e32 v9, s23, v9
	s_waitcnt lgkmcnt(0)
	v_cmp_gt_f32_e32 vcc, v11, v8
	v_cndmask_b32_e32 v7, v7, v10, vcc
	v_add_u32_e32 v10, s22, v10
	v_cndmask_b32_e32 v8, v8, v11, vcc
	v_cmp_le_i32_e32 vcc, s20, v10
	s_or_b64 s[12:13], vcc, s[12:13]
	s_andn2_b64 exec, exec, s[12:13]
	s_cbranch_execnz .LBB306_15
; %bb.16:                               ;   in Loop: Header=BB306_13 Depth=1
	s_or_b64 exec, exec, s[12:13]
.LBB306_17:                             ;   in Loop: Header=BB306_13 Depth=1
	s_or_b64 exec, exec, s[10:11]
	;;#ASMSTART
	v_max_f32 v9, v8, v8 quad_perm:[1,0,3,2] row_mask:0xf bank_mask:0xf bound_ctrl:1
	;;#ASMEND
	;;#ASMSTART
	v_max_f32 v10, v9, v9 quad_perm:[2,3,0,1] row_mask:0xf bank_mask:0xf bound_ctrl:1
	;;#ASMEND
	;;#ASMSTART
	v_max_f32 v9, v10, v10 row_half_mirror row_mask:0xf bank_mask:0xf bound_ctrl:1
	;;#ASMEND
	;;#ASMSTART
	v_max_f32 v10, v9, v9 row_mirror row_mask:0xf bank_mask:0xf bound_ctrl:1
	;;#ASMEND
	;;#ASMSTART
	v_max_f32 v9, v10, v10 row_ror:4 row_mask:0xf bank_mask:0xf bound_ctrl:1
	;;#ASMEND
	;;#ASMSTART
	v_max_f32 v10, v9, v9 row_ror:8 row_mask:0xf bank_mask:0xf bound_ctrl:1
	;;#ASMEND
	;;#ASMSTART
	v_max_f32 v9, v10, v10 row_bcast:15 row_mask:0xf bank_mask:0xf bound_ctrl:1
	;;#ASMEND
	;;#ASMSTART
	v_max_f32 v10, v9, v9 row_bcast:31 row_mask:0xf bank_mask:0xf bound_ctrl:1
	;;#ASMEND
	ds_bpermute_b32 v9, v5, v10
	s_waitcnt lgkmcnt(0)
	v_cmp_eq_f32_e32 vcc, v8, v9
	s_ff1_i32_b64 s10, vcc
	s_cmp_lg_u64 vcc, 0
	s_cselect_b32 s10, s10, 0
	s_and_b64 vcc, exec, s[8:9]
	v_readlane_b32 s10, v7, s10
	s_cbranch_vccz .LBB306_12
; %bb.18:                               ;   in Loop: Header=BB306_13 Depth=1
	s_ashr_i32 s11, s10, 31
	s_lshl_b64 s[12:13], s[10:11], 1
	s_add_u32 s12, s14, s12
	s_addc_u32 s13, s15, s13
	global_load_ushort v7, v4, s[12:13]
	s_waitcnt vmcnt(0)
	v_lshlrev_b32_e32 v7, 16, v7
	v_sub_f32_e32 v9, v9, v7
	s_branch .LBB306_12
.LBB306_19:
	v_mov_b32_e32 v3, 0
	v_mov_b32_e32 v2, 0
.LBB306_20:
	v_cmp_gt_i32_e32 vcc, s21, v0
	s_and_saveexec_b64 s[0:1], vcc
	s_cbranch_execz .LBB306_23
; %bb.21:
	s_load_dword s2, s[4:5], 0x34
	s_load_dwordx2 s[0:1], s[4:5], 0x20
	s_ashr_i32 s3, s6, 31
	s_load_dword s4, s[4:5], 0x44
	v_mov_b32_e32 v4, s17
	s_waitcnt lgkmcnt(0)
	v_mul_f32_e32 v1, s2, v3
	s_mul_i32 s1, s6, s1
	s_mul_hi_u32 s2, s6, s0
	s_add_i32 s1, s2, s1
	s_mul_i32 s3, s3, s0
	s_add_i32 s5, s1, s3
	s_mul_i32 s2, s6, s0
	s_and_b32 s3, s4, 0xffff
	s_mov_b64 s[0:1], 0
	v_mov_b32_e32 v3, s5
	v_mov_b32_e32 v5, s19
.LBB306_22:                             ; =>This Inner Loop Header: Depth=1
	v_ashrrev_i32_e32 v7, 31, v0
	v_add_co_u32_e32 v6, vcc, s2, v0
	v_addc_co_u32_e32 v7, vcc, v3, v7, vcc
	v_add_u32_e32 v0, s3, v0
	v_cmp_le_i32_e32 vcc, s21, v0
	v_lshlrev_b64 v[6:7], 2, v[6:7]
	s_or_b64 s[0:1], vcc, s[0:1]
	v_add_co_u32_e32 v8, vcc, s16, v6
	v_addc_co_u32_e32 v9, vcc, v4, v7, vcc
	v_add_co_u32_e32 v6, vcc, s18, v6
	v_addc_co_u32_e32 v7, vcc, v5, v7, vcc
	global_store_dword v[8:9], v1, off
	global_store_dword v[6:7], v2, off
	s_andn2_b64 exec, exec, s[0:1]
	s_cbranch_execnz .LBB306_22
.LBB306_23:
	s_endpgm
	.section	.rodata,"a",@progbits
	.p2align	6, 0x0
	.amdhsa_kernel _ZN5aiter20topk_softplus_kernelI12hip_bfloat16S1_Dv1_fLb0ELi0EEEvPKT_PKT0_PfPimiiif
		.amdhsa_group_segment_fixed_size 0
		.amdhsa_private_segment_fixed_size 0
		.amdhsa_kernarg_size 312
		.amdhsa_user_sgpr_count 6
		.amdhsa_user_sgpr_private_segment_buffer 1
		.amdhsa_user_sgpr_dispatch_ptr 0
		.amdhsa_user_sgpr_queue_ptr 0
		.amdhsa_user_sgpr_kernarg_segment_ptr 1
		.amdhsa_user_sgpr_dispatch_id 0
		.amdhsa_user_sgpr_flat_scratch_init 0
		.amdhsa_user_sgpr_kernarg_preload_length 0
		.amdhsa_user_sgpr_kernarg_preload_offset 0
		.amdhsa_user_sgpr_private_segment_size 0
		.amdhsa_uses_dynamic_stack 0
		.amdhsa_system_sgpr_private_segment_wavefront_offset 0
		.amdhsa_system_sgpr_workgroup_id_x 1
		.amdhsa_system_sgpr_workgroup_id_y 0
		.amdhsa_system_sgpr_workgroup_id_z 0
		.amdhsa_system_sgpr_workgroup_info 0
		.amdhsa_system_vgpr_workitem_id 0
		.amdhsa_next_free_vgpr 18
		.amdhsa_next_free_sgpr 30
		.amdhsa_accum_offset 20
		.amdhsa_reserve_vcc 1
		.amdhsa_reserve_flat_scratch 0
		.amdhsa_float_round_mode_32 0
		.amdhsa_float_round_mode_16_64 0
		.amdhsa_float_denorm_mode_32 3
		.amdhsa_float_denorm_mode_16_64 3
		.amdhsa_dx10_clamp 1
		.amdhsa_ieee_mode 1
		.amdhsa_fp16_overflow 0
		.amdhsa_tg_split 0
		.amdhsa_exception_fp_ieee_invalid_op 0
		.amdhsa_exception_fp_denorm_src 0
		.amdhsa_exception_fp_ieee_div_zero 0
		.amdhsa_exception_fp_ieee_overflow 0
		.amdhsa_exception_fp_ieee_underflow 0
		.amdhsa_exception_fp_ieee_inexact 0
		.amdhsa_exception_int_div_zero 0
	.end_amdhsa_kernel
	.section	.text._ZN5aiter20topk_softplus_kernelI12hip_bfloat16S1_Dv1_fLb0ELi0EEEvPKT_PKT0_PfPimiiif,"axG",@progbits,_ZN5aiter20topk_softplus_kernelI12hip_bfloat16S1_Dv1_fLb0ELi0EEEvPKT_PKT0_PfPimiiif,comdat
.Lfunc_end306:
	.size	_ZN5aiter20topk_softplus_kernelI12hip_bfloat16S1_Dv1_fLb0ELi0EEEvPKT_PKT0_PfPimiiif, .Lfunc_end306-_ZN5aiter20topk_softplus_kernelI12hip_bfloat16S1_Dv1_fLb0ELi0EEEvPKT_PKT0_PfPimiiif
                                        ; -- End function
	.section	.AMDGPU.csdata,"",@progbits
; Kernel info:
; codeLenInByte = 1556
; NumSgprs: 34
; NumVgprs: 18
; NumAgprs: 0
; TotalNumVgprs: 18
; ScratchSize: 0
; MemoryBound: 0
; FloatMode: 240
; IeeeMode: 1
; LDSByteSize: 0 bytes/workgroup (compile time only)
; SGPRBlocks: 4
; VGPRBlocks: 2
; NumSGPRsForWavesPerEU: 34
; NumVGPRsForWavesPerEU: 18
; AccumOffset: 20
; Occupancy: 8
; WaveLimiterHint : 0
; COMPUTE_PGM_RSRC2:SCRATCH_EN: 0
; COMPUTE_PGM_RSRC2:USER_SGPR: 6
; COMPUTE_PGM_RSRC2:TRAP_HANDLER: 0
; COMPUTE_PGM_RSRC2:TGID_X_EN: 1
; COMPUTE_PGM_RSRC2:TGID_Y_EN: 0
; COMPUTE_PGM_RSRC2:TGID_Z_EN: 0
; COMPUTE_PGM_RSRC2:TIDIG_COMP_CNT: 0
; COMPUTE_PGM_RSRC3_GFX90A:ACCUM_OFFSET: 4
; COMPUTE_PGM_RSRC3_GFX90A:TG_SPLIT: 0
	.text
	.p2alignl 6, 3212836864
	.fill 256, 4, 3212836864
	.type	__hip_cuid_4512b0fc89ed4db,@object ; @__hip_cuid_4512b0fc89ed4db
	.section	.bss,"aw",@nobits
	.globl	__hip_cuid_4512b0fc89ed4db
__hip_cuid_4512b0fc89ed4db:
	.byte	0                               ; 0x0
	.size	__hip_cuid_4512b0fc89ed4db, 1

	.ident	"AMD clang version 19.0.0git (https://github.com/RadeonOpenCompute/llvm-project roc-6.4.0 25133 c7fe45cf4b819c5991fe208aaa96edf142730f1d)"
	.section	".note.GNU-stack","",@progbits
	.addrsig
	.addrsig_sym __hip_cuid_4512b0fc89ed4db
	.amdgpu_metadata
---
amdhsa.kernels:
  - .agpr_count:     0
    .args:           []
    .group_segment_fixed_size: 0
    .kernarg_segment_align: 4
    .kernarg_segment_size: 0
    .language:       OpenCL C
    .language_version:
      - 2
      - 0
    .max_flat_workgroup_size: 1024
    .name:           _ZN7ck_tileL11flush_cacheEv
    .private_segment_fixed_size: 0
    .sgpr_count:     4
    .sgpr_spill_count: 0
    .symbol:         _ZN7ck_tileL11flush_cacheEv.kd
    .uniform_work_group_size: 1
    .uses_dynamic_stack: false
    .vgpr_count:     0
    .vgpr_spill_count: 0
    .wavefront_size: 64
  - .agpr_count:     0
    .args:
      - .actual_access:  read_only
        .address_space:  global
        .offset:         0
        .size:           8
        .value_kind:     global_buffer
      - .actual_access:  read_only
        .address_space:  global
        .offset:         8
        .size:           8
        .value_kind:     global_buffer
      - .actual_access:  write_only
        .address_space:  global
        .offset:         16
        .size:           8
        .value_kind:     global_buffer
      - .actual_access:  write_only
        .address_space:  global
        .offset:         24
        .size:           8
        .value_kind:     global_buffer
      - .offset:         32
        .size:           8
        .value_kind:     by_value
      - .offset:         40
        .size:           4
        .value_kind:     by_value
      - .offset:         44
        .size:           4
        .value_kind:     by_value
      - .offset:         48
        .size:           4
        .value_kind:     by_value
    .group_segment_fixed_size: 0
    .kernarg_segment_align: 8
    .kernarg_segment_size: 52
    .language:       OpenCL C
    .language_version:
      - 2
      - 0
    .max_flat_workgroup_size: 1024
    .name:           _ZN5aiter24topk_softplus_kernel_optIffLi64ELb1ELi1EEEvPKT_PKT0_PfPimiif
    .private_segment_fixed_size: 0
    .sgpr_count:     17
    .sgpr_spill_count: 0
    .symbol:         _ZN5aiter24topk_softplus_kernel_optIffLi64ELb1ELi1EEEvPKT_PKT0_PfPimiif.kd
    .uniform_work_group_size: 1
    .uses_dynamic_stack: false
    .vgpr_count:     14
    .vgpr_spill_count: 0
    .wavefront_size: 64
  - .agpr_count:     0
    .args:
      - .actual_access:  read_only
        .address_space:  global
        .offset:         0
        .size:           8
        .value_kind:     global_buffer
      - .actual_access:  read_only
        .address_space:  global
        .offset:         8
        .size:           8
        .value_kind:     global_buffer
      - .actual_access:  write_only
        .address_space:  global
        .offset:         16
        .size:           8
        .value_kind:     global_buffer
      - .actual_access:  write_only
        .address_space:  global
        .offset:         24
        .size:           8
        .value_kind:     global_buffer
      - .offset:         32
        .size:           8
        .value_kind:     by_value
      - .offset:         40
        .size:           4
        .value_kind:     by_value
      - .offset:         44
        .size:           4
        .value_kind:     by_value
      - .offset:         48
        .size:           4
        .value_kind:     by_value
    .group_segment_fixed_size: 0
    .kernarg_segment_align: 8
    .kernarg_segment_size: 52
    .language:       OpenCL C
    .language_version:
      - 2
      - 0
    .max_flat_workgroup_size: 1024
    .name:           _ZN5aiter24topk_softplus_kernel_optIffLi64ELb0ELi1EEEvPKT_PKT0_PfPimiif
    .private_segment_fixed_size: 0
    .sgpr_count:     17
    .sgpr_spill_count: 0
    .symbol:         _ZN5aiter24topk_softplus_kernel_optIffLi64ELb0ELi1EEEvPKT_PKT0_PfPimiif.kd
    .uniform_work_group_size: 1
    .uses_dynamic_stack: false
    .vgpr_count:     13
    .vgpr_spill_count: 0
    .wavefront_size: 64
  - .agpr_count:     0
    .args:
      - .actual_access:  read_only
        .address_space:  global
        .offset:         0
        .size:           8
        .value_kind:     global_buffer
      - .actual_access:  read_only
        .address_space:  global
        .offset:         8
        .size:           8
        .value_kind:     global_buffer
      - .actual_access:  write_only
        .address_space:  global
        .offset:         16
        .size:           8
        .value_kind:     global_buffer
      - .actual_access:  write_only
        .address_space:  global
        .offset:         24
        .size:           8
        .value_kind:     global_buffer
      - .offset:         32
        .size:           8
        .value_kind:     by_value
      - .offset:         40
        .size:           4
        .value_kind:     by_value
      - .offset:         44
        .size:           4
        .value_kind:     by_value
      - .offset:         48
        .size:           4
        .value_kind:     by_value
    .group_segment_fixed_size: 0
    .kernarg_segment_align: 8
    .kernarg_segment_size: 52
    .language:       OpenCL C
    .language_version:
      - 2
      - 0
    .max_flat_workgroup_size: 1024
    .name:           _ZN5aiter24topk_softplus_kernel_optIffLi128ELb1ELi1EEEvPKT_PKT0_PfPimiif
    .private_segment_fixed_size: 0
    .sgpr_count:     17
    .sgpr_spill_count: 0
    .symbol:         _ZN5aiter24topk_softplus_kernel_optIffLi128ELb1ELi1EEEvPKT_PKT0_PfPimiif.kd
    .uniform_work_group_size: 1
    .uses_dynamic_stack: false
    .vgpr_count:     21
    .vgpr_spill_count: 0
    .wavefront_size: 64
  - .agpr_count:     0
    .args:
      - .actual_access:  read_only
        .address_space:  global
        .offset:         0
        .size:           8
        .value_kind:     global_buffer
      - .actual_access:  read_only
        .address_space:  global
        .offset:         8
        .size:           8
        .value_kind:     global_buffer
      - .actual_access:  write_only
        .address_space:  global
        .offset:         16
        .size:           8
        .value_kind:     global_buffer
      - .actual_access:  write_only
        .address_space:  global
        .offset:         24
        .size:           8
        .value_kind:     global_buffer
      - .offset:         32
        .size:           8
        .value_kind:     by_value
      - .offset:         40
        .size:           4
        .value_kind:     by_value
      - .offset:         44
        .size:           4
        .value_kind:     by_value
      - .offset:         48
        .size:           4
        .value_kind:     by_value
    .group_segment_fixed_size: 0
    .kernarg_segment_align: 8
    .kernarg_segment_size: 52
    .language:       OpenCL C
    .language_version:
      - 2
      - 0
    .max_flat_workgroup_size: 1024
    .name:           _ZN5aiter24topk_softplus_kernel_optIffLi128ELb0ELi1EEEvPKT_PKT0_PfPimiif
    .private_segment_fixed_size: 0
    .sgpr_count:     17
    .sgpr_spill_count: 0
    .symbol:         _ZN5aiter24topk_softplus_kernel_optIffLi128ELb0ELi1EEEvPKT_PKT0_PfPimiif.kd
    .uniform_work_group_size: 1
    .uses_dynamic_stack: false
    .vgpr_count:     20
    .vgpr_spill_count: 0
    .wavefront_size: 64
  - .agpr_count:     0
    .args:
      - .actual_access:  read_only
        .address_space:  global
        .offset:         0
        .size:           8
        .value_kind:     global_buffer
      - .actual_access:  read_only
        .address_space:  global
        .offset:         8
        .size:           8
        .value_kind:     global_buffer
      - .actual_access:  write_only
        .address_space:  global
        .offset:         16
        .size:           8
        .value_kind:     global_buffer
      - .actual_access:  write_only
        .address_space:  global
        .offset:         24
        .size:           8
        .value_kind:     global_buffer
      - .offset:         32
        .size:           8
        .value_kind:     by_value
      - .offset:         40
        .size:           4
        .value_kind:     by_value
      - .offset:         44
        .size:           4
        .value_kind:     by_value
      - .offset:         48
        .size:           4
        .value_kind:     by_value
    .group_segment_fixed_size: 0
    .kernarg_segment_align: 8
    .kernarg_segment_size: 52
    .language:       OpenCL C
    .language_version:
      - 2
      - 0
    .max_flat_workgroup_size: 1024
    .name:           _ZN5aiter24topk_softplus_kernel_optIffLi256ELb1ELi1EEEvPKT_PKT0_PfPimiif
    .private_segment_fixed_size: 0
    .sgpr_count:     17
    .sgpr_spill_count: 0
    .symbol:         _ZN5aiter24topk_softplus_kernel_optIffLi256ELb1ELi1EEEvPKT_PKT0_PfPimiif.kd
    .uniform_work_group_size: 1
    .uses_dynamic_stack: false
    .vgpr_count:     27
    .vgpr_spill_count: 0
    .wavefront_size: 64
  - .agpr_count:     0
    .args:
      - .actual_access:  read_only
        .address_space:  global
        .offset:         0
        .size:           8
        .value_kind:     global_buffer
      - .actual_access:  read_only
        .address_space:  global
        .offset:         8
        .size:           8
        .value_kind:     global_buffer
      - .actual_access:  write_only
        .address_space:  global
        .offset:         16
        .size:           8
        .value_kind:     global_buffer
      - .actual_access:  write_only
        .address_space:  global
        .offset:         24
        .size:           8
        .value_kind:     global_buffer
      - .offset:         32
        .size:           8
        .value_kind:     by_value
      - .offset:         40
        .size:           4
        .value_kind:     by_value
      - .offset:         44
        .size:           4
        .value_kind:     by_value
      - .offset:         48
        .size:           4
        .value_kind:     by_value
    .group_segment_fixed_size: 0
    .kernarg_segment_align: 8
    .kernarg_segment_size: 52
    .language:       OpenCL C
    .language_version:
      - 2
      - 0
    .max_flat_workgroup_size: 1024
    .name:           _ZN5aiter24topk_softplus_kernel_optIffLi256ELb0ELi1EEEvPKT_PKT0_PfPimiif
    .private_segment_fixed_size: 0
    .sgpr_count:     17
    .sgpr_spill_count: 0
    .symbol:         _ZN5aiter24topk_softplus_kernel_optIffLi256ELb0ELi1EEEvPKT_PKT0_PfPimiif.kd
    .uniform_work_group_size: 1
    .uses_dynamic_stack: false
    .vgpr_count:     26
    .vgpr_spill_count: 0
    .wavefront_size: 64
  - .agpr_count:     0
    .args:
      - .actual_access:  read_only
        .address_space:  global
        .offset:         0
        .size:           8
        .value_kind:     global_buffer
      - .actual_access:  read_only
        .address_space:  global
        .offset:         8
        .size:           8
        .value_kind:     global_buffer
      - .actual_access:  write_only
        .address_space:  global
        .offset:         16
        .size:           8
        .value_kind:     global_buffer
      - .actual_access:  write_only
        .address_space:  global
        .offset:         24
        .size:           8
        .value_kind:     global_buffer
      - .offset:         32
        .size:           8
        .value_kind:     by_value
      - .offset:         40
        .size:           4
        .value_kind:     by_value
      - .offset:         44
        .size:           4
        .value_kind:     by_value
      - .offset:         48
        .size:           4
        .value_kind:     by_value
    .group_segment_fixed_size: 0
    .kernarg_segment_align: 8
    .kernarg_segment_size: 52
    .language:       OpenCL C
    .language_version:
      - 2
      - 0
    .max_flat_workgroup_size: 1024
    .name:           _ZN5aiter24topk_softplus_kernel_optIffLi384ELb1ELi1EEEvPKT_PKT0_PfPimiif
    .private_segment_fixed_size: 0
    .sgpr_count:     26
    .sgpr_spill_count: 0
    .symbol:         _ZN5aiter24topk_softplus_kernel_optIffLi384ELb1ELi1EEEvPKT_PKT0_PfPimiif.kd
    .uniform_work_group_size: 1
    .uses_dynamic_stack: false
    .vgpr_count:     30
    .vgpr_spill_count: 0
    .wavefront_size: 64
  - .agpr_count:     0
    .args:
      - .actual_access:  read_only
        .address_space:  global
        .offset:         0
        .size:           8
        .value_kind:     global_buffer
      - .actual_access:  read_only
        .address_space:  global
        .offset:         8
        .size:           8
        .value_kind:     global_buffer
      - .actual_access:  write_only
        .address_space:  global
        .offset:         16
        .size:           8
        .value_kind:     global_buffer
      - .actual_access:  write_only
        .address_space:  global
        .offset:         24
        .size:           8
        .value_kind:     global_buffer
      - .offset:         32
        .size:           8
        .value_kind:     by_value
      - .offset:         40
        .size:           4
        .value_kind:     by_value
      - .offset:         44
        .size:           4
        .value_kind:     by_value
      - .offset:         48
        .size:           4
        .value_kind:     by_value
    .group_segment_fixed_size: 0
    .kernarg_segment_align: 8
    .kernarg_segment_size: 52
    .language:       OpenCL C
    .language_version:
      - 2
      - 0
    .max_flat_workgroup_size: 1024
    .name:           _ZN5aiter24topk_softplus_kernel_optIffLi384ELb0ELi1EEEvPKT_PKT0_PfPimiif
    .private_segment_fixed_size: 0
    .sgpr_count:     26
    .sgpr_spill_count: 0
    .symbol:         _ZN5aiter24topk_softplus_kernel_optIffLi384ELb0ELi1EEEvPKT_PKT0_PfPimiif.kd
    .uniform_work_group_size: 1
    .uses_dynamic_stack: false
    .vgpr_count:     29
    .vgpr_spill_count: 0
    .wavefront_size: 64
  - .agpr_count:     0
    .args:
      - .actual_access:  read_only
        .address_space:  global
        .offset:         0
        .size:           8
        .value_kind:     global_buffer
      - .actual_access:  read_only
        .address_space:  global
        .offset:         8
        .size:           8
        .value_kind:     global_buffer
      - .actual_access:  write_only
        .address_space:  global
        .offset:         16
        .size:           8
        .value_kind:     global_buffer
      - .actual_access:  write_only
        .address_space:  global
        .offset:         24
        .size:           8
        .value_kind:     global_buffer
      - .offset:         32
        .size:           8
        .value_kind:     by_value
      - .offset:         40
        .size:           4
        .value_kind:     by_value
      - .offset:         44
        .size:           4
        .value_kind:     by_value
      - .offset:         48
        .size:           4
        .value_kind:     by_value
      - .offset:         52
        .size:           4
        .value_kind:     by_value
      - .offset:         56
        .size:           4
        .value_kind:     hidden_block_count_x
      - .offset:         60
        .size:           4
        .value_kind:     hidden_block_count_y
      - .offset:         64
        .size:           4
        .value_kind:     hidden_block_count_z
      - .offset:         68
        .size:           2
        .value_kind:     hidden_group_size_x
      - .offset:         70
        .size:           2
        .value_kind:     hidden_group_size_y
      - .offset:         72
        .size:           2
        .value_kind:     hidden_group_size_z
      - .offset:         74
        .size:           2
        .value_kind:     hidden_remainder_x
      - .offset:         76
        .size:           2
        .value_kind:     hidden_remainder_y
      - .offset:         78
        .size:           2
        .value_kind:     hidden_remainder_z
      - .offset:         96
        .size:           8
        .value_kind:     hidden_global_offset_x
      - .offset:         104
        .size:           8
        .value_kind:     hidden_global_offset_y
      - .offset:         112
        .size:           8
        .value_kind:     hidden_global_offset_z
      - .offset:         120
        .size:           2
        .value_kind:     hidden_grid_dims
      - .offset:         176
        .size:           4
        .value_kind:     hidden_dynamic_lds_size
    .group_segment_fixed_size: 0
    .kernarg_segment_align: 8
    .kernarg_segment_size: 312
    .language:       OpenCL C
    .language_version:
      - 2
      - 0
    .max_flat_workgroup_size: 1024
    .name:           _ZN5aiter20topk_softplus_kernelIffDv4_fLb1ELi1EEEvPKT_PKT0_PfPimiiif
    .private_segment_fixed_size: 0
    .sgpr_count:     40
    .sgpr_spill_count: 0
    .symbol:         _ZN5aiter20topk_softplus_kernelIffDv4_fLb1ELi1EEEvPKT_PKT0_PfPimiiif.kd
    .uniform_work_group_size: 1
    .uses_dynamic_stack: false
    .vgpr_count:     20
    .vgpr_spill_count: 0
    .wavefront_size: 64
  - .agpr_count:     0
    .args:
      - .actual_access:  read_only
        .address_space:  global
        .offset:         0
        .size:           8
        .value_kind:     global_buffer
      - .actual_access:  read_only
        .address_space:  global
        .offset:         8
        .size:           8
        .value_kind:     global_buffer
      - .actual_access:  write_only
        .address_space:  global
        .offset:         16
        .size:           8
        .value_kind:     global_buffer
      - .actual_access:  write_only
        .address_space:  global
        .offset:         24
        .size:           8
        .value_kind:     global_buffer
      - .offset:         32
        .size:           8
        .value_kind:     by_value
      - .offset:         40
        .size:           4
        .value_kind:     by_value
      - .offset:         44
        .size:           4
        .value_kind:     by_value
      - .offset:         48
        .size:           4
        .value_kind:     by_value
      - .offset:         52
        .size:           4
        .value_kind:     by_value
      - .offset:         56
        .size:           4
        .value_kind:     hidden_block_count_x
      - .offset:         60
        .size:           4
        .value_kind:     hidden_block_count_y
      - .offset:         64
        .size:           4
        .value_kind:     hidden_block_count_z
      - .offset:         68
        .size:           2
        .value_kind:     hidden_group_size_x
      - .offset:         70
        .size:           2
        .value_kind:     hidden_group_size_y
      - .offset:         72
        .size:           2
        .value_kind:     hidden_group_size_z
      - .offset:         74
        .size:           2
        .value_kind:     hidden_remainder_x
      - .offset:         76
        .size:           2
        .value_kind:     hidden_remainder_y
      - .offset:         78
        .size:           2
        .value_kind:     hidden_remainder_z
      - .offset:         96
        .size:           8
        .value_kind:     hidden_global_offset_x
      - .offset:         104
        .size:           8
        .value_kind:     hidden_global_offset_y
      - .offset:         112
        .size:           8
        .value_kind:     hidden_global_offset_z
      - .offset:         120
        .size:           2
        .value_kind:     hidden_grid_dims
      - .offset:         176
        .size:           4
        .value_kind:     hidden_dynamic_lds_size
    .group_segment_fixed_size: 0
    .kernarg_segment_align: 8
    .kernarg_segment_size: 312
    .language:       OpenCL C
    .language_version:
      - 2
      - 0
    .max_flat_workgroup_size: 1024
    .name:           _ZN5aiter20topk_softplus_kernelIffDv4_fLb0ELi1EEEvPKT_PKT0_PfPimiiif
    .private_segment_fixed_size: 0
    .sgpr_count:     40
    .sgpr_spill_count: 0
    .symbol:         _ZN5aiter20topk_softplus_kernelIffDv4_fLb0ELi1EEEvPKT_PKT0_PfPimiiif.kd
    .uniform_work_group_size: 1
    .uses_dynamic_stack: false
    .vgpr_count:     19
    .vgpr_spill_count: 0
    .wavefront_size: 64
  - .agpr_count:     0
    .args:
      - .actual_access:  read_only
        .address_space:  global
        .offset:         0
        .size:           8
        .value_kind:     global_buffer
      - .actual_access:  read_only
        .address_space:  global
        .offset:         8
        .size:           8
        .value_kind:     global_buffer
      - .actual_access:  write_only
        .address_space:  global
        .offset:         16
        .size:           8
        .value_kind:     global_buffer
      - .actual_access:  write_only
        .address_space:  global
        .offset:         24
        .size:           8
        .value_kind:     global_buffer
      - .offset:         32
        .size:           8
        .value_kind:     by_value
      - .offset:         40
        .size:           4
        .value_kind:     by_value
      - .offset:         44
        .size:           4
        .value_kind:     by_value
      - .offset:         48
        .size:           4
        .value_kind:     by_value
      - .offset:         52
        .size:           4
        .value_kind:     by_value
      - .offset:         56
        .size:           4
        .value_kind:     hidden_block_count_x
      - .offset:         60
        .size:           4
        .value_kind:     hidden_block_count_y
      - .offset:         64
        .size:           4
        .value_kind:     hidden_block_count_z
      - .offset:         68
        .size:           2
        .value_kind:     hidden_group_size_x
      - .offset:         70
        .size:           2
        .value_kind:     hidden_group_size_y
      - .offset:         72
        .size:           2
        .value_kind:     hidden_group_size_z
      - .offset:         74
        .size:           2
        .value_kind:     hidden_remainder_x
      - .offset:         76
        .size:           2
        .value_kind:     hidden_remainder_y
      - .offset:         78
        .size:           2
        .value_kind:     hidden_remainder_z
      - .offset:         96
        .size:           8
        .value_kind:     hidden_global_offset_x
      - .offset:         104
        .size:           8
        .value_kind:     hidden_global_offset_y
      - .offset:         112
        .size:           8
        .value_kind:     hidden_global_offset_z
      - .offset:         120
        .size:           2
        .value_kind:     hidden_grid_dims
      - .offset:         176
        .size:           4
        .value_kind:     hidden_dynamic_lds_size
    .group_segment_fixed_size: 0
    .kernarg_segment_align: 8
    .kernarg_segment_size: 312
    .language:       OpenCL C
    .language_version:
      - 2
      - 0
    .max_flat_workgroup_size: 1024
    .name:           _ZN5aiter20topk_softplus_kernelIffDv2_fLb1ELi1EEEvPKT_PKT0_PfPimiiif
    .private_segment_fixed_size: 0
    .sgpr_count:     30
    .sgpr_spill_count: 0
    .symbol:         _ZN5aiter20topk_softplus_kernelIffDv2_fLb1ELi1EEEvPKT_PKT0_PfPimiiif.kd
    .uniform_work_group_size: 1
    .uses_dynamic_stack: false
    .vgpr_count:     16
    .vgpr_spill_count: 0
    .wavefront_size: 64
  - .agpr_count:     0
    .args:
      - .actual_access:  read_only
        .address_space:  global
        .offset:         0
        .size:           8
        .value_kind:     global_buffer
      - .actual_access:  read_only
        .address_space:  global
        .offset:         8
        .size:           8
        .value_kind:     global_buffer
      - .actual_access:  write_only
        .address_space:  global
        .offset:         16
        .size:           8
        .value_kind:     global_buffer
      - .actual_access:  write_only
        .address_space:  global
        .offset:         24
        .size:           8
        .value_kind:     global_buffer
      - .offset:         32
        .size:           8
        .value_kind:     by_value
      - .offset:         40
        .size:           4
        .value_kind:     by_value
      - .offset:         44
        .size:           4
        .value_kind:     by_value
      - .offset:         48
        .size:           4
        .value_kind:     by_value
      - .offset:         52
        .size:           4
        .value_kind:     by_value
      - .offset:         56
        .size:           4
        .value_kind:     hidden_block_count_x
      - .offset:         60
        .size:           4
        .value_kind:     hidden_block_count_y
      - .offset:         64
        .size:           4
        .value_kind:     hidden_block_count_z
      - .offset:         68
        .size:           2
        .value_kind:     hidden_group_size_x
      - .offset:         70
        .size:           2
        .value_kind:     hidden_group_size_y
      - .offset:         72
        .size:           2
        .value_kind:     hidden_group_size_z
      - .offset:         74
        .size:           2
        .value_kind:     hidden_remainder_x
      - .offset:         76
        .size:           2
        .value_kind:     hidden_remainder_y
      - .offset:         78
        .size:           2
        .value_kind:     hidden_remainder_z
      - .offset:         96
        .size:           8
        .value_kind:     hidden_global_offset_x
      - .offset:         104
        .size:           8
        .value_kind:     hidden_global_offset_y
      - .offset:         112
        .size:           8
        .value_kind:     hidden_global_offset_z
      - .offset:         120
        .size:           2
        .value_kind:     hidden_grid_dims
      - .offset:         176
        .size:           4
        .value_kind:     hidden_dynamic_lds_size
    .group_segment_fixed_size: 0
    .kernarg_segment_align: 8
    .kernarg_segment_size: 312
    .language:       OpenCL C
    .language_version:
      - 2
      - 0
    .max_flat_workgroup_size: 1024
    .name:           _ZN5aiter20topk_softplus_kernelIffDv2_fLb0ELi1EEEvPKT_PKT0_PfPimiiif
    .private_segment_fixed_size: 0
    .sgpr_count:     30
    .sgpr_spill_count: 0
    .symbol:         _ZN5aiter20topk_softplus_kernelIffDv2_fLb0ELi1EEEvPKT_PKT0_PfPimiiif.kd
    .uniform_work_group_size: 1
    .uses_dynamic_stack: false
    .vgpr_count:     15
    .vgpr_spill_count: 0
    .wavefront_size: 64
  - .agpr_count:     0
    .args:
      - .actual_access:  read_only
        .address_space:  global
        .offset:         0
        .size:           8
        .value_kind:     global_buffer
      - .actual_access:  read_only
        .address_space:  global
        .offset:         8
        .size:           8
        .value_kind:     global_buffer
      - .actual_access:  write_only
        .address_space:  global
        .offset:         16
        .size:           8
        .value_kind:     global_buffer
      - .actual_access:  write_only
        .address_space:  global
        .offset:         24
        .size:           8
        .value_kind:     global_buffer
      - .offset:         32
        .size:           8
        .value_kind:     by_value
      - .offset:         40
        .size:           4
        .value_kind:     by_value
      - .offset:         44
        .size:           4
        .value_kind:     by_value
      - .offset:         48
        .size:           4
        .value_kind:     by_value
      - .offset:         52
        .size:           4
        .value_kind:     by_value
      - .offset:         56
        .size:           4
        .value_kind:     hidden_block_count_x
      - .offset:         60
        .size:           4
        .value_kind:     hidden_block_count_y
      - .offset:         64
        .size:           4
        .value_kind:     hidden_block_count_z
      - .offset:         68
        .size:           2
        .value_kind:     hidden_group_size_x
      - .offset:         70
        .size:           2
        .value_kind:     hidden_group_size_y
      - .offset:         72
        .size:           2
        .value_kind:     hidden_group_size_z
      - .offset:         74
        .size:           2
        .value_kind:     hidden_remainder_x
      - .offset:         76
        .size:           2
        .value_kind:     hidden_remainder_y
      - .offset:         78
        .size:           2
        .value_kind:     hidden_remainder_z
      - .offset:         96
        .size:           8
        .value_kind:     hidden_global_offset_x
      - .offset:         104
        .size:           8
        .value_kind:     hidden_global_offset_y
      - .offset:         112
        .size:           8
        .value_kind:     hidden_global_offset_z
      - .offset:         120
        .size:           2
        .value_kind:     hidden_grid_dims
      - .offset:         176
        .size:           4
        .value_kind:     hidden_dynamic_lds_size
    .group_segment_fixed_size: 0
    .kernarg_segment_align: 8
    .kernarg_segment_size: 312
    .language:       OpenCL C
    .language_version:
      - 2
      - 0
    .max_flat_workgroup_size: 1024
    .name:           _ZN5aiter20topk_softplus_kernelIffDv1_fLb1ELi1EEEvPKT_PKT0_PfPimiiif
    .private_segment_fixed_size: 0
    .sgpr_count:     28
    .sgpr_spill_count: 0
    .symbol:         _ZN5aiter20topk_softplus_kernelIffDv1_fLb1ELi1EEEvPKT_PKT0_PfPimiiif.kd
    .uniform_work_group_size: 1
    .uses_dynamic_stack: false
    .vgpr_count:     12
    .vgpr_spill_count: 0
    .wavefront_size: 64
  - .agpr_count:     0
    .args:
      - .actual_access:  read_only
        .address_space:  global
        .offset:         0
        .size:           8
        .value_kind:     global_buffer
      - .actual_access:  read_only
        .address_space:  global
        .offset:         8
        .size:           8
        .value_kind:     global_buffer
      - .actual_access:  write_only
        .address_space:  global
        .offset:         16
        .size:           8
        .value_kind:     global_buffer
      - .actual_access:  write_only
        .address_space:  global
        .offset:         24
        .size:           8
        .value_kind:     global_buffer
      - .offset:         32
        .size:           8
        .value_kind:     by_value
      - .offset:         40
        .size:           4
        .value_kind:     by_value
      - .offset:         44
        .size:           4
        .value_kind:     by_value
      - .offset:         48
        .size:           4
        .value_kind:     by_value
      - .offset:         52
        .size:           4
        .value_kind:     by_value
      - .offset:         56
        .size:           4
        .value_kind:     hidden_block_count_x
      - .offset:         60
        .size:           4
        .value_kind:     hidden_block_count_y
      - .offset:         64
        .size:           4
        .value_kind:     hidden_block_count_z
      - .offset:         68
        .size:           2
        .value_kind:     hidden_group_size_x
      - .offset:         70
        .size:           2
        .value_kind:     hidden_group_size_y
      - .offset:         72
        .size:           2
        .value_kind:     hidden_group_size_z
      - .offset:         74
        .size:           2
        .value_kind:     hidden_remainder_x
      - .offset:         76
        .size:           2
        .value_kind:     hidden_remainder_y
      - .offset:         78
        .size:           2
        .value_kind:     hidden_remainder_z
      - .offset:         96
        .size:           8
        .value_kind:     hidden_global_offset_x
      - .offset:         104
        .size:           8
        .value_kind:     hidden_global_offset_y
      - .offset:         112
        .size:           8
        .value_kind:     hidden_global_offset_z
      - .offset:         120
        .size:           2
        .value_kind:     hidden_grid_dims
      - .offset:         176
        .size:           4
        .value_kind:     hidden_dynamic_lds_size
    .group_segment_fixed_size: 0
    .kernarg_segment_align: 8
    .kernarg_segment_size: 312
    .language:       OpenCL C
    .language_version:
      - 2
      - 0
    .max_flat_workgroup_size: 1024
    .name:           _ZN5aiter20topk_softplus_kernelIffDv1_fLb0ELi1EEEvPKT_PKT0_PfPimiiif
    .private_segment_fixed_size: 0
    .sgpr_count:     28
    .sgpr_spill_count: 0
    .symbol:         _ZN5aiter20topk_softplus_kernelIffDv1_fLb0ELi1EEEvPKT_PKT0_PfPimiiif.kd
    .uniform_work_group_size: 1
    .uses_dynamic_stack: false
    .vgpr_count:     12
    .vgpr_spill_count: 0
    .wavefront_size: 64
  - .agpr_count:     0
    .args:
      - .actual_access:  read_only
        .address_space:  global
        .offset:         0
        .size:           8
        .value_kind:     global_buffer
      - .actual_access:  read_only
        .address_space:  global
        .offset:         8
        .size:           8
        .value_kind:     global_buffer
      - .actual_access:  write_only
        .address_space:  global
        .offset:         16
        .size:           8
        .value_kind:     global_buffer
      - .actual_access:  write_only
        .address_space:  global
        .offset:         24
        .size:           8
        .value_kind:     global_buffer
      - .offset:         32
        .size:           8
        .value_kind:     by_value
      - .offset:         40
        .size:           4
        .value_kind:     by_value
      - .offset:         44
        .size:           4
        .value_kind:     by_value
      - .offset:         48
        .size:           4
        .value_kind:     by_value
      - .offset:         52
        .size:           4
        .value_kind:     by_value
      - .offset:         56
        .size:           4
        .value_kind:     hidden_block_count_x
      - .offset:         60
        .size:           4
        .value_kind:     hidden_block_count_y
      - .offset:         64
        .size:           4
        .value_kind:     hidden_block_count_z
      - .offset:         68
        .size:           2
        .value_kind:     hidden_group_size_x
      - .offset:         70
        .size:           2
        .value_kind:     hidden_group_size_y
      - .offset:         72
        .size:           2
        .value_kind:     hidden_group_size_z
      - .offset:         74
        .size:           2
        .value_kind:     hidden_remainder_x
      - .offset:         76
        .size:           2
        .value_kind:     hidden_remainder_y
      - .offset:         78
        .size:           2
        .value_kind:     hidden_remainder_z
      - .offset:         96
        .size:           8
        .value_kind:     hidden_global_offset_x
      - .offset:         104
        .size:           8
        .value_kind:     hidden_global_offset_y
      - .offset:         112
        .size:           8
        .value_kind:     hidden_global_offset_z
      - .offset:         120
        .size:           2
        .value_kind:     hidden_grid_dims
      - .offset:         176
        .size:           4
        .value_kind:     hidden_dynamic_lds_size
    .group_segment_fixed_size: 0
    .kernarg_segment_align: 8
    .kernarg_segment_size: 312
    .language:       OpenCL C
    .language_version:
      - 2
      - 0
    .max_flat_workgroup_size: 1024
    .name:           _ZN5aiter20topk_softplus_kernelIffDv4_fLb1ELi2EEEvPKT_PKT0_PfPimiiif
    .private_segment_fixed_size: 0
    .sgpr_count:     29
    .sgpr_spill_count: 0
    .symbol:         _ZN5aiter20topk_softplus_kernelIffDv4_fLb1ELi2EEEvPKT_PKT0_PfPimiiif.kd
    .uniform_work_group_size: 1
    .uses_dynamic_stack: false
    .vgpr_count:     20
    .vgpr_spill_count: 0
    .wavefront_size: 64
  - .agpr_count:     0
    .args:
      - .actual_access:  read_only
        .address_space:  global
        .offset:         0
        .size:           8
        .value_kind:     global_buffer
      - .actual_access:  read_only
        .address_space:  global
        .offset:         8
        .size:           8
        .value_kind:     global_buffer
      - .actual_access:  write_only
        .address_space:  global
        .offset:         16
        .size:           8
        .value_kind:     global_buffer
      - .actual_access:  write_only
        .address_space:  global
        .offset:         24
        .size:           8
        .value_kind:     global_buffer
      - .offset:         32
        .size:           8
        .value_kind:     by_value
      - .offset:         40
        .size:           4
        .value_kind:     by_value
      - .offset:         44
        .size:           4
        .value_kind:     by_value
      - .offset:         48
        .size:           4
        .value_kind:     by_value
      - .offset:         52
        .size:           4
        .value_kind:     by_value
      - .offset:         56
        .size:           4
        .value_kind:     hidden_block_count_x
      - .offset:         60
        .size:           4
        .value_kind:     hidden_block_count_y
      - .offset:         64
        .size:           4
        .value_kind:     hidden_block_count_z
      - .offset:         68
        .size:           2
        .value_kind:     hidden_group_size_x
      - .offset:         70
        .size:           2
        .value_kind:     hidden_group_size_y
      - .offset:         72
        .size:           2
        .value_kind:     hidden_group_size_z
      - .offset:         74
        .size:           2
        .value_kind:     hidden_remainder_x
      - .offset:         76
        .size:           2
        .value_kind:     hidden_remainder_y
      - .offset:         78
        .size:           2
        .value_kind:     hidden_remainder_z
      - .offset:         96
        .size:           8
        .value_kind:     hidden_global_offset_x
      - .offset:         104
        .size:           8
        .value_kind:     hidden_global_offset_y
      - .offset:         112
        .size:           8
        .value_kind:     hidden_global_offset_z
      - .offset:         120
        .size:           2
        .value_kind:     hidden_grid_dims
      - .offset:         176
        .size:           4
        .value_kind:     hidden_dynamic_lds_size
    .group_segment_fixed_size: 0
    .kernarg_segment_align: 8
    .kernarg_segment_size: 312
    .language:       OpenCL C
    .language_version:
      - 2
      - 0
    .max_flat_workgroup_size: 1024
    .name:           _ZN5aiter20topk_softplus_kernelIffDv4_fLb0ELi2EEEvPKT_PKT0_PfPimiiif
    .private_segment_fixed_size: 0
    .sgpr_count:     29
    .sgpr_spill_count: 0
    .symbol:         _ZN5aiter20topk_softplus_kernelIffDv4_fLb0ELi2EEEvPKT_PKT0_PfPimiiif.kd
    .uniform_work_group_size: 1
    .uses_dynamic_stack: false
    .vgpr_count:     19
    .vgpr_spill_count: 0
    .wavefront_size: 64
  - .agpr_count:     0
    .args:
      - .actual_access:  read_only
        .address_space:  global
        .offset:         0
        .size:           8
        .value_kind:     global_buffer
      - .actual_access:  read_only
        .address_space:  global
        .offset:         8
        .size:           8
        .value_kind:     global_buffer
      - .actual_access:  write_only
        .address_space:  global
        .offset:         16
        .size:           8
        .value_kind:     global_buffer
      - .actual_access:  write_only
        .address_space:  global
        .offset:         24
        .size:           8
        .value_kind:     global_buffer
      - .offset:         32
        .size:           8
        .value_kind:     by_value
      - .offset:         40
        .size:           4
        .value_kind:     by_value
      - .offset:         44
        .size:           4
        .value_kind:     by_value
      - .offset:         48
        .size:           4
        .value_kind:     by_value
      - .offset:         52
        .size:           4
        .value_kind:     by_value
      - .offset:         56
        .size:           4
        .value_kind:     hidden_block_count_x
      - .offset:         60
        .size:           4
        .value_kind:     hidden_block_count_y
      - .offset:         64
        .size:           4
        .value_kind:     hidden_block_count_z
      - .offset:         68
        .size:           2
        .value_kind:     hidden_group_size_x
      - .offset:         70
        .size:           2
        .value_kind:     hidden_group_size_y
      - .offset:         72
        .size:           2
        .value_kind:     hidden_group_size_z
      - .offset:         74
        .size:           2
        .value_kind:     hidden_remainder_x
      - .offset:         76
        .size:           2
        .value_kind:     hidden_remainder_y
      - .offset:         78
        .size:           2
        .value_kind:     hidden_remainder_z
      - .offset:         96
        .size:           8
        .value_kind:     hidden_global_offset_x
      - .offset:         104
        .size:           8
        .value_kind:     hidden_global_offset_y
      - .offset:         112
        .size:           8
        .value_kind:     hidden_global_offset_z
      - .offset:         120
        .size:           2
        .value_kind:     hidden_grid_dims
      - .offset:         176
        .size:           4
        .value_kind:     hidden_dynamic_lds_size
    .group_segment_fixed_size: 0
    .kernarg_segment_align: 8
    .kernarg_segment_size: 312
    .language:       OpenCL C
    .language_version:
      - 2
      - 0
    .max_flat_workgroup_size: 1024
    .name:           _ZN5aiter20topk_softplus_kernelIffDv2_fLb1ELi2EEEvPKT_PKT0_PfPimiiif
    .private_segment_fixed_size: 0
    .sgpr_count:     29
    .sgpr_spill_count: 0
    .symbol:         _ZN5aiter20topk_softplus_kernelIffDv2_fLb1ELi2EEEvPKT_PKT0_PfPimiiif.kd
    .uniform_work_group_size: 1
    .uses_dynamic_stack: false
    .vgpr_count:     16
    .vgpr_spill_count: 0
    .wavefront_size: 64
  - .agpr_count:     0
    .args:
      - .actual_access:  read_only
        .address_space:  global
        .offset:         0
        .size:           8
        .value_kind:     global_buffer
      - .actual_access:  read_only
        .address_space:  global
        .offset:         8
        .size:           8
        .value_kind:     global_buffer
      - .actual_access:  write_only
        .address_space:  global
        .offset:         16
        .size:           8
        .value_kind:     global_buffer
      - .actual_access:  write_only
        .address_space:  global
        .offset:         24
        .size:           8
        .value_kind:     global_buffer
      - .offset:         32
        .size:           8
        .value_kind:     by_value
      - .offset:         40
        .size:           4
        .value_kind:     by_value
      - .offset:         44
        .size:           4
        .value_kind:     by_value
      - .offset:         48
        .size:           4
        .value_kind:     by_value
      - .offset:         52
        .size:           4
        .value_kind:     by_value
      - .offset:         56
        .size:           4
        .value_kind:     hidden_block_count_x
      - .offset:         60
        .size:           4
        .value_kind:     hidden_block_count_y
      - .offset:         64
        .size:           4
        .value_kind:     hidden_block_count_z
      - .offset:         68
        .size:           2
        .value_kind:     hidden_group_size_x
      - .offset:         70
        .size:           2
        .value_kind:     hidden_group_size_y
      - .offset:         72
        .size:           2
        .value_kind:     hidden_group_size_z
      - .offset:         74
        .size:           2
        .value_kind:     hidden_remainder_x
      - .offset:         76
        .size:           2
        .value_kind:     hidden_remainder_y
      - .offset:         78
        .size:           2
        .value_kind:     hidden_remainder_z
      - .offset:         96
        .size:           8
        .value_kind:     hidden_global_offset_x
      - .offset:         104
        .size:           8
        .value_kind:     hidden_global_offset_y
      - .offset:         112
        .size:           8
        .value_kind:     hidden_global_offset_z
      - .offset:         120
        .size:           2
        .value_kind:     hidden_grid_dims
      - .offset:         176
        .size:           4
        .value_kind:     hidden_dynamic_lds_size
    .group_segment_fixed_size: 0
    .kernarg_segment_align: 8
    .kernarg_segment_size: 312
    .language:       OpenCL C
    .language_version:
      - 2
      - 0
    .max_flat_workgroup_size: 1024
    .name:           _ZN5aiter20topk_softplus_kernelIffDv2_fLb0ELi2EEEvPKT_PKT0_PfPimiiif
    .private_segment_fixed_size: 0
    .sgpr_count:     29
    .sgpr_spill_count: 0
    .symbol:         _ZN5aiter20topk_softplus_kernelIffDv2_fLb0ELi2EEEvPKT_PKT0_PfPimiiif.kd
    .uniform_work_group_size: 1
    .uses_dynamic_stack: false
    .vgpr_count:     15
    .vgpr_spill_count: 0
    .wavefront_size: 64
  - .agpr_count:     0
    .args:
      - .actual_access:  read_only
        .address_space:  global
        .offset:         0
        .size:           8
        .value_kind:     global_buffer
      - .actual_access:  read_only
        .address_space:  global
        .offset:         8
        .size:           8
        .value_kind:     global_buffer
      - .actual_access:  write_only
        .address_space:  global
        .offset:         16
        .size:           8
        .value_kind:     global_buffer
      - .actual_access:  write_only
        .address_space:  global
        .offset:         24
        .size:           8
        .value_kind:     global_buffer
      - .offset:         32
        .size:           8
        .value_kind:     by_value
      - .offset:         40
        .size:           4
        .value_kind:     by_value
      - .offset:         44
        .size:           4
        .value_kind:     by_value
      - .offset:         48
        .size:           4
        .value_kind:     by_value
      - .offset:         52
        .size:           4
        .value_kind:     by_value
      - .offset:         56
        .size:           4
        .value_kind:     hidden_block_count_x
      - .offset:         60
        .size:           4
        .value_kind:     hidden_block_count_y
      - .offset:         64
        .size:           4
        .value_kind:     hidden_block_count_z
      - .offset:         68
        .size:           2
        .value_kind:     hidden_group_size_x
      - .offset:         70
        .size:           2
        .value_kind:     hidden_group_size_y
      - .offset:         72
        .size:           2
        .value_kind:     hidden_group_size_z
      - .offset:         74
        .size:           2
        .value_kind:     hidden_remainder_x
      - .offset:         76
        .size:           2
        .value_kind:     hidden_remainder_y
      - .offset:         78
        .size:           2
        .value_kind:     hidden_remainder_z
      - .offset:         96
        .size:           8
        .value_kind:     hidden_global_offset_x
      - .offset:         104
        .size:           8
        .value_kind:     hidden_global_offset_y
      - .offset:         112
        .size:           8
        .value_kind:     hidden_global_offset_z
      - .offset:         120
        .size:           2
        .value_kind:     hidden_grid_dims
      - .offset:         176
        .size:           4
        .value_kind:     hidden_dynamic_lds_size
    .group_segment_fixed_size: 0
    .kernarg_segment_align: 8
    .kernarg_segment_size: 312
    .language:       OpenCL C
    .language_version:
      - 2
      - 0
    .max_flat_workgroup_size: 1024
    .name:           _ZN5aiter20topk_softplus_kernelIffDv1_fLb1ELi2EEEvPKT_PKT0_PfPimiiif
    .private_segment_fixed_size: 0
    .sgpr_count:     28
    .sgpr_spill_count: 0
    .symbol:         _ZN5aiter20topk_softplus_kernelIffDv1_fLb1ELi2EEEvPKT_PKT0_PfPimiiif.kd
    .uniform_work_group_size: 1
    .uses_dynamic_stack: false
    .vgpr_count:     12
    .vgpr_spill_count: 0
    .wavefront_size: 64
  - .agpr_count:     0
    .args:
      - .actual_access:  read_only
        .address_space:  global
        .offset:         0
        .size:           8
        .value_kind:     global_buffer
      - .actual_access:  read_only
        .address_space:  global
        .offset:         8
        .size:           8
        .value_kind:     global_buffer
      - .actual_access:  write_only
        .address_space:  global
        .offset:         16
        .size:           8
        .value_kind:     global_buffer
      - .actual_access:  write_only
        .address_space:  global
        .offset:         24
        .size:           8
        .value_kind:     global_buffer
      - .offset:         32
        .size:           8
        .value_kind:     by_value
      - .offset:         40
        .size:           4
        .value_kind:     by_value
      - .offset:         44
        .size:           4
        .value_kind:     by_value
      - .offset:         48
        .size:           4
        .value_kind:     by_value
      - .offset:         52
        .size:           4
        .value_kind:     by_value
      - .offset:         56
        .size:           4
        .value_kind:     hidden_block_count_x
      - .offset:         60
        .size:           4
        .value_kind:     hidden_block_count_y
      - .offset:         64
        .size:           4
        .value_kind:     hidden_block_count_z
      - .offset:         68
        .size:           2
        .value_kind:     hidden_group_size_x
      - .offset:         70
        .size:           2
        .value_kind:     hidden_group_size_y
      - .offset:         72
        .size:           2
        .value_kind:     hidden_group_size_z
      - .offset:         74
        .size:           2
        .value_kind:     hidden_remainder_x
      - .offset:         76
        .size:           2
        .value_kind:     hidden_remainder_y
      - .offset:         78
        .size:           2
        .value_kind:     hidden_remainder_z
      - .offset:         96
        .size:           8
        .value_kind:     hidden_global_offset_x
      - .offset:         104
        .size:           8
        .value_kind:     hidden_global_offset_y
      - .offset:         112
        .size:           8
        .value_kind:     hidden_global_offset_z
      - .offset:         120
        .size:           2
        .value_kind:     hidden_grid_dims
      - .offset:         176
        .size:           4
        .value_kind:     hidden_dynamic_lds_size
    .group_segment_fixed_size: 0
    .kernarg_segment_align: 8
    .kernarg_segment_size: 312
    .language:       OpenCL C
    .language_version:
      - 2
      - 0
    .max_flat_workgroup_size: 1024
    .name:           _ZN5aiter20topk_softplus_kernelIffDv1_fLb0ELi2EEEvPKT_PKT0_PfPimiiif
    .private_segment_fixed_size: 0
    .sgpr_count:     28
    .sgpr_spill_count: 0
    .symbol:         _ZN5aiter20topk_softplus_kernelIffDv1_fLb0ELi2EEEvPKT_PKT0_PfPimiiif.kd
    .uniform_work_group_size: 1
    .uses_dynamic_stack: false
    .vgpr_count:     12
    .vgpr_spill_count: 0
    .wavefront_size: 64
  - .agpr_count:     0
    .args:
      - .actual_access:  read_only
        .address_space:  global
        .offset:         0
        .size:           8
        .value_kind:     global_buffer
      - .actual_access:  read_only
        .address_space:  global
        .offset:         8
        .size:           8
        .value_kind:     global_buffer
      - .actual_access:  write_only
        .address_space:  global
        .offset:         16
        .size:           8
        .value_kind:     global_buffer
      - .actual_access:  write_only
        .address_space:  global
        .offset:         24
        .size:           8
        .value_kind:     global_buffer
      - .offset:         32
        .size:           8
        .value_kind:     by_value
      - .offset:         40
        .size:           4
        .value_kind:     by_value
      - .offset:         44
        .size:           4
        .value_kind:     by_value
      - .offset:         48
        .size:           4
        .value_kind:     by_value
    .group_segment_fixed_size: 0
    .kernarg_segment_align: 8
    .kernarg_segment_size: 52
    .language:       OpenCL C
    .language_version:
      - 2
      - 0
    .max_flat_workgroup_size: 1024
    .name:           _ZN5aiter24topk_softplus_kernel_optIffLi64ELb1ELi0EEEvPKT_PKT0_PfPimiif
    .private_segment_fixed_size: 0
    .sgpr_count:     17
    .sgpr_spill_count: 0
    .symbol:         _ZN5aiter24topk_softplus_kernel_optIffLi64ELb1ELi0EEEvPKT_PKT0_PfPimiif.kd
    .uniform_work_group_size: 1
    .uses_dynamic_stack: false
    .vgpr_count:     14
    .vgpr_spill_count: 0
    .wavefront_size: 64
  - .agpr_count:     0
    .args:
      - .actual_access:  read_only
        .address_space:  global
        .offset:         0
        .size:           8
        .value_kind:     global_buffer
      - .actual_access:  read_only
        .address_space:  global
        .offset:         8
        .size:           8
        .value_kind:     global_buffer
      - .actual_access:  write_only
        .address_space:  global
        .offset:         16
        .size:           8
        .value_kind:     global_buffer
      - .actual_access:  write_only
        .address_space:  global
        .offset:         24
        .size:           8
        .value_kind:     global_buffer
      - .offset:         32
        .size:           8
        .value_kind:     by_value
      - .offset:         40
        .size:           4
        .value_kind:     by_value
      - .offset:         44
        .size:           4
        .value_kind:     by_value
      - .offset:         48
        .size:           4
        .value_kind:     by_value
    .group_segment_fixed_size: 0
    .kernarg_segment_align: 8
    .kernarg_segment_size: 52
    .language:       OpenCL C
    .language_version:
      - 2
      - 0
    .max_flat_workgroup_size: 1024
    .name:           _ZN5aiter24topk_softplus_kernel_optIffLi64ELb0ELi0EEEvPKT_PKT0_PfPimiif
    .private_segment_fixed_size: 0
    .sgpr_count:     17
    .sgpr_spill_count: 0
    .symbol:         _ZN5aiter24topk_softplus_kernel_optIffLi64ELb0ELi0EEEvPKT_PKT0_PfPimiif.kd
    .uniform_work_group_size: 1
    .uses_dynamic_stack: false
    .vgpr_count:     13
    .vgpr_spill_count: 0
    .wavefront_size: 64
  - .agpr_count:     0
    .args:
      - .actual_access:  read_only
        .address_space:  global
        .offset:         0
        .size:           8
        .value_kind:     global_buffer
      - .actual_access:  read_only
        .address_space:  global
        .offset:         8
        .size:           8
        .value_kind:     global_buffer
      - .actual_access:  write_only
        .address_space:  global
        .offset:         16
        .size:           8
        .value_kind:     global_buffer
      - .actual_access:  write_only
        .address_space:  global
        .offset:         24
        .size:           8
        .value_kind:     global_buffer
      - .offset:         32
        .size:           8
        .value_kind:     by_value
      - .offset:         40
        .size:           4
        .value_kind:     by_value
      - .offset:         44
        .size:           4
        .value_kind:     by_value
      - .offset:         48
        .size:           4
        .value_kind:     by_value
    .group_segment_fixed_size: 0
    .kernarg_segment_align: 8
    .kernarg_segment_size: 52
    .language:       OpenCL C
    .language_version:
      - 2
      - 0
    .max_flat_workgroup_size: 1024
    .name:           _ZN5aiter24topk_softplus_kernel_optIffLi128ELb1ELi0EEEvPKT_PKT0_PfPimiif
    .private_segment_fixed_size: 0
    .sgpr_count:     19
    .sgpr_spill_count: 0
    .symbol:         _ZN5aiter24topk_softplus_kernel_optIffLi128ELb1ELi0EEEvPKT_PKT0_PfPimiif.kd
    .uniform_work_group_size: 1
    .uses_dynamic_stack: false
    .vgpr_count:     21
    .vgpr_spill_count: 0
    .wavefront_size: 64
  - .agpr_count:     0
    .args:
      - .actual_access:  read_only
        .address_space:  global
        .offset:         0
        .size:           8
        .value_kind:     global_buffer
      - .actual_access:  read_only
        .address_space:  global
        .offset:         8
        .size:           8
        .value_kind:     global_buffer
      - .actual_access:  write_only
        .address_space:  global
        .offset:         16
        .size:           8
        .value_kind:     global_buffer
      - .actual_access:  write_only
        .address_space:  global
        .offset:         24
        .size:           8
        .value_kind:     global_buffer
      - .offset:         32
        .size:           8
        .value_kind:     by_value
      - .offset:         40
        .size:           4
        .value_kind:     by_value
      - .offset:         44
        .size:           4
        .value_kind:     by_value
      - .offset:         48
        .size:           4
        .value_kind:     by_value
    .group_segment_fixed_size: 0
    .kernarg_segment_align: 8
    .kernarg_segment_size: 52
    .language:       OpenCL C
    .language_version:
      - 2
      - 0
    .max_flat_workgroup_size: 1024
    .name:           _ZN5aiter24topk_softplus_kernel_optIffLi128ELb0ELi0EEEvPKT_PKT0_PfPimiif
    .private_segment_fixed_size: 0
    .sgpr_count:     19
    .sgpr_spill_count: 0
    .symbol:         _ZN5aiter24topk_softplus_kernel_optIffLi128ELb0ELi0EEEvPKT_PKT0_PfPimiif.kd
    .uniform_work_group_size: 1
    .uses_dynamic_stack: false
    .vgpr_count:     20
    .vgpr_spill_count: 0
    .wavefront_size: 64
  - .agpr_count:     0
    .args:
      - .actual_access:  read_only
        .address_space:  global
        .offset:         0
        .size:           8
        .value_kind:     global_buffer
      - .actual_access:  read_only
        .address_space:  global
        .offset:         8
        .size:           8
        .value_kind:     global_buffer
      - .actual_access:  write_only
        .address_space:  global
        .offset:         16
        .size:           8
        .value_kind:     global_buffer
      - .actual_access:  write_only
        .address_space:  global
        .offset:         24
        .size:           8
        .value_kind:     global_buffer
      - .offset:         32
        .size:           8
        .value_kind:     by_value
      - .offset:         40
        .size:           4
        .value_kind:     by_value
      - .offset:         44
        .size:           4
        .value_kind:     by_value
      - .offset:         48
        .size:           4
        .value_kind:     by_value
    .group_segment_fixed_size: 0
    .kernarg_segment_align: 8
    .kernarg_segment_size: 52
    .language:       OpenCL C
    .language_version:
      - 2
      - 0
    .max_flat_workgroup_size: 1024
    .name:           _ZN5aiter24topk_softplus_kernel_optIffLi256ELb1ELi0EEEvPKT_PKT0_PfPimiif
    .private_segment_fixed_size: 0
    .sgpr_count:     19
    .sgpr_spill_count: 0
    .symbol:         _ZN5aiter24topk_softplus_kernel_optIffLi256ELb1ELi0EEEvPKT_PKT0_PfPimiif.kd
    .uniform_work_group_size: 1
    .uses_dynamic_stack: false
    .vgpr_count:     27
    .vgpr_spill_count: 0
    .wavefront_size: 64
  - .agpr_count:     0
    .args:
      - .actual_access:  read_only
        .address_space:  global
        .offset:         0
        .size:           8
        .value_kind:     global_buffer
      - .actual_access:  read_only
        .address_space:  global
        .offset:         8
        .size:           8
        .value_kind:     global_buffer
      - .actual_access:  write_only
        .address_space:  global
        .offset:         16
        .size:           8
        .value_kind:     global_buffer
      - .actual_access:  write_only
        .address_space:  global
        .offset:         24
        .size:           8
        .value_kind:     global_buffer
      - .offset:         32
        .size:           8
        .value_kind:     by_value
      - .offset:         40
        .size:           4
        .value_kind:     by_value
      - .offset:         44
        .size:           4
        .value_kind:     by_value
      - .offset:         48
        .size:           4
        .value_kind:     by_value
    .group_segment_fixed_size: 0
    .kernarg_segment_align: 8
    .kernarg_segment_size: 52
    .language:       OpenCL C
    .language_version:
      - 2
      - 0
    .max_flat_workgroup_size: 1024
    .name:           _ZN5aiter24topk_softplus_kernel_optIffLi256ELb0ELi0EEEvPKT_PKT0_PfPimiif
    .private_segment_fixed_size: 0
    .sgpr_count:     19
    .sgpr_spill_count: 0
    .symbol:         _ZN5aiter24topk_softplus_kernel_optIffLi256ELb0ELi0EEEvPKT_PKT0_PfPimiif.kd
    .uniform_work_group_size: 1
    .uses_dynamic_stack: false
    .vgpr_count:     26
    .vgpr_spill_count: 0
    .wavefront_size: 64
  - .agpr_count:     0
    .args:
      - .actual_access:  read_only
        .address_space:  global
        .offset:         0
        .size:           8
        .value_kind:     global_buffer
      - .actual_access:  read_only
        .address_space:  global
        .offset:         8
        .size:           8
        .value_kind:     global_buffer
      - .actual_access:  write_only
        .address_space:  global
        .offset:         16
        .size:           8
        .value_kind:     global_buffer
      - .actual_access:  write_only
        .address_space:  global
        .offset:         24
        .size:           8
        .value_kind:     global_buffer
      - .offset:         32
        .size:           8
        .value_kind:     by_value
      - .offset:         40
        .size:           4
        .value_kind:     by_value
      - .offset:         44
        .size:           4
        .value_kind:     by_value
      - .offset:         48
        .size:           4
        .value_kind:     by_value
    .group_segment_fixed_size: 0
    .kernarg_segment_align: 8
    .kernarg_segment_size: 52
    .language:       OpenCL C
    .language_version:
      - 2
      - 0
    .max_flat_workgroup_size: 1024
    .name:           _ZN5aiter24topk_softplus_kernel_optIffLi384ELb1ELi0EEEvPKT_PKT0_PfPimiif
    .private_segment_fixed_size: 0
    .sgpr_count:     26
    .sgpr_spill_count: 0
    .symbol:         _ZN5aiter24topk_softplus_kernel_optIffLi384ELb1ELi0EEEvPKT_PKT0_PfPimiif.kd
    .uniform_work_group_size: 1
    .uses_dynamic_stack: false
    .vgpr_count:     30
    .vgpr_spill_count: 0
    .wavefront_size: 64
  - .agpr_count:     0
    .args:
      - .actual_access:  read_only
        .address_space:  global
        .offset:         0
        .size:           8
        .value_kind:     global_buffer
      - .actual_access:  read_only
        .address_space:  global
        .offset:         8
        .size:           8
        .value_kind:     global_buffer
      - .actual_access:  write_only
        .address_space:  global
        .offset:         16
        .size:           8
        .value_kind:     global_buffer
      - .actual_access:  write_only
        .address_space:  global
        .offset:         24
        .size:           8
        .value_kind:     global_buffer
      - .offset:         32
        .size:           8
        .value_kind:     by_value
      - .offset:         40
        .size:           4
        .value_kind:     by_value
      - .offset:         44
        .size:           4
        .value_kind:     by_value
      - .offset:         48
        .size:           4
        .value_kind:     by_value
    .group_segment_fixed_size: 0
    .kernarg_segment_align: 8
    .kernarg_segment_size: 52
    .language:       OpenCL C
    .language_version:
      - 2
      - 0
    .max_flat_workgroup_size: 1024
    .name:           _ZN5aiter24topk_softplus_kernel_optIffLi384ELb0ELi0EEEvPKT_PKT0_PfPimiif
    .private_segment_fixed_size: 0
    .sgpr_count:     26
    .sgpr_spill_count: 0
    .symbol:         _ZN5aiter24topk_softplus_kernel_optIffLi384ELb0ELi0EEEvPKT_PKT0_PfPimiif.kd
    .uniform_work_group_size: 1
    .uses_dynamic_stack: false
    .vgpr_count:     29
    .vgpr_spill_count: 0
    .wavefront_size: 64
  - .agpr_count:     0
    .args:
      - .actual_access:  read_only
        .address_space:  global
        .offset:         0
        .size:           8
        .value_kind:     global_buffer
      - .actual_access:  read_only
        .address_space:  global
        .offset:         8
        .size:           8
        .value_kind:     global_buffer
      - .actual_access:  write_only
        .address_space:  global
        .offset:         16
        .size:           8
        .value_kind:     global_buffer
      - .actual_access:  write_only
        .address_space:  global
        .offset:         24
        .size:           8
        .value_kind:     global_buffer
      - .offset:         32
        .size:           8
        .value_kind:     by_value
      - .offset:         40
        .size:           4
        .value_kind:     by_value
      - .offset:         44
        .size:           4
        .value_kind:     by_value
      - .offset:         48
        .size:           4
        .value_kind:     by_value
      - .offset:         52
        .size:           4
        .value_kind:     by_value
      - .offset:         56
        .size:           4
        .value_kind:     hidden_block_count_x
      - .offset:         60
        .size:           4
        .value_kind:     hidden_block_count_y
      - .offset:         64
        .size:           4
        .value_kind:     hidden_block_count_z
      - .offset:         68
        .size:           2
        .value_kind:     hidden_group_size_x
      - .offset:         70
        .size:           2
        .value_kind:     hidden_group_size_y
      - .offset:         72
        .size:           2
        .value_kind:     hidden_group_size_z
      - .offset:         74
        .size:           2
        .value_kind:     hidden_remainder_x
      - .offset:         76
        .size:           2
        .value_kind:     hidden_remainder_y
      - .offset:         78
        .size:           2
        .value_kind:     hidden_remainder_z
      - .offset:         96
        .size:           8
        .value_kind:     hidden_global_offset_x
      - .offset:         104
        .size:           8
        .value_kind:     hidden_global_offset_y
      - .offset:         112
        .size:           8
        .value_kind:     hidden_global_offset_z
      - .offset:         120
        .size:           2
        .value_kind:     hidden_grid_dims
      - .offset:         176
        .size:           4
        .value_kind:     hidden_dynamic_lds_size
    .group_segment_fixed_size: 0
    .kernarg_segment_align: 8
    .kernarg_segment_size: 312
    .language:       OpenCL C
    .language_version:
      - 2
      - 0
    .max_flat_workgroup_size: 1024
    .name:           _ZN5aiter20topk_softplus_kernelIffDv4_fLb1ELi0EEEvPKT_PKT0_PfPimiiif
    .private_segment_fixed_size: 0
    .sgpr_count:     47
    .sgpr_spill_count: 0
    .symbol:         _ZN5aiter20topk_softplus_kernelIffDv4_fLb1ELi0EEEvPKT_PKT0_PfPimiiif.kd
    .uniform_work_group_size: 1
    .uses_dynamic_stack: false
    .vgpr_count:     24
    .vgpr_spill_count: 0
    .wavefront_size: 64
  - .agpr_count:     0
    .args:
      - .actual_access:  read_only
        .address_space:  global
        .offset:         0
        .size:           8
        .value_kind:     global_buffer
      - .actual_access:  read_only
        .address_space:  global
        .offset:         8
        .size:           8
        .value_kind:     global_buffer
      - .actual_access:  write_only
        .address_space:  global
        .offset:         16
        .size:           8
        .value_kind:     global_buffer
      - .actual_access:  write_only
        .address_space:  global
        .offset:         24
        .size:           8
        .value_kind:     global_buffer
      - .offset:         32
        .size:           8
        .value_kind:     by_value
      - .offset:         40
        .size:           4
        .value_kind:     by_value
      - .offset:         44
        .size:           4
        .value_kind:     by_value
      - .offset:         48
        .size:           4
        .value_kind:     by_value
      - .offset:         52
        .size:           4
        .value_kind:     by_value
      - .offset:         56
        .size:           4
        .value_kind:     hidden_block_count_x
      - .offset:         60
        .size:           4
        .value_kind:     hidden_block_count_y
      - .offset:         64
        .size:           4
        .value_kind:     hidden_block_count_z
      - .offset:         68
        .size:           2
        .value_kind:     hidden_group_size_x
      - .offset:         70
        .size:           2
        .value_kind:     hidden_group_size_y
      - .offset:         72
        .size:           2
        .value_kind:     hidden_group_size_z
      - .offset:         74
        .size:           2
        .value_kind:     hidden_remainder_x
      - .offset:         76
        .size:           2
        .value_kind:     hidden_remainder_y
      - .offset:         78
        .size:           2
        .value_kind:     hidden_remainder_z
      - .offset:         96
        .size:           8
        .value_kind:     hidden_global_offset_x
      - .offset:         104
        .size:           8
        .value_kind:     hidden_global_offset_y
      - .offset:         112
        .size:           8
        .value_kind:     hidden_global_offset_z
      - .offset:         120
        .size:           2
        .value_kind:     hidden_grid_dims
      - .offset:         176
        .size:           4
        .value_kind:     hidden_dynamic_lds_size
    .group_segment_fixed_size: 0
    .kernarg_segment_align: 8
    .kernarg_segment_size: 312
    .language:       OpenCL C
    .language_version:
      - 2
      - 0
    .max_flat_workgroup_size: 1024
    .name:           _ZN5aiter20topk_softplus_kernelIffDv4_fLb0ELi0EEEvPKT_PKT0_PfPimiiif
    .private_segment_fixed_size: 0
    .sgpr_count:     47
    .sgpr_spill_count: 0
    .symbol:         _ZN5aiter20topk_softplus_kernelIffDv4_fLb0ELi0EEEvPKT_PKT0_PfPimiiif.kd
    .uniform_work_group_size: 1
    .uses_dynamic_stack: false
    .vgpr_count:     24
    .vgpr_spill_count: 0
    .wavefront_size: 64
  - .agpr_count:     0
    .args:
      - .actual_access:  read_only
        .address_space:  global
        .offset:         0
        .size:           8
        .value_kind:     global_buffer
      - .actual_access:  read_only
        .address_space:  global
        .offset:         8
        .size:           8
        .value_kind:     global_buffer
      - .actual_access:  write_only
        .address_space:  global
        .offset:         16
        .size:           8
        .value_kind:     global_buffer
      - .actual_access:  write_only
        .address_space:  global
        .offset:         24
        .size:           8
        .value_kind:     global_buffer
      - .offset:         32
        .size:           8
        .value_kind:     by_value
      - .offset:         40
        .size:           4
        .value_kind:     by_value
      - .offset:         44
        .size:           4
        .value_kind:     by_value
      - .offset:         48
        .size:           4
        .value_kind:     by_value
      - .offset:         52
        .size:           4
        .value_kind:     by_value
      - .offset:         56
        .size:           4
        .value_kind:     hidden_block_count_x
      - .offset:         60
        .size:           4
        .value_kind:     hidden_block_count_y
      - .offset:         64
        .size:           4
        .value_kind:     hidden_block_count_z
      - .offset:         68
        .size:           2
        .value_kind:     hidden_group_size_x
      - .offset:         70
        .size:           2
        .value_kind:     hidden_group_size_y
      - .offset:         72
        .size:           2
        .value_kind:     hidden_group_size_z
      - .offset:         74
        .size:           2
        .value_kind:     hidden_remainder_x
      - .offset:         76
        .size:           2
        .value_kind:     hidden_remainder_y
      - .offset:         78
        .size:           2
        .value_kind:     hidden_remainder_z
      - .offset:         96
        .size:           8
        .value_kind:     hidden_global_offset_x
      - .offset:         104
        .size:           8
        .value_kind:     hidden_global_offset_y
      - .offset:         112
        .size:           8
        .value_kind:     hidden_global_offset_z
      - .offset:         120
        .size:           2
        .value_kind:     hidden_grid_dims
      - .offset:         176
        .size:           4
        .value_kind:     hidden_dynamic_lds_size
    .group_segment_fixed_size: 0
    .kernarg_segment_align: 8
    .kernarg_segment_size: 312
    .language:       OpenCL C
    .language_version:
      - 2
      - 0
    .max_flat_workgroup_size: 1024
    .name:           _ZN5aiter20topk_softplus_kernelIffDv2_fLb1ELi0EEEvPKT_PKT0_PfPimiiif
    .private_segment_fixed_size: 0
    .sgpr_count:     36
    .sgpr_spill_count: 0
    .symbol:         _ZN5aiter20topk_softplus_kernelIffDv2_fLb1ELi0EEEvPKT_PKT0_PfPimiiif.kd
    .uniform_work_group_size: 1
    .uses_dynamic_stack: false
    .vgpr_count:     19
    .vgpr_spill_count: 0
    .wavefront_size: 64
  - .agpr_count:     0
    .args:
      - .actual_access:  read_only
        .address_space:  global
        .offset:         0
        .size:           8
        .value_kind:     global_buffer
      - .actual_access:  read_only
        .address_space:  global
        .offset:         8
        .size:           8
        .value_kind:     global_buffer
      - .actual_access:  write_only
        .address_space:  global
        .offset:         16
        .size:           8
        .value_kind:     global_buffer
      - .actual_access:  write_only
        .address_space:  global
        .offset:         24
        .size:           8
        .value_kind:     global_buffer
      - .offset:         32
        .size:           8
        .value_kind:     by_value
      - .offset:         40
        .size:           4
        .value_kind:     by_value
      - .offset:         44
        .size:           4
        .value_kind:     by_value
      - .offset:         48
        .size:           4
        .value_kind:     by_value
      - .offset:         52
        .size:           4
        .value_kind:     by_value
      - .offset:         56
        .size:           4
        .value_kind:     hidden_block_count_x
      - .offset:         60
        .size:           4
        .value_kind:     hidden_block_count_y
      - .offset:         64
        .size:           4
        .value_kind:     hidden_block_count_z
      - .offset:         68
        .size:           2
        .value_kind:     hidden_group_size_x
      - .offset:         70
        .size:           2
        .value_kind:     hidden_group_size_y
      - .offset:         72
        .size:           2
        .value_kind:     hidden_group_size_z
      - .offset:         74
        .size:           2
        .value_kind:     hidden_remainder_x
      - .offset:         76
        .size:           2
        .value_kind:     hidden_remainder_y
      - .offset:         78
        .size:           2
        .value_kind:     hidden_remainder_z
      - .offset:         96
        .size:           8
        .value_kind:     hidden_global_offset_x
      - .offset:         104
        .size:           8
        .value_kind:     hidden_global_offset_y
      - .offset:         112
        .size:           8
        .value_kind:     hidden_global_offset_z
      - .offset:         120
        .size:           2
        .value_kind:     hidden_grid_dims
      - .offset:         176
        .size:           4
        .value_kind:     hidden_dynamic_lds_size
    .group_segment_fixed_size: 0
    .kernarg_segment_align: 8
    .kernarg_segment_size: 312
    .language:       OpenCL C
    .language_version:
      - 2
      - 0
    .max_flat_workgroup_size: 1024
    .name:           _ZN5aiter20topk_softplus_kernelIffDv2_fLb0ELi0EEEvPKT_PKT0_PfPimiiif
    .private_segment_fixed_size: 0
    .sgpr_count:     36
    .sgpr_spill_count: 0
    .symbol:         _ZN5aiter20topk_softplus_kernelIffDv2_fLb0ELi0EEEvPKT_PKT0_PfPimiiif.kd
    .uniform_work_group_size: 1
    .uses_dynamic_stack: false
    .vgpr_count:     19
    .vgpr_spill_count: 0
    .wavefront_size: 64
  - .agpr_count:     0
    .args:
      - .actual_access:  read_only
        .address_space:  global
        .offset:         0
        .size:           8
        .value_kind:     global_buffer
      - .actual_access:  read_only
        .address_space:  global
        .offset:         8
        .size:           8
        .value_kind:     global_buffer
      - .actual_access:  write_only
        .address_space:  global
        .offset:         16
        .size:           8
        .value_kind:     global_buffer
      - .actual_access:  write_only
        .address_space:  global
        .offset:         24
        .size:           8
        .value_kind:     global_buffer
      - .offset:         32
        .size:           8
        .value_kind:     by_value
      - .offset:         40
        .size:           4
        .value_kind:     by_value
      - .offset:         44
        .size:           4
        .value_kind:     by_value
      - .offset:         48
        .size:           4
        .value_kind:     by_value
      - .offset:         52
        .size:           4
        .value_kind:     by_value
      - .offset:         56
        .size:           4
        .value_kind:     hidden_block_count_x
      - .offset:         60
        .size:           4
        .value_kind:     hidden_block_count_y
      - .offset:         64
        .size:           4
        .value_kind:     hidden_block_count_z
      - .offset:         68
        .size:           2
        .value_kind:     hidden_group_size_x
      - .offset:         70
        .size:           2
        .value_kind:     hidden_group_size_y
      - .offset:         72
        .size:           2
        .value_kind:     hidden_group_size_z
      - .offset:         74
        .size:           2
        .value_kind:     hidden_remainder_x
      - .offset:         76
        .size:           2
        .value_kind:     hidden_remainder_y
      - .offset:         78
        .size:           2
        .value_kind:     hidden_remainder_z
      - .offset:         96
        .size:           8
        .value_kind:     hidden_global_offset_x
      - .offset:         104
        .size:           8
        .value_kind:     hidden_global_offset_y
      - .offset:         112
        .size:           8
        .value_kind:     hidden_global_offset_z
      - .offset:         120
        .size:           2
        .value_kind:     hidden_grid_dims
      - .offset:         176
        .size:           4
        .value_kind:     hidden_dynamic_lds_size
    .group_segment_fixed_size: 0
    .kernarg_segment_align: 8
    .kernarg_segment_size: 312
    .language:       OpenCL C
    .language_version:
      - 2
      - 0
    .max_flat_workgroup_size: 1024
    .name:           _ZN5aiter20topk_softplus_kernelIffDv1_fLb1ELi0EEEvPKT_PKT0_PfPimiiif
    .private_segment_fixed_size: 0
    .sgpr_count:     35
    .sgpr_spill_count: 0
    .symbol:         _ZN5aiter20topk_softplus_kernelIffDv1_fLb1ELi0EEEvPKT_PKT0_PfPimiiif.kd
    .uniform_work_group_size: 1
    .uses_dynamic_stack: false
    .vgpr_count:     18
    .vgpr_spill_count: 0
    .wavefront_size: 64
  - .agpr_count:     0
    .args:
      - .actual_access:  read_only
        .address_space:  global
        .offset:         0
        .size:           8
        .value_kind:     global_buffer
      - .actual_access:  read_only
        .address_space:  global
        .offset:         8
        .size:           8
        .value_kind:     global_buffer
      - .actual_access:  write_only
        .address_space:  global
        .offset:         16
        .size:           8
        .value_kind:     global_buffer
      - .actual_access:  write_only
        .address_space:  global
        .offset:         24
        .size:           8
        .value_kind:     global_buffer
      - .offset:         32
        .size:           8
        .value_kind:     by_value
      - .offset:         40
        .size:           4
        .value_kind:     by_value
      - .offset:         44
        .size:           4
        .value_kind:     by_value
      - .offset:         48
        .size:           4
        .value_kind:     by_value
      - .offset:         52
        .size:           4
        .value_kind:     by_value
      - .offset:         56
        .size:           4
        .value_kind:     hidden_block_count_x
      - .offset:         60
        .size:           4
        .value_kind:     hidden_block_count_y
      - .offset:         64
        .size:           4
        .value_kind:     hidden_block_count_z
      - .offset:         68
        .size:           2
        .value_kind:     hidden_group_size_x
      - .offset:         70
        .size:           2
        .value_kind:     hidden_group_size_y
      - .offset:         72
        .size:           2
        .value_kind:     hidden_group_size_z
      - .offset:         74
        .size:           2
        .value_kind:     hidden_remainder_x
      - .offset:         76
        .size:           2
        .value_kind:     hidden_remainder_y
      - .offset:         78
        .size:           2
        .value_kind:     hidden_remainder_z
      - .offset:         96
        .size:           8
        .value_kind:     hidden_global_offset_x
      - .offset:         104
        .size:           8
        .value_kind:     hidden_global_offset_y
      - .offset:         112
        .size:           8
        .value_kind:     hidden_global_offset_z
      - .offset:         120
        .size:           2
        .value_kind:     hidden_grid_dims
      - .offset:         176
        .size:           4
        .value_kind:     hidden_dynamic_lds_size
    .group_segment_fixed_size: 0
    .kernarg_segment_align: 8
    .kernarg_segment_size: 312
    .language:       OpenCL C
    .language_version:
      - 2
      - 0
    .max_flat_workgroup_size: 1024
    .name:           _ZN5aiter20topk_softplus_kernelIffDv1_fLb0ELi0EEEvPKT_PKT0_PfPimiiif
    .private_segment_fixed_size: 0
    .sgpr_count:     35
    .sgpr_spill_count: 0
    .symbol:         _ZN5aiter20topk_softplus_kernelIffDv1_fLb0ELi0EEEvPKT_PKT0_PfPimiiif.kd
    .uniform_work_group_size: 1
    .uses_dynamic_stack: false
    .vgpr_count:     18
    .vgpr_spill_count: 0
    .wavefront_size: 64
  - .agpr_count:     0
    .args:
      - .actual_access:  read_only
        .address_space:  global
        .offset:         0
        .size:           8
        .value_kind:     global_buffer
      - .actual_access:  read_only
        .address_space:  global
        .offset:         8
        .size:           8
        .value_kind:     global_buffer
      - .actual_access:  write_only
        .address_space:  global
        .offset:         16
        .size:           8
        .value_kind:     global_buffer
      - .actual_access:  write_only
        .address_space:  global
        .offset:         24
        .size:           8
        .value_kind:     global_buffer
      - .offset:         32
        .size:           8
        .value_kind:     by_value
      - .offset:         40
        .size:           4
        .value_kind:     by_value
      - .offset:         44
        .size:           4
        .value_kind:     by_value
      - .offset:         48
        .size:           4
        .value_kind:     by_value
    .group_segment_fixed_size: 0
    .kernarg_segment_align: 8
    .kernarg_segment_size: 52
    .language:       OpenCL C
    .language_version:
      - 2
      - 0
    .max_flat_workgroup_size: 1024
    .name:           _ZN5aiter24topk_softplus_kernel_optIf6__halfLi64ELb1ELi1EEEvPKT_PKT0_PfPimiif
    .private_segment_fixed_size: 0
    .sgpr_count:     17
    .sgpr_spill_count: 0
    .symbol:         _ZN5aiter24topk_softplus_kernel_optIf6__halfLi64ELb1ELi1EEEvPKT_PKT0_PfPimiif.kd
    .uniform_work_group_size: 1
    .uses_dynamic_stack: false
    .vgpr_count:     14
    .vgpr_spill_count: 0
    .wavefront_size: 64
  - .agpr_count:     0
    .args:
      - .actual_access:  read_only
        .address_space:  global
        .offset:         0
        .size:           8
        .value_kind:     global_buffer
      - .actual_access:  read_only
        .address_space:  global
        .offset:         8
        .size:           8
        .value_kind:     global_buffer
      - .actual_access:  write_only
        .address_space:  global
        .offset:         16
        .size:           8
        .value_kind:     global_buffer
      - .actual_access:  write_only
        .address_space:  global
        .offset:         24
        .size:           8
        .value_kind:     global_buffer
      - .offset:         32
        .size:           8
        .value_kind:     by_value
      - .offset:         40
        .size:           4
        .value_kind:     by_value
      - .offset:         44
        .size:           4
        .value_kind:     by_value
      - .offset:         48
        .size:           4
        .value_kind:     by_value
    .group_segment_fixed_size: 0
    .kernarg_segment_align: 8
    .kernarg_segment_size: 52
    .language:       OpenCL C
    .language_version:
      - 2
      - 0
    .max_flat_workgroup_size: 1024
    .name:           _ZN5aiter24topk_softplus_kernel_optIf6__halfLi64ELb0ELi1EEEvPKT_PKT0_PfPimiif
    .private_segment_fixed_size: 0
    .sgpr_count:     17
    .sgpr_spill_count: 0
    .symbol:         _ZN5aiter24topk_softplus_kernel_optIf6__halfLi64ELb0ELi1EEEvPKT_PKT0_PfPimiif.kd
    .uniform_work_group_size: 1
    .uses_dynamic_stack: false
    .vgpr_count:     13
    .vgpr_spill_count: 0
    .wavefront_size: 64
  - .agpr_count:     0
    .args:
      - .actual_access:  read_only
        .address_space:  global
        .offset:         0
        .size:           8
        .value_kind:     global_buffer
      - .actual_access:  read_only
        .address_space:  global
        .offset:         8
        .size:           8
        .value_kind:     global_buffer
      - .actual_access:  write_only
        .address_space:  global
        .offset:         16
        .size:           8
        .value_kind:     global_buffer
      - .actual_access:  write_only
        .address_space:  global
        .offset:         24
        .size:           8
        .value_kind:     global_buffer
      - .offset:         32
        .size:           8
        .value_kind:     by_value
      - .offset:         40
        .size:           4
        .value_kind:     by_value
      - .offset:         44
        .size:           4
        .value_kind:     by_value
      - .offset:         48
        .size:           4
        .value_kind:     by_value
    .group_segment_fixed_size: 0
    .kernarg_segment_align: 8
    .kernarg_segment_size: 52
    .language:       OpenCL C
    .language_version:
      - 2
      - 0
    .max_flat_workgroup_size: 1024
    .name:           _ZN5aiter24topk_softplus_kernel_optIf6__halfLi128ELb1ELi1EEEvPKT_PKT0_PfPimiif
    .private_segment_fixed_size: 0
    .sgpr_count:     17
    .sgpr_spill_count: 0
    .symbol:         _ZN5aiter24topk_softplus_kernel_optIf6__halfLi128ELb1ELi1EEEvPKT_PKT0_PfPimiif.kd
    .uniform_work_group_size: 1
    .uses_dynamic_stack: false
    .vgpr_count:     21
    .vgpr_spill_count: 0
    .wavefront_size: 64
  - .agpr_count:     0
    .args:
      - .actual_access:  read_only
        .address_space:  global
        .offset:         0
        .size:           8
        .value_kind:     global_buffer
      - .actual_access:  read_only
        .address_space:  global
        .offset:         8
        .size:           8
        .value_kind:     global_buffer
      - .actual_access:  write_only
        .address_space:  global
        .offset:         16
        .size:           8
        .value_kind:     global_buffer
      - .actual_access:  write_only
        .address_space:  global
        .offset:         24
        .size:           8
        .value_kind:     global_buffer
      - .offset:         32
        .size:           8
        .value_kind:     by_value
      - .offset:         40
        .size:           4
        .value_kind:     by_value
      - .offset:         44
        .size:           4
        .value_kind:     by_value
      - .offset:         48
        .size:           4
        .value_kind:     by_value
    .group_segment_fixed_size: 0
    .kernarg_segment_align: 8
    .kernarg_segment_size: 52
    .language:       OpenCL C
    .language_version:
      - 2
      - 0
    .max_flat_workgroup_size: 1024
    .name:           _ZN5aiter24topk_softplus_kernel_optIf6__halfLi128ELb0ELi1EEEvPKT_PKT0_PfPimiif
    .private_segment_fixed_size: 0
    .sgpr_count:     17
    .sgpr_spill_count: 0
    .symbol:         _ZN5aiter24topk_softplus_kernel_optIf6__halfLi128ELb0ELi1EEEvPKT_PKT0_PfPimiif.kd
    .uniform_work_group_size: 1
    .uses_dynamic_stack: false
    .vgpr_count:     20
    .vgpr_spill_count: 0
    .wavefront_size: 64
  - .agpr_count:     0
    .args:
      - .actual_access:  read_only
        .address_space:  global
        .offset:         0
        .size:           8
        .value_kind:     global_buffer
      - .actual_access:  read_only
        .address_space:  global
        .offset:         8
        .size:           8
        .value_kind:     global_buffer
      - .actual_access:  write_only
        .address_space:  global
        .offset:         16
        .size:           8
        .value_kind:     global_buffer
      - .actual_access:  write_only
        .address_space:  global
        .offset:         24
        .size:           8
        .value_kind:     global_buffer
      - .offset:         32
        .size:           8
        .value_kind:     by_value
      - .offset:         40
        .size:           4
        .value_kind:     by_value
      - .offset:         44
        .size:           4
        .value_kind:     by_value
      - .offset:         48
        .size:           4
        .value_kind:     by_value
    .group_segment_fixed_size: 0
    .kernarg_segment_align: 8
    .kernarg_segment_size: 52
    .language:       OpenCL C
    .language_version:
      - 2
      - 0
    .max_flat_workgroup_size: 1024
    .name:           _ZN5aiter24topk_softplus_kernel_optIf6__halfLi256ELb1ELi1EEEvPKT_PKT0_PfPimiif
    .private_segment_fixed_size: 0
    .sgpr_count:     17
    .sgpr_spill_count: 0
    .symbol:         _ZN5aiter24topk_softplus_kernel_optIf6__halfLi256ELb1ELi1EEEvPKT_PKT0_PfPimiif.kd
    .uniform_work_group_size: 1
    .uses_dynamic_stack: false
    .vgpr_count:     27
    .vgpr_spill_count: 0
    .wavefront_size: 64
  - .agpr_count:     0
    .args:
      - .actual_access:  read_only
        .address_space:  global
        .offset:         0
        .size:           8
        .value_kind:     global_buffer
      - .actual_access:  read_only
        .address_space:  global
        .offset:         8
        .size:           8
        .value_kind:     global_buffer
      - .actual_access:  write_only
        .address_space:  global
        .offset:         16
        .size:           8
        .value_kind:     global_buffer
      - .actual_access:  write_only
        .address_space:  global
        .offset:         24
        .size:           8
        .value_kind:     global_buffer
      - .offset:         32
        .size:           8
        .value_kind:     by_value
      - .offset:         40
        .size:           4
        .value_kind:     by_value
      - .offset:         44
        .size:           4
        .value_kind:     by_value
      - .offset:         48
        .size:           4
        .value_kind:     by_value
    .group_segment_fixed_size: 0
    .kernarg_segment_align: 8
    .kernarg_segment_size: 52
    .language:       OpenCL C
    .language_version:
      - 2
      - 0
    .max_flat_workgroup_size: 1024
    .name:           _ZN5aiter24topk_softplus_kernel_optIf6__halfLi256ELb0ELi1EEEvPKT_PKT0_PfPimiif
    .private_segment_fixed_size: 0
    .sgpr_count:     17
    .sgpr_spill_count: 0
    .symbol:         _ZN5aiter24topk_softplus_kernel_optIf6__halfLi256ELb0ELi1EEEvPKT_PKT0_PfPimiif.kd
    .uniform_work_group_size: 1
    .uses_dynamic_stack: false
    .vgpr_count:     26
    .vgpr_spill_count: 0
    .wavefront_size: 64
  - .agpr_count:     0
    .args:
      - .actual_access:  read_only
        .address_space:  global
        .offset:         0
        .size:           8
        .value_kind:     global_buffer
      - .actual_access:  read_only
        .address_space:  global
        .offset:         8
        .size:           8
        .value_kind:     global_buffer
      - .actual_access:  write_only
        .address_space:  global
        .offset:         16
        .size:           8
        .value_kind:     global_buffer
      - .actual_access:  write_only
        .address_space:  global
        .offset:         24
        .size:           8
        .value_kind:     global_buffer
      - .offset:         32
        .size:           8
        .value_kind:     by_value
      - .offset:         40
        .size:           4
        .value_kind:     by_value
      - .offset:         44
        .size:           4
        .value_kind:     by_value
      - .offset:         48
        .size:           4
        .value_kind:     by_value
    .group_segment_fixed_size: 0
    .kernarg_segment_align: 8
    .kernarg_segment_size: 52
    .language:       OpenCL C
    .language_version:
      - 2
      - 0
    .max_flat_workgroup_size: 1024
    .name:           _ZN5aiter24topk_softplus_kernel_optIf6__halfLi384ELb1ELi1EEEvPKT_PKT0_PfPimiif
    .private_segment_fixed_size: 0
    .sgpr_count:     26
    .sgpr_spill_count: 0
    .symbol:         _ZN5aiter24topk_softplus_kernel_optIf6__halfLi384ELb1ELi1EEEvPKT_PKT0_PfPimiif.kd
    .uniform_work_group_size: 1
    .uses_dynamic_stack: false
    .vgpr_count:     30
    .vgpr_spill_count: 0
    .wavefront_size: 64
  - .agpr_count:     0
    .args:
      - .actual_access:  read_only
        .address_space:  global
        .offset:         0
        .size:           8
        .value_kind:     global_buffer
      - .actual_access:  read_only
        .address_space:  global
        .offset:         8
        .size:           8
        .value_kind:     global_buffer
      - .actual_access:  write_only
        .address_space:  global
        .offset:         16
        .size:           8
        .value_kind:     global_buffer
      - .actual_access:  write_only
        .address_space:  global
        .offset:         24
        .size:           8
        .value_kind:     global_buffer
      - .offset:         32
        .size:           8
        .value_kind:     by_value
      - .offset:         40
        .size:           4
        .value_kind:     by_value
      - .offset:         44
        .size:           4
        .value_kind:     by_value
      - .offset:         48
        .size:           4
        .value_kind:     by_value
    .group_segment_fixed_size: 0
    .kernarg_segment_align: 8
    .kernarg_segment_size: 52
    .language:       OpenCL C
    .language_version:
      - 2
      - 0
    .max_flat_workgroup_size: 1024
    .name:           _ZN5aiter24topk_softplus_kernel_optIf6__halfLi384ELb0ELi1EEEvPKT_PKT0_PfPimiif
    .private_segment_fixed_size: 0
    .sgpr_count:     26
    .sgpr_spill_count: 0
    .symbol:         _ZN5aiter24topk_softplus_kernel_optIf6__halfLi384ELb0ELi1EEEvPKT_PKT0_PfPimiif.kd
    .uniform_work_group_size: 1
    .uses_dynamic_stack: false
    .vgpr_count:     29
    .vgpr_spill_count: 0
    .wavefront_size: 64
  - .agpr_count:     0
    .args:
      - .actual_access:  read_only
        .address_space:  global
        .offset:         0
        .size:           8
        .value_kind:     global_buffer
      - .actual_access:  read_only
        .address_space:  global
        .offset:         8
        .size:           8
        .value_kind:     global_buffer
      - .actual_access:  write_only
        .address_space:  global
        .offset:         16
        .size:           8
        .value_kind:     global_buffer
      - .actual_access:  write_only
        .address_space:  global
        .offset:         24
        .size:           8
        .value_kind:     global_buffer
      - .offset:         32
        .size:           8
        .value_kind:     by_value
      - .offset:         40
        .size:           4
        .value_kind:     by_value
      - .offset:         44
        .size:           4
        .value_kind:     by_value
      - .offset:         48
        .size:           4
        .value_kind:     by_value
      - .offset:         52
        .size:           4
        .value_kind:     by_value
      - .offset:         56
        .size:           4
        .value_kind:     hidden_block_count_x
      - .offset:         60
        .size:           4
        .value_kind:     hidden_block_count_y
      - .offset:         64
        .size:           4
        .value_kind:     hidden_block_count_z
      - .offset:         68
        .size:           2
        .value_kind:     hidden_group_size_x
      - .offset:         70
        .size:           2
        .value_kind:     hidden_group_size_y
      - .offset:         72
        .size:           2
        .value_kind:     hidden_group_size_z
      - .offset:         74
        .size:           2
        .value_kind:     hidden_remainder_x
      - .offset:         76
        .size:           2
        .value_kind:     hidden_remainder_y
      - .offset:         78
        .size:           2
        .value_kind:     hidden_remainder_z
      - .offset:         96
        .size:           8
        .value_kind:     hidden_global_offset_x
      - .offset:         104
        .size:           8
        .value_kind:     hidden_global_offset_y
      - .offset:         112
        .size:           8
        .value_kind:     hidden_global_offset_z
      - .offset:         120
        .size:           2
        .value_kind:     hidden_grid_dims
      - .offset:         176
        .size:           4
        .value_kind:     hidden_dynamic_lds_size
    .group_segment_fixed_size: 0
    .kernarg_segment_align: 8
    .kernarg_segment_size: 312
    .language:       OpenCL C
    .language_version:
      - 2
      - 0
    .max_flat_workgroup_size: 1024
    .name:           _ZN5aiter20topk_softplus_kernelIf6__halfDv4_fLb1ELi1EEEvPKT_PKT0_PfPimiiif
    .private_segment_fixed_size: 0
    .sgpr_count:     40
    .sgpr_spill_count: 0
    .symbol:         _ZN5aiter20topk_softplus_kernelIf6__halfDv4_fLb1ELi1EEEvPKT_PKT0_PfPimiiif.kd
    .uniform_work_group_size: 1
    .uses_dynamic_stack: false
    .vgpr_count:     21
    .vgpr_spill_count: 0
    .wavefront_size: 64
  - .agpr_count:     0
    .args:
      - .actual_access:  read_only
        .address_space:  global
        .offset:         0
        .size:           8
        .value_kind:     global_buffer
      - .actual_access:  read_only
        .address_space:  global
        .offset:         8
        .size:           8
        .value_kind:     global_buffer
      - .actual_access:  write_only
        .address_space:  global
        .offset:         16
        .size:           8
        .value_kind:     global_buffer
      - .actual_access:  write_only
        .address_space:  global
        .offset:         24
        .size:           8
        .value_kind:     global_buffer
      - .offset:         32
        .size:           8
        .value_kind:     by_value
      - .offset:         40
        .size:           4
        .value_kind:     by_value
      - .offset:         44
        .size:           4
        .value_kind:     by_value
      - .offset:         48
        .size:           4
        .value_kind:     by_value
      - .offset:         52
        .size:           4
        .value_kind:     by_value
      - .offset:         56
        .size:           4
        .value_kind:     hidden_block_count_x
      - .offset:         60
        .size:           4
        .value_kind:     hidden_block_count_y
      - .offset:         64
        .size:           4
        .value_kind:     hidden_block_count_z
      - .offset:         68
        .size:           2
        .value_kind:     hidden_group_size_x
      - .offset:         70
        .size:           2
        .value_kind:     hidden_group_size_y
      - .offset:         72
        .size:           2
        .value_kind:     hidden_group_size_z
      - .offset:         74
        .size:           2
        .value_kind:     hidden_remainder_x
      - .offset:         76
        .size:           2
        .value_kind:     hidden_remainder_y
      - .offset:         78
        .size:           2
        .value_kind:     hidden_remainder_z
      - .offset:         96
        .size:           8
        .value_kind:     hidden_global_offset_x
      - .offset:         104
        .size:           8
        .value_kind:     hidden_global_offset_y
      - .offset:         112
        .size:           8
        .value_kind:     hidden_global_offset_z
      - .offset:         120
        .size:           2
        .value_kind:     hidden_grid_dims
      - .offset:         176
        .size:           4
        .value_kind:     hidden_dynamic_lds_size
    .group_segment_fixed_size: 0
    .kernarg_segment_align: 8
    .kernarg_segment_size: 312
    .language:       OpenCL C
    .language_version:
      - 2
      - 0
    .max_flat_workgroup_size: 1024
    .name:           _ZN5aiter20topk_softplus_kernelIf6__halfDv4_fLb0ELi1EEEvPKT_PKT0_PfPimiiif
    .private_segment_fixed_size: 0
    .sgpr_count:     40
    .sgpr_spill_count: 0
    .symbol:         _ZN5aiter20topk_softplus_kernelIf6__halfDv4_fLb0ELi1EEEvPKT_PKT0_PfPimiiif.kd
    .uniform_work_group_size: 1
    .uses_dynamic_stack: false
    .vgpr_count:     20
    .vgpr_spill_count: 0
    .wavefront_size: 64
  - .agpr_count:     0
    .args:
      - .actual_access:  read_only
        .address_space:  global
        .offset:         0
        .size:           8
        .value_kind:     global_buffer
      - .actual_access:  read_only
        .address_space:  global
        .offset:         8
        .size:           8
        .value_kind:     global_buffer
      - .actual_access:  write_only
        .address_space:  global
        .offset:         16
        .size:           8
        .value_kind:     global_buffer
      - .actual_access:  write_only
        .address_space:  global
        .offset:         24
        .size:           8
        .value_kind:     global_buffer
      - .offset:         32
        .size:           8
        .value_kind:     by_value
      - .offset:         40
        .size:           4
        .value_kind:     by_value
      - .offset:         44
        .size:           4
        .value_kind:     by_value
      - .offset:         48
        .size:           4
        .value_kind:     by_value
      - .offset:         52
        .size:           4
        .value_kind:     by_value
      - .offset:         56
        .size:           4
        .value_kind:     hidden_block_count_x
      - .offset:         60
        .size:           4
        .value_kind:     hidden_block_count_y
      - .offset:         64
        .size:           4
        .value_kind:     hidden_block_count_z
      - .offset:         68
        .size:           2
        .value_kind:     hidden_group_size_x
      - .offset:         70
        .size:           2
        .value_kind:     hidden_group_size_y
      - .offset:         72
        .size:           2
        .value_kind:     hidden_group_size_z
      - .offset:         74
        .size:           2
        .value_kind:     hidden_remainder_x
      - .offset:         76
        .size:           2
        .value_kind:     hidden_remainder_y
      - .offset:         78
        .size:           2
        .value_kind:     hidden_remainder_z
      - .offset:         96
        .size:           8
        .value_kind:     hidden_global_offset_x
      - .offset:         104
        .size:           8
        .value_kind:     hidden_global_offset_y
      - .offset:         112
        .size:           8
        .value_kind:     hidden_global_offset_z
      - .offset:         120
        .size:           2
        .value_kind:     hidden_grid_dims
      - .offset:         176
        .size:           4
        .value_kind:     hidden_dynamic_lds_size
    .group_segment_fixed_size: 0
    .kernarg_segment_align: 8
    .kernarg_segment_size: 312
    .language:       OpenCL C
    .language_version:
      - 2
      - 0
    .max_flat_workgroup_size: 1024
    .name:           _ZN5aiter20topk_softplus_kernelIf6__halfDv2_fLb1ELi1EEEvPKT_PKT0_PfPimiiif
    .private_segment_fixed_size: 0
    .sgpr_count:     33
    .sgpr_spill_count: 0
    .symbol:         _ZN5aiter20topk_softplus_kernelIf6__halfDv2_fLb1ELi1EEEvPKT_PKT0_PfPimiiif.kd
    .uniform_work_group_size: 1
    .uses_dynamic_stack: false
    .vgpr_count:     17
    .vgpr_spill_count: 0
    .wavefront_size: 64
  - .agpr_count:     0
    .args:
      - .actual_access:  read_only
        .address_space:  global
        .offset:         0
        .size:           8
        .value_kind:     global_buffer
      - .actual_access:  read_only
        .address_space:  global
        .offset:         8
        .size:           8
        .value_kind:     global_buffer
      - .actual_access:  write_only
        .address_space:  global
        .offset:         16
        .size:           8
        .value_kind:     global_buffer
      - .actual_access:  write_only
        .address_space:  global
        .offset:         24
        .size:           8
        .value_kind:     global_buffer
      - .offset:         32
        .size:           8
        .value_kind:     by_value
      - .offset:         40
        .size:           4
        .value_kind:     by_value
      - .offset:         44
        .size:           4
        .value_kind:     by_value
      - .offset:         48
        .size:           4
        .value_kind:     by_value
      - .offset:         52
        .size:           4
        .value_kind:     by_value
      - .offset:         56
        .size:           4
        .value_kind:     hidden_block_count_x
      - .offset:         60
        .size:           4
        .value_kind:     hidden_block_count_y
      - .offset:         64
        .size:           4
        .value_kind:     hidden_block_count_z
      - .offset:         68
        .size:           2
        .value_kind:     hidden_group_size_x
      - .offset:         70
        .size:           2
        .value_kind:     hidden_group_size_y
      - .offset:         72
        .size:           2
        .value_kind:     hidden_group_size_z
      - .offset:         74
        .size:           2
        .value_kind:     hidden_remainder_x
      - .offset:         76
        .size:           2
        .value_kind:     hidden_remainder_y
      - .offset:         78
        .size:           2
        .value_kind:     hidden_remainder_z
      - .offset:         96
        .size:           8
        .value_kind:     hidden_global_offset_x
      - .offset:         104
        .size:           8
        .value_kind:     hidden_global_offset_y
      - .offset:         112
        .size:           8
        .value_kind:     hidden_global_offset_z
      - .offset:         120
        .size:           2
        .value_kind:     hidden_grid_dims
      - .offset:         176
        .size:           4
        .value_kind:     hidden_dynamic_lds_size
    .group_segment_fixed_size: 0
    .kernarg_segment_align: 8
    .kernarg_segment_size: 312
    .language:       OpenCL C
    .language_version:
      - 2
      - 0
    .max_flat_workgroup_size: 1024
    .name:           _ZN5aiter20topk_softplus_kernelIf6__halfDv2_fLb0ELi1EEEvPKT_PKT0_PfPimiiif
    .private_segment_fixed_size: 0
    .sgpr_count:     33
    .sgpr_spill_count: 0
    .symbol:         _ZN5aiter20topk_softplus_kernelIf6__halfDv2_fLb0ELi1EEEvPKT_PKT0_PfPimiiif.kd
    .uniform_work_group_size: 1
    .uses_dynamic_stack: false
    .vgpr_count:     16
    .vgpr_spill_count: 0
    .wavefront_size: 64
  - .agpr_count:     0
    .args:
      - .actual_access:  read_only
        .address_space:  global
        .offset:         0
        .size:           8
        .value_kind:     global_buffer
      - .actual_access:  read_only
        .address_space:  global
        .offset:         8
        .size:           8
        .value_kind:     global_buffer
      - .actual_access:  write_only
        .address_space:  global
        .offset:         16
        .size:           8
        .value_kind:     global_buffer
      - .actual_access:  write_only
        .address_space:  global
        .offset:         24
        .size:           8
        .value_kind:     global_buffer
      - .offset:         32
        .size:           8
        .value_kind:     by_value
      - .offset:         40
        .size:           4
        .value_kind:     by_value
      - .offset:         44
        .size:           4
        .value_kind:     by_value
      - .offset:         48
        .size:           4
        .value_kind:     by_value
      - .offset:         52
        .size:           4
        .value_kind:     by_value
      - .offset:         56
        .size:           4
        .value_kind:     hidden_block_count_x
      - .offset:         60
        .size:           4
        .value_kind:     hidden_block_count_y
      - .offset:         64
        .size:           4
        .value_kind:     hidden_block_count_z
      - .offset:         68
        .size:           2
        .value_kind:     hidden_group_size_x
      - .offset:         70
        .size:           2
        .value_kind:     hidden_group_size_y
      - .offset:         72
        .size:           2
        .value_kind:     hidden_group_size_z
      - .offset:         74
        .size:           2
        .value_kind:     hidden_remainder_x
      - .offset:         76
        .size:           2
        .value_kind:     hidden_remainder_y
      - .offset:         78
        .size:           2
        .value_kind:     hidden_remainder_z
      - .offset:         96
        .size:           8
        .value_kind:     hidden_global_offset_x
      - .offset:         104
        .size:           8
        .value_kind:     hidden_global_offset_y
      - .offset:         112
        .size:           8
        .value_kind:     hidden_global_offset_z
      - .offset:         120
        .size:           2
        .value_kind:     hidden_grid_dims
      - .offset:         176
        .size:           4
        .value_kind:     hidden_dynamic_lds_size
    .group_segment_fixed_size: 0
    .kernarg_segment_align: 8
    .kernarg_segment_size: 312
    .language:       OpenCL C
    .language_version:
      - 2
      - 0
    .max_flat_workgroup_size: 1024
    .name:           _ZN5aiter20topk_softplus_kernelIf6__halfDv1_fLb1ELi1EEEvPKT_PKT0_PfPimiiif
    .private_segment_fixed_size: 0
    .sgpr_count:     28
    .sgpr_spill_count: 0
    .symbol:         _ZN5aiter20topk_softplus_kernelIf6__halfDv1_fLb1ELi1EEEvPKT_PKT0_PfPimiiif.kd
    .uniform_work_group_size: 1
    .uses_dynamic_stack: false
    .vgpr_count:     13
    .vgpr_spill_count: 0
    .wavefront_size: 64
  - .agpr_count:     0
    .args:
      - .actual_access:  read_only
        .address_space:  global
        .offset:         0
        .size:           8
        .value_kind:     global_buffer
      - .actual_access:  read_only
        .address_space:  global
        .offset:         8
        .size:           8
        .value_kind:     global_buffer
      - .actual_access:  write_only
        .address_space:  global
        .offset:         16
        .size:           8
        .value_kind:     global_buffer
      - .actual_access:  write_only
        .address_space:  global
        .offset:         24
        .size:           8
        .value_kind:     global_buffer
      - .offset:         32
        .size:           8
        .value_kind:     by_value
      - .offset:         40
        .size:           4
        .value_kind:     by_value
      - .offset:         44
        .size:           4
        .value_kind:     by_value
      - .offset:         48
        .size:           4
        .value_kind:     by_value
      - .offset:         52
        .size:           4
        .value_kind:     by_value
      - .offset:         56
        .size:           4
        .value_kind:     hidden_block_count_x
      - .offset:         60
        .size:           4
        .value_kind:     hidden_block_count_y
      - .offset:         64
        .size:           4
        .value_kind:     hidden_block_count_z
      - .offset:         68
        .size:           2
        .value_kind:     hidden_group_size_x
      - .offset:         70
        .size:           2
        .value_kind:     hidden_group_size_y
      - .offset:         72
        .size:           2
        .value_kind:     hidden_group_size_z
      - .offset:         74
        .size:           2
        .value_kind:     hidden_remainder_x
      - .offset:         76
        .size:           2
        .value_kind:     hidden_remainder_y
      - .offset:         78
        .size:           2
        .value_kind:     hidden_remainder_z
      - .offset:         96
        .size:           8
        .value_kind:     hidden_global_offset_x
      - .offset:         104
        .size:           8
        .value_kind:     hidden_global_offset_y
      - .offset:         112
        .size:           8
        .value_kind:     hidden_global_offset_z
      - .offset:         120
        .size:           2
        .value_kind:     hidden_grid_dims
      - .offset:         176
        .size:           4
        .value_kind:     hidden_dynamic_lds_size
    .group_segment_fixed_size: 0
    .kernarg_segment_align: 8
    .kernarg_segment_size: 312
    .language:       OpenCL C
    .language_version:
      - 2
      - 0
    .max_flat_workgroup_size: 1024
    .name:           _ZN5aiter20topk_softplus_kernelIf6__halfDv1_fLb0ELi1EEEvPKT_PKT0_PfPimiiif
    .private_segment_fixed_size: 0
    .sgpr_count:     28
    .sgpr_spill_count: 0
    .symbol:         _ZN5aiter20topk_softplus_kernelIf6__halfDv1_fLb0ELi1EEEvPKT_PKT0_PfPimiiif.kd
    .uniform_work_group_size: 1
    .uses_dynamic_stack: false
    .vgpr_count:     12
    .vgpr_spill_count: 0
    .wavefront_size: 64
  - .agpr_count:     0
    .args:
      - .actual_access:  read_only
        .address_space:  global
        .offset:         0
        .size:           8
        .value_kind:     global_buffer
      - .actual_access:  read_only
        .address_space:  global
        .offset:         8
        .size:           8
        .value_kind:     global_buffer
      - .actual_access:  write_only
        .address_space:  global
        .offset:         16
        .size:           8
        .value_kind:     global_buffer
      - .actual_access:  write_only
        .address_space:  global
        .offset:         24
        .size:           8
        .value_kind:     global_buffer
      - .offset:         32
        .size:           8
        .value_kind:     by_value
      - .offset:         40
        .size:           4
        .value_kind:     by_value
      - .offset:         44
        .size:           4
        .value_kind:     by_value
      - .offset:         48
        .size:           4
        .value_kind:     by_value
      - .offset:         52
        .size:           4
        .value_kind:     by_value
      - .offset:         56
        .size:           4
        .value_kind:     hidden_block_count_x
      - .offset:         60
        .size:           4
        .value_kind:     hidden_block_count_y
      - .offset:         64
        .size:           4
        .value_kind:     hidden_block_count_z
      - .offset:         68
        .size:           2
        .value_kind:     hidden_group_size_x
      - .offset:         70
        .size:           2
        .value_kind:     hidden_group_size_y
      - .offset:         72
        .size:           2
        .value_kind:     hidden_group_size_z
      - .offset:         74
        .size:           2
        .value_kind:     hidden_remainder_x
      - .offset:         76
        .size:           2
        .value_kind:     hidden_remainder_y
      - .offset:         78
        .size:           2
        .value_kind:     hidden_remainder_z
      - .offset:         96
        .size:           8
        .value_kind:     hidden_global_offset_x
      - .offset:         104
        .size:           8
        .value_kind:     hidden_global_offset_y
      - .offset:         112
        .size:           8
        .value_kind:     hidden_global_offset_z
      - .offset:         120
        .size:           2
        .value_kind:     hidden_grid_dims
      - .offset:         176
        .size:           4
        .value_kind:     hidden_dynamic_lds_size
    .group_segment_fixed_size: 0
    .kernarg_segment_align: 8
    .kernarg_segment_size: 312
    .language:       OpenCL C
    .language_version:
      - 2
      - 0
    .max_flat_workgroup_size: 1024
    .name:           _ZN5aiter20topk_softplus_kernelIf6__halfDv4_fLb1ELi2EEEvPKT_PKT0_PfPimiiif
    .private_segment_fixed_size: 0
    .sgpr_count:     29
    .sgpr_spill_count: 0
    .symbol:         _ZN5aiter20topk_softplus_kernelIf6__halfDv4_fLb1ELi2EEEvPKT_PKT0_PfPimiiif.kd
    .uniform_work_group_size: 1
    .uses_dynamic_stack: false
    .vgpr_count:     21
    .vgpr_spill_count: 0
    .wavefront_size: 64
  - .agpr_count:     0
    .args:
      - .actual_access:  read_only
        .address_space:  global
        .offset:         0
        .size:           8
        .value_kind:     global_buffer
      - .actual_access:  read_only
        .address_space:  global
        .offset:         8
        .size:           8
        .value_kind:     global_buffer
      - .actual_access:  write_only
        .address_space:  global
        .offset:         16
        .size:           8
        .value_kind:     global_buffer
      - .actual_access:  write_only
        .address_space:  global
        .offset:         24
        .size:           8
        .value_kind:     global_buffer
      - .offset:         32
        .size:           8
        .value_kind:     by_value
      - .offset:         40
        .size:           4
        .value_kind:     by_value
      - .offset:         44
        .size:           4
        .value_kind:     by_value
      - .offset:         48
        .size:           4
        .value_kind:     by_value
      - .offset:         52
        .size:           4
        .value_kind:     by_value
      - .offset:         56
        .size:           4
        .value_kind:     hidden_block_count_x
      - .offset:         60
        .size:           4
        .value_kind:     hidden_block_count_y
      - .offset:         64
        .size:           4
        .value_kind:     hidden_block_count_z
      - .offset:         68
        .size:           2
        .value_kind:     hidden_group_size_x
      - .offset:         70
        .size:           2
        .value_kind:     hidden_group_size_y
      - .offset:         72
        .size:           2
        .value_kind:     hidden_group_size_z
      - .offset:         74
        .size:           2
        .value_kind:     hidden_remainder_x
      - .offset:         76
        .size:           2
        .value_kind:     hidden_remainder_y
      - .offset:         78
        .size:           2
        .value_kind:     hidden_remainder_z
      - .offset:         96
        .size:           8
        .value_kind:     hidden_global_offset_x
      - .offset:         104
        .size:           8
        .value_kind:     hidden_global_offset_y
      - .offset:         112
        .size:           8
        .value_kind:     hidden_global_offset_z
      - .offset:         120
        .size:           2
        .value_kind:     hidden_grid_dims
      - .offset:         176
        .size:           4
        .value_kind:     hidden_dynamic_lds_size
    .group_segment_fixed_size: 0
    .kernarg_segment_align: 8
    .kernarg_segment_size: 312
    .language:       OpenCL C
    .language_version:
      - 2
      - 0
    .max_flat_workgroup_size: 1024
    .name:           _ZN5aiter20topk_softplus_kernelIf6__halfDv4_fLb0ELi2EEEvPKT_PKT0_PfPimiiif
    .private_segment_fixed_size: 0
    .sgpr_count:     29
    .sgpr_spill_count: 0
    .symbol:         _ZN5aiter20topk_softplus_kernelIf6__halfDv4_fLb0ELi2EEEvPKT_PKT0_PfPimiiif.kd
    .uniform_work_group_size: 1
    .uses_dynamic_stack: false
    .vgpr_count:     20
    .vgpr_spill_count: 0
    .wavefront_size: 64
  - .agpr_count:     0
    .args:
      - .actual_access:  read_only
        .address_space:  global
        .offset:         0
        .size:           8
        .value_kind:     global_buffer
      - .actual_access:  read_only
        .address_space:  global
        .offset:         8
        .size:           8
        .value_kind:     global_buffer
      - .actual_access:  write_only
        .address_space:  global
        .offset:         16
        .size:           8
        .value_kind:     global_buffer
      - .actual_access:  write_only
        .address_space:  global
        .offset:         24
        .size:           8
        .value_kind:     global_buffer
      - .offset:         32
        .size:           8
        .value_kind:     by_value
      - .offset:         40
        .size:           4
        .value_kind:     by_value
      - .offset:         44
        .size:           4
        .value_kind:     by_value
      - .offset:         48
        .size:           4
        .value_kind:     by_value
      - .offset:         52
        .size:           4
        .value_kind:     by_value
      - .offset:         56
        .size:           4
        .value_kind:     hidden_block_count_x
      - .offset:         60
        .size:           4
        .value_kind:     hidden_block_count_y
      - .offset:         64
        .size:           4
        .value_kind:     hidden_block_count_z
      - .offset:         68
        .size:           2
        .value_kind:     hidden_group_size_x
      - .offset:         70
        .size:           2
        .value_kind:     hidden_group_size_y
      - .offset:         72
        .size:           2
        .value_kind:     hidden_group_size_z
      - .offset:         74
        .size:           2
        .value_kind:     hidden_remainder_x
      - .offset:         76
        .size:           2
        .value_kind:     hidden_remainder_y
      - .offset:         78
        .size:           2
        .value_kind:     hidden_remainder_z
      - .offset:         96
        .size:           8
        .value_kind:     hidden_global_offset_x
      - .offset:         104
        .size:           8
        .value_kind:     hidden_global_offset_y
      - .offset:         112
        .size:           8
        .value_kind:     hidden_global_offset_z
      - .offset:         120
        .size:           2
        .value_kind:     hidden_grid_dims
      - .offset:         176
        .size:           4
        .value_kind:     hidden_dynamic_lds_size
    .group_segment_fixed_size: 0
    .kernarg_segment_align: 8
    .kernarg_segment_size: 312
    .language:       OpenCL C
    .language_version:
      - 2
      - 0
    .max_flat_workgroup_size: 1024
    .name:           _ZN5aiter20topk_softplus_kernelIf6__halfDv2_fLb1ELi2EEEvPKT_PKT0_PfPimiiif
    .private_segment_fixed_size: 0
    .sgpr_count:     29
    .sgpr_spill_count: 0
    .symbol:         _ZN5aiter20topk_softplus_kernelIf6__halfDv2_fLb1ELi2EEEvPKT_PKT0_PfPimiiif.kd
    .uniform_work_group_size: 1
    .uses_dynamic_stack: false
    .vgpr_count:     17
    .vgpr_spill_count: 0
    .wavefront_size: 64
  - .agpr_count:     0
    .args:
      - .actual_access:  read_only
        .address_space:  global
        .offset:         0
        .size:           8
        .value_kind:     global_buffer
      - .actual_access:  read_only
        .address_space:  global
        .offset:         8
        .size:           8
        .value_kind:     global_buffer
      - .actual_access:  write_only
        .address_space:  global
        .offset:         16
        .size:           8
        .value_kind:     global_buffer
      - .actual_access:  write_only
        .address_space:  global
        .offset:         24
        .size:           8
        .value_kind:     global_buffer
      - .offset:         32
        .size:           8
        .value_kind:     by_value
      - .offset:         40
        .size:           4
        .value_kind:     by_value
      - .offset:         44
        .size:           4
        .value_kind:     by_value
      - .offset:         48
        .size:           4
        .value_kind:     by_value
      - .offset:         52
        .size:           4
        .value_kind:     by_value
      - .offset:         56
        .size:           4
        .value_kind:     hidden_block_count_x
      - .offset:         60
        .size:           4
        .value_kind:     hidden_block_count_y
      - .offset:         64
        .size:           4
        .value_kind:     hidden_block_count_z
      - .offset:         68
        .size:           2
        .value_kind:     hidden_group_size_x
      - .offset:         70
        .size:           2
        .value_kind:     hidden_group_size_y
      - .offset:         72
        .size:           2
        .value_kind:     hidden_group_size_z
      - .offset:         74
        .size:           2
        .value_kind:     hidden_remainder_x
      - .offset:         76
        .size:           2
        .value_kind:     hidden_remainder_y
      - .offset:         78
        .size:           2
        .value_kind:     hidden_remainder_z
      - .offset:         96
        .size:           8
        .value_kind:     hidden_global_offset_x
      - .offset:         104
        .size:           8
        .value_kind:     hidden_global_offset_y
      - .offset:         112
        .size:           8
        .value_kind:     hidden_global_offset_z
      - .offset:         120
        .size:           2
        .value_kind:     hidden_grid_dims
      - .offset:         176
        .size:           4
        .value_kind:     hidden_dynamic_lds_size
    .group_segment_fixed_size: 0
    .kernarg_segment_align: 8
    .kernarg_segment_size: 312
    .language:       OpenCL C
    .language_version:
      - 2
      - 0
    .max_flat_workgroup_size: 1024
    .name:           _ZN5aiter20topk_softplus_kernelIf6__halfDv2_fLb0ELi2EEEvPKT_PKT0_PfPimiiif
    .private_segment_fixed_size: 0
    .sgpr_count:     29
    .sgpr_spill_count: 0
    .symbol:         _ZN5aiter20topk_softplus_kernelIf6__halfDv2_fLb0ELi2EEEvPKT_PKT0_PfPimiiif.kd
    .uniform_work_group_size: 1
    .uses_dynamic_stack: false
    .vgpr_count:     16
    .vgpr_spill_count: 0
    .wavefront_size: 64
  - .agpr_count:     0
    .args:
      - .actual_access:  read_only
        .address_space:  global
        .offset:         0
        .size:           8
        .value_kind:     global_buffer
      - .actual_access:  read_only
        .address_space:  global
        .offset:         8
        .size:           8
        .value_kind:     global_buffer
      - .actual_access:  write_only
        .address_space:  global
        .offset:         16
        .size:           8
        .value_kind:     global_buffer
      - .actual_access:  write_only
        .address_space:  global
        .offset:         24
        .size:           8
        .value_kind:     global_buffer
      - .offset:         32
        .size:           8
        .value_kind:     by_value
      - .offset:         40
        .size:           4
        .value_kind:     by_value
      - .offset:         44
        .size:           4
        .value_kind:     by_value
      - .offset:         48
        .size:           4
        .value_kind:     by_value
      - .offset:         52
        .size:           4
        .value_kind:     by_value
      - .offset:         56
        .size:           4
        .value_kind:     hidden_block_count_x
      - .offset:         60
        .size:           4
        .value_kind:     hidden_block_count_y
      - .offset:         64
        .size:           4
        .value_kind:     hidden_block_count_z
      - .offset:         68
        .size:           2
        .value_kind:     hidden_group_size_x
      - .offset:         70
        .size:           2
        .value_kind:     hidden_group_size_y
      - .offset:         72
        .size:           2
        .value_kind:     hidden_group_size_z
      - .offset:         74
        .size:           2
        .value_kind:     hidden_remainder_x
      - .offset:         76
        .size:           2
        .value_kind:     hidden_remainder_y
      - .offset:         78
        .size:           2
        .value_kind:     hidden_remainder_z
      - .offset:         96
        .size:           8
        .value_kind:     hidden_global_offset_x
      - .offset:         104
        .size:           8
        .value_kind:     hidden_global_offset_y
      - .offset:         112
        .size:           8
        .value_kind:     hidden_global_offset_z
      - .offset:         120
        .size:           2
        .value_kind:     hidden_grid_dims
      - .offset:         176
        .size:           4
        .value_kind:     hidden_dynamic_lds_size
    .group_segment_fixed_size: 0
    .kernarg_segment_align: 8
    .kernarg_segment_size: 312
    .language:       OpenCL C
    .language_version:
      - 2
      - 0
    .max_flat_workgroup_size: 1024
    .name:           _ZN5aiter20topk_softplus_kernelIf6__halfDv1_fLb1ELi2EEEvPKT_PKT0_PfPimiiif
    .private_segment_fixed_size: 0
    .sgpr_count:     28
    .sgpr_spill_count: 0
    .symbol:         _ZN5aiter20topk_softplus_kernelIf6__halfDv1_fLb1ELi2EEEvPKT_PKT0_PfPimiiif.kd
    .uniform_work_group_size: 1
    .uses_dynamic_stack: false
    .vgpr_count:     13
    .vgpr_spill_count: 0
    .wavefront_size: 64
  - .agpr_count:     0
    .args:
      - .actual_access:  read_only
        .address_space:  global
        .offset:         0
        .size:           8
        .value_kind:     global_buffer
      - .actual_access:  read_only
        .address_space:  global
        .offset:         8
        .size:           8
        .value_kind:     global_buffer
      - .actual_access:  write_only
        .address_space:  global
        .offset:         16
        .size:           8
        .value_kind:     global_buffer
      - .actual_access:  write_only
        .address_space:  global
        .offset:         24
        .size:           8
        .value_kind:     global_buffer
      - .offset:         32
        .size:           8
        .value_kind:     by_value
      - .offset:         40
        .size:           4
        .value_kind:     by_value
      - .offset:         44
        .size:           4
        .value_kind:     by_value
      - .offset:         48
        .size:           4
        .value_kind:     by_value
      - .offset:         52
        .size:           4
        .value_kind:     by_value
      - .offset:         56
        .size:           4
        .value_kind:     hidden_block_count_x
      - .offset:         60
        .size:           4
        .value_kind:     hidden_block_count_y
      - .offset:         64
        .size:           4
        .value_kind:     hidden_block_count_z
      - .offset:         68
        .size:           2
        .value_kind:     hidden_group_size_x
      - .offset:         70
        .size:           2
        .value_kind:     hidden_group_size_y
      - .offset:         72
        .size:           2
        .value_kind:     hidden_group_size_z
      - .offset:         74
        .size:           2
        .value_kind:     hidden_remainder_x
      - .offset:         76
        .size:           2
        .value_kind:     hidden_remainder_y
      - .offset:         78
        .size:           2
        .value_kind:     hidden_remainder_z
      - .offset:         96
        .size:           8
        .value_kind:     hidden_global_offset_x
      - .offset:         104
        .size:           8
        .value_kind:     hidden_global_offset_y
      - .offset:         112
        .size:           8
        .value_kind:     hidden_global_offset_z
      - .offset:         120
        .size:           2
        .value_kind:     hidden_grid_dims
      - .offset:         176
        .size:           4
        .value_kind:     hidden_dynamic_lds_size
    .group_segment_fixed_size: 0
    .kernarg_segment_align: 8
    .kernarg_segment_size: 312
    .language:       OpenCL C
    .language_version:
      - 2
      - 0
    .max_flat_workgroup_size: 1024
    .name:           _ZN5aiter20topk_softplus_kernelIf6__halfDv1_fLb0ELi2EEEvPKT_PKT0_PfPimiiif
    .private_segment_fixed_size: 0
    .sgpr_count:     28
    .sgpr_spill_count: 0
    .symbol:         _ZN5aiter20topk_softplus_kernelIf6__halfDv1_fLb0ELi2EEEvPKT_PKT0_PfPimiiif.kd
    .uniform_work_group_size: 1
    .uses_dynamic_stack: false
    .vgpr_count:     12
    .vgpr_spill_count: 0
    .wavefront_size: 64
  - .agpr_count:     0
    .args:
      - .actual_access:  read_only
        .address_space:  global
        .offset:         0
        .size:           8
        .value_kind:     global_buffer
      - .actual_access:  read_only
        .address_space:  global
        .offset:         8
        .size:           8
        .value_kind:     global_buffer
      - .actual_access:  write_only
        .address_space:  global
        .offset:         16
        .size:           8
        .value_kind:     global_buffer
      - .actual_access:  write_only
        .address_space:  global
        .offset:         24
        .size:           8
        .value_kind:     global_buffer
      - .offset:         32
        .size:           8
        .value_kind:     by_value
      - .offset:         40
        .size:           4
        .value_kind:     by_value
      - .offset:         44
        .size:           4
        .value_kind:     by_value
      - .offset:         48
        .size:           4
        .value_kind:     by_value
    .group_segment_fixed_size: 0
    .kernarg_segment_align: 8
    .kernarg_segment_size: 52
    .language:       OpenCL C
    .language_version:
      - 2
      - 0
    .max_flat_workgroup_size: 1024
    .name:           _ZN5aiter24topk_softplus_kernel_optIf6__halfLi64ELb1ELi0EEEvPKT_PKT0_PfPimiif
    .private_segment_fixed_size: 0
    .sgpr_count:     17
    .sgpr_spill_count: 0
    .symbol:         _ZN5aiter24topk_softplus_kernel_optIf6__halfLi64ELb1ELi0EEEvPKT_PKT0_PfPimiif.kd
    .uniform_work_group_size: 1
    .uses_dynamic_stack: false
    .vgpr_count:     14
    .vgpr_spill_count: 0
    .wavefront_size: 64
  - .agpr_count:     0
    .args:
      - .actual_access:  read_only
        .address_space:  global
        .offset:         0
        .size:           8
        .value_kind:     global_buffer
      - .actual_access:  read_only
        .address_space:  global
        .offset:         8
        .size:           8
        .value_kind:     global_buffer
      - .actual_access:  write_only
        .address_space:  global
        .offset:         16
        .size:           8
        .value_kind:     global_buffer
      - .actual_access:  write_only
        .address_space:  global
        .offset:         24
        .size:           8
        .value_kind:     global_buffer
      - .offset:         32
        .size:           8
        .value_kind:     by_value
      - .offset:         40
        .size:           4
        .value_kind:     by_value
      - .offset:         44
        .size:           4
        .value_kind:     by_value
      - .offset:         48
        .size:           4
        .value_kind:     by_value
    .group_segment_fixed_size: 0
    .kernarg_segment_align: 8
    .kernarg_segment_size: 52
    .language:       OpenCL C
    .language_version:
      - 2
      - 0
    .max_flat_workgroup_size: 1024
    .name:           _ZN5aiter24topk_softplus_kernel_optIf6__halfLi64ELb0ELi0EEEvPKT_PKT0_PfPimiif
    .private_segment_fixed_size: 0
    .sgpr_count:     17
    .sgpr_spill_count: 0
    .symbol:         _ZN5aiter24topk_softplus_kernel_optIf6__halfLi64ELb0ELi0EEEvPKT_PKT0_PfPimiif.kd
    .uniform_work_group_size: 1
    .uses_dynamic_stack: false
    .vgpr_count:     13
    .vgpr_spill_count: 0
    .wavefront_size: 64
  - .agpr_count:     0
    .args:
      - .actual_access:  read_only
        .address_space:  global
        .offset:         0
        .size:           8
        .value_kind:     global_buffer
      - .actual_access:  read_only
        .address_space:  global
        .offset:         8
        .size:           8
        .value_kind:     global_buffer
      - .actual_access:  write_only
        .address_space:  global
        .offset:         16
        .size:           8
        .value_kind:     global_buffer
      - .actual_access:  write_only
        .address_space:  global
        .offset:         24
        .size:           8
        .value_kind:     global_buffer
      - .offset:         32
        .size:           8
        .value_kind:     by_value
      - .offset:         40
        .size:           4
        .value_kind:     by_value
      - .offset:         44
        .size:           4
        .value_kind:     by_value
      - .offset:         48
        .size:           4
        .value_kind:     by_value
    .group_segment_fixed_size: 0
    .kernarg_segment_align: 8
    .kernarg_segment_size: 52
    .language:       OpenCL C
    .language_version:
      - 2
      - 0
    .max_flat_workgroup_size: 1024
    .name:           _ZN5aiter24topk_softplus_kernel_optIf6__halfLi128ELb1ELi0EEEvPKT_PKT0_PfPimiif
    .private_segment_fixed_size: 0
    .sgpr_count:     19
    .sgpr_spill_count: 0
    .symbol:         _ZN5aiter24topk_softplus_kernel_optIf6__halfLi128ELb1ELi0EEEvPKT_PKT0_PfPimiif.kd
    .uniform_work_group_size: 1
    .uses_dynamic_stack: false
    .vgpr_count:     21
    .vgpr_spill_count: 0
    .wavefront_size: 64
  - .agpr_count:     0
    .args:
      - .actual_access:  read_only
        .address_space:  global
        .offset:         0
        .size:           8
        .value_kind:     global_buffer
      - .actual_access:  read_only
        .address_space:  global
        .offset:         8
        .size:           8
        .value_kind:     global_buffer
      - .actual_access:  write_only
        .address_space:  global
        .offset:         16
        .size:           8
        .value_kind:     global_buffer
      - .actual_access:  write_only
        .address_space:  global
        .offset:         24
        .size:           8
        .value_kind:     global_buffer
      - .offset:         32
        .size:           8
        .value_kind:     by_value
      - .offset:         40
        .size:           4
        .value_kind:     by_value
      - .offset:         44
        .size:           4
        .value_kind:     by_value
      - .offset:         48
        .size:           4
        .value_kind:     by_value
    .group_segment_fixed_size: 0
    .kernarg_segment_align: 8
    .kernarg_segment_size: 52
    .language:       OpenCL C
    .language_version:
      - 2
      - 0
    .max_flat_workgroup_size: 1024
    .name:           _ZN5aiter24topk_softplus_kernel_optIf6__halfLi128ELb0ELi0EEEvPKT_PKT0_PfPimiif
    .private_segment_fixed_size: 0
    .sgpr_count:     19
    .sgpr_spill_count: 0
    .symbol:         _ZN5aiter24topk_softplus_kernel_optIf6__halfLi128ELb0ELi0EEEvPKT_PKT0_PfPimiif.kd
    .uniform_work_group_size: 1
    .uses_dynamic_stack: false
    .vgpr_count:     20
    .vgpr_spill_count: 0
    .wavefront_size: 64
  - .agpr_count:     0
    .args:
      - .actual_access:  read_only
        .address_space:  global
        .offset:         0
        .size:           8
        .value_kind:     global_buffer
      - .actual_access:  read_only
        .address_space:  global
        .offset:         8
        .size:           8
        .value_kind:     global_buffer
      - .actual_access:  write_only
        .address_space:  global
        .offset:         16
        .size:           8
        .value_kind:     global_buffer
      - .actual_access:  write_only
        .address_space:  global
        .offset:         24
        .size:           8
        .value_kind:     global_buffer
      - .offset:         32
        .size:           8
        .value_kind:     by_value
      - .offset:         40
        .size:           4
        .value_kind:     by_value
      - .offset:         44
        .size:           4
        .value_kind:     by_value
      - .offset:         48
        .size:           4
        .value_kind:     by_value
    .group_segment_fixed_size: 0
    .kernarg_segment_align: 8
    .kernarg_segment_size: 52
    .language:       OpenCL C
    .language_version:
      - 2
      - 0
    .max_flat_workgroup_size: 1024
    .name:           _ZN5aiter24topk_softplus_kernel_optIf6__halfLi256ELb1ELi0EEEvPKT_PKT0_PfPimiif
    .private_segment_fixed_size: 0
    .sgpr_count:     19
    .sgpr_spill_count: 0
    .symbol:         _ZN5aiter24topk_softplus_kernel_optIf6__halfLi256ELb1ELi0EEEvPKT_PKT0_PfPimiif.kd
    .uniform_work_group_size: 1
    .uses_dynamic_stack: false
    .vgpr_count:     27
    .vgpr_spill_count: 0
    .wavefront_size: 64
  - .agpr_count:     0
    .args:
      - .actual_access:  read_only
        .address_space:  global
        .offset:         0
        .size:           8
        .value_kind:     global_buffer
      - .actual_access:  read_only
        .address_space:  global
        .offset:         8
        .size:           8
        .value_kind:     global_buffer
      - .actual_access:  write_only
        .address_space:  global
        .offset:         16
        .size:           8
        .value_kind:     global_buffer
      - .actual_access:  write_only
        .address_space:  global
        .offset:         24
        .size:           8
        .value_kind:     global_buffer
      - .offset:         32
        .size:           8
        .value_kind:     by_value
      - .offset:         40
        .size:           4
        .value_kind:     by_value
      - .offset:         44
        .size:           4
        .value_kind:     by_value
      - .offset:         48
        .size:           4
        .value_kind:     by_value
    .group_segment_fixed_size: 0
    .kernarg_segment_align: 8
    .kernarg_segment_size: 52
    .language:       OpenCL C
    .language_version:
      - 2
      - 0
    .max_flat_workgroup_size: 1024
    .name:           _ZN5aiter24topk_softplus_kernel_optIf6__halfLi256ELb0ELi0EEEvPKT_PKT0_PfPimiif
    .private_segment_fixed_size: 0
    .sgpr_count:     19
    .sgpr_spill_count: 0
    .symbol:         _ZN5aiter24topk_softplus_kernel_optIf6__halfLi256ELb0ELi0EEEvPKT_PKT0_PfPimiif.kd
    .uniform_work_group_size: 1
    .uses_dynamic_stack: false
    .vgpr_count:     26
    .vgpr_spill_count: 0
    .wavefront_size: 64
  - .agpr_count:     0
    .args:
      - .actual_access:  read_only
        .address_space:  global
        .offset:         0
        .size:           8
        .value_kind:     global_buffer
      - .actual_access:  read_only
        .address_space:  global
        .offset:         8
        .size:           8
        .value_kind:     global_buffer
      - .actual_access:  write_only
        .address_space:  global
        .offset:         16
        .size:           8
        .value_kind:     global_buffer
      - .actual_access:  write_only
        .address_space:  global
        .offset:         24
        .size:           8
        .value_kind:     global_buffer
      - .offset:         32
        .size:           8
        .value_kind:     by_value
      - .offset:         40
        .size:           4
        .value_kind:     by_value
      - .offset:         44
        .size:           4
        .value_kind:     by_value
      - .offset:         48
        .size:           4
        .value_kind:     by_value
    .group_segment_fixed_size: 0
    .kernarg_segment_align: 8
    .kernarg_segment_size: 52
    .language:       OpenCL C
    .language_version:
      - 2
      - 0
    .max_flat_workgroup_size: 1024
    .name:           _ZN5aiter24topk_softplus_kernel_optIf6__halfLi384ELb1ELi0EEEvPKT_PKT0_PfPimiif
    .private_segment_fixed_size: 0
    .sgpr_count:     26
    .sgpr_spill_count: 0
    .symbol:         _ZN5aiter24topk_softplus_kernel_optIf6__halfLi384ELb1ELi0EEEvPKT_PKT0_PfPimiif.kd
    .uniform_work_group_size: 1
    .uses_dynamic_stack: false
    .vgpr_count:     30
    .vgpr_spill_count: 0
    .wavefront_size: 64
  - .agpr_count:     0
    .args:
      - .actual_access:  read_only
        .address_space:  global
        .offset:         0
        .size:           8
        .value_kind:     global_buffer
      - .actual_access:  read_only
        .address_space:  global
        .offset:         8
        .size:           8
        .value_kind:     global_buffer
      - .actual_access:  write_only
        .address_space:  global
        .offset:         16
        .size:           8
        .value_kind:     global_buffer
      - .actual_access:  write_only
        .address_space:  global
        .offset:         24
        .size:           8
        .value_kind:     global_buffer
      - .offset:         32
        .size:           8
        .value_kind:     by_value
      - .offset:         40
        .size:           4
        .value_kind:     by_value
      - .offset:         44
        .size:           4
        .value_kind:     by_value
      - .offset:         48
        .size:           4
        .value_kind:     by_value
    .group_segment_fixed_size: 0
    .kernarg_segment_align: 8
    .kernarg_segment_size: 52
    .language:       OpenCL C
    .language_version:
      - 2
      - 0
    .max_flat_workgroup_size: 1024
    .name:           _ZN5aiter24topk_softplus_kernel_optIf6__halfLi384ELb0ELi0EEEvPKT_PKT0_PfPimiif
    .private_segment_fixed_size: 0
    .sgpr_count:     26
    .sgpr_spill_count: 0
    .symbol:         _ZN5aiter24topk_softplus_kernel_optIf6__halfLi384ELb0ELi0EEEvPKT_PKT0_PfPimiif.kd
    .uniform_work_group_size: 1
    .uses_dynamic_stack: false
    .vgpr_count:     29
    .vgpr_spill_count: 0
    .wavefront_size: 64
  - .agpr_count:     0
    .args:
      - .actual_access:  read_only
        .address_space:  global
        .offset:         0
        .size:           8
        .value_kind:     global_buffer
      - .actual_access:  read_only
        .address_space:  global
        .offset:         8
        .size:           8
        .value_kind:     global_buffer
      - .actual_access:  write_only
        .address_space:  global
        .offset:         16
        .size:           8
        .value_kind:     global_buffer
      - .actual_access:  write_only
        .address_space:  global
        .offset:         24
        .size:           8
        .value_kind:     global_buffer
      - .offset:         32
        .size:           8
        .value_kind:     by_value
      - .offset:         40
        .size:           4
        .value_kind:     by_value
      - .offset:         44
        .size:           4
        .value_kind:     by_value
      - .offset:         48
        .size:           4
        .value_kind:     by_value
      - .offset:         52
        .size:           4
        .value_kind:     by_value
      - .offset:         56
        .size:           4
        .value_kind:     hidden_block_count_x
      - .offset:         60
        .size:           4
        .value_kind:     hidden_block_count_y
      - .offset:         64
        .size:           4
        .value_kind:     hidden_block_count_z
      - .offset:         68
        .size:           2
        .value_kind:     hidden_group_size_x
      - .offset:         70
        .size:           2
        .value_kind:     hidden_group_size_y
      - .offset:         72
        .size:           2
        .value_kind:     hidden_group_size_z
      - .offset:         74
        .size:           2
        .value_kind:     hidden_remainder_x
      - .offset:         76
        .size:           2
        .value_kind:     hidden_remainder_y
      - .offset:         78
        .size:           2
        .value_kind:     hidden_remainder_z
      - .offset:         96
        .size:           8
        .value_kind:     hidden_global_offset_x
      - .offset:         104
        .size:           8
        .value_kind:     hidden_global_offset_y
      - .offset:         112
        .size:           8
        .value_kind:     hidden_global_offset_z
      - .offset:         120
        .size:           2
        .value_kind:     hidden_grid_dims
      - .offset:         176
        .size:           4
        .value_kind:     hidden_dynamic_lds_size
    .group_segment_fixed_size: 0
    .kernarg_segment_align: 8
    .kernarg_segment_size: 312
    .language:       OpenCL C
    .language_version:
      - 2
      - 0
    .max_flat_workgroup_size: 1024
    .name:           _ZN5aiter20topk_softplus_kernelIf6__halfDv4_fLb1ELi0EEEvPKT_PKT0_PfPimiiif
    .private_segment_fixed_size: 0
    .sgpr_count:     47
    .sgpr_spill_count: 0
    .symbol:         _ZN5aiter20topk_softplus_kernelIf6__halfDv4_fLb1ELi0EEEvPKT_PKT0_PfPimiiif.kd
    .uniform_work_group_size: 1
    .uses_dynamic_stack: false
    .vgpr_count:     24
    .vgpr_spill_count: 0
    .wavefront_size: 64
  - .agpr_count:     0
    .args:
      - .actual_access:  read_only
        .address_space:  global
        .offset:         0
        .size:           8
        .value_kind:     global_buffer
      - .actual_access:  read_only
        .address_space:  global
        .offset:         8
        .size:           8
        .value_kind:     global_buffer
      - .actual_access:  write_only
        .address_space:  global
        .offset:         16
        .size:           8
        .value_kind:     global_buffer
      - .actual_access:  write_only
        .address_space:  global
        .offset:         24
        .size:           8
        .value_kind:     global_buffer
      - .offset:         32
        .size:           8
        .value_kind:     by_value
      - .offset:         40
        .size:           4
        .value_kind:     by_value
      - .offset:         44
        .size:           4
        .value_kind:     by_value
      - .offset:         48
        .size:           4
        .value_kind:     by_value
      - .offset:         52
        .size:           4
        .value_kind:     by_value
      - .offset:         56
        .size:           4
        .value_kind:     hidden_block_count_x
      - .offset:         60
        .size:           4
        .value_kind:     hidden_block_count_y
      - .offset:         64
        .size:           4
        .value_kind:     hidden_block_count_z
      - .offset:         68
        .size:           2
        .value_kind:     hidden_group_size_x
      - .offset:         70
        .size:           2
        .value_kind:     hidden_group_size_y
      - .offset:         72
        .size:           2
        .value_kind:     hidden_group_size_z
      - .offset:         74
        .size:           2
        .value_kind:     hidden_remainder_x
      - .offset:         76
        .size:           2
        .value_kind:     hidden_remainder_y
      - .offset:         78
        .size:           2
        .value_kind:     hidden_remainder_z
      - .offset:         96
        .size:           8
        .value_kind:     hidden_global_offset_x
      - .offset:         104
        .size:           8
        .value_kind:     hidden_global_offset_y
      - .offset:         112
        .size:           8
        .value_kind:     hidden_global_offset_z
      - .offset:         120
        .size:           2
        .value_kind:     hidden_grid_dims
      - .offset:         176
        .size:           4
        .value_kind:     hidden_dynamic_lds_size
    .group_segment_fixed_size: 0
    .kernarg_segment_align: 8
    .kernarg_segment_size: 312
    .language:       OpenCL C
    .language_version:
      - 2
      - 0
    .max_flat_workgroup_size: 1024
    .name:           _ZN5aiter20topk_softplus_kernelIf6__halfDv4_fLb0ELi0EEEvPKT_PKT0_PfPimiiif
    .private_segment_fixed_size: 0
    .sgpr_count:     47
    .sgpr_spill_count: 0
    .symbol:         _ZN5aiter20topk_softplus_kernelIf6__halfDv4_fLb0ELi0EEEvPKT_PKT0_PfPimiiif.kd
    .uniform_work_group_size: 1
    .uses_dynamic_stack: false
    .vgpr_count:     24
    .vgpr_spill_count: 0
    .wavefront_size: 64
  - .agpr_count:     0
    .args:
      - .actual_access:  read_only
        .address_space:  global
        .offset:         0
        .size:           8
        .value_kind:     global_buffer
      - .actual_access:  read_only
        .address_space:  global
        .offset:         8
        .size:           8
        .value_kind:     global_buffer
      - .actual_access:  write_only
        .address_space:  global
        .offset:         16
        .size:           8
        .value_kind:     global_buffer
      - .actual_access:  write_only
        .address_space:  global
        .offset:         24
        .size:           8
        .value_kind:     global_buffer
      - .offset:         32
        .size:           8
        .value_kind:     by_value
      - .offset:         40
        .size:           4
        .value_kind:     by_value
      - .offset:         44
        .size:           4
        .value_kind:     by_value
      - .offset:         48
        .size:           4
        .value_kind:     by_value
      - .offset:         52
        .size:           4
        .value_kind:     by_value
      - .offset:         56
        .size:           4
        .value_kind:     hidden_block_count_x
      - .offset:         60
        .size:           4
        .value_kind:     hidden_block_count_y
      - .offset:         64
        .size:           4
        .value_kind:     hidden_block_count_z
      - .offset:         68
        .size:           2
        .value_kind:     hidden_group_size_x
      - .offset:         70
        .size:           2
        .value_kind:     hidden_group_size_y
      - .offset:         72
        .size:           2
        .value_kind:     hidden_group_size_z
      - .offset:         74
        .size:           2
        .value_kind:     hidden_remainder_x
      - .offset:         76
        .size:           2
        .value_kind:     hidden_remainder_y
      - .offset:         78
        .size:           2
        .value_kind:     hidden_remainder_z
      - .offset:         96
        .size:           8
        .value_kind:     hidden_global_offset_x
      - .offset:         104
        .size:           8
        .value_kind:     hidden_global_offset_y
      - .offset:         112
        .size:           8
        .value_kind:     hidden_global_offset_z
      - .offset:         120
        .size:           2
        .value_kind:     hidden_grid_dims
      - .offset:         176
        .size:           4
        .value_kind:     hidden_dynamic_lds_size
    .group_segment_fixed_size: 0
    .kernarg_segment_align: 8
    .kernarg_segment_size: 312
    .language:       OpenCL C
    .language_version:
      - 2
      - 0
    .max_flat_workgroup_size: 1024
    .name:           _ZN5aiter20topk_softplus_kernelIf6__halfDv2_fLb1ELi0EEEvPKT_PKT0_PfPimiiif
    .private_segment_fixed_size: 0
    .sgpr_count:     40
    .sgpr_spill_count: 0
    .symbol:         _ZN5aiter20topk_softplus_kernelIf6__halfDv2_fLb1ELi0EEEvPKT_PKT0_PfPimiiif.kd
    .uniform_work_group_size: 1
    .uses_dynamic_stack: false
    .vgpr_count:     21
    .vgpr_spill_count: 0
    .wavefront_size: 64
  - .agpr_count:     0
    .args:
      - .actual_access:  read_only
        .address_space:  global
        .offset:         0
        .size:           8
        .value_kind:     global_buffer
      - .actual_access:  read_only
        .address_space:  global
        .offset:         8
        .size:           8
        .value_kind:     global_buffer
      - .actual_access:  write_only
        .address_space:  global
        .offset:         16
        .size:           8
        .value_kind:     global_buffer
      - .actual_access:  write_only
        .address_space:  global
        .offset:         24
        .size:           8
        .value_kind:     global_buffer
      - .offset:         32
        .size:           8
        .value_kind:     by_value
      - .offset:         40
        .size:           4
        .value_kind:     by_value
      - .offset:         44
        .size:           4
        .value_kind:     by_value
      - .offset:         48
        .size:           4
        .value_kind:     by_value
      - .offset:         52
        .size:           4
        .value_kind:     by_value
      - .offset:         56
        .size:           4
        .value_kind:     hidden_block_count_x
      - .offset:         60
        .size:           4
        .value_kind:     hidden_block_count_y
      - .offset:         64
        .size:           4
        .value_kind:     hidden_block_count_z
      - .offset:         68
        .size:           2
        .value_kind:     hidden_group_size_x
      - .offset:         70
        .size:           2
        .value_kind:     hidden_group_size_y
      - .offset:         72
        .size:           2
        .value_kind:     hidden_group_size_z
      - .offset:         74
        .size:           2
        .value_kind:     hidden_remainder_x
      - .offset:         76
        .size:           2
        .value_kind:     hidden_remainder_y
      - .offset:         78
        .size:           2
        .value_kind:     hidden_remainder_z
      - .offset:         96
        .size:           8
        .value_kind:     hidden_global_offset_x
      - .offset:         104
        .size:           8
        .value_kind:     hidden_global_offset_y
      - .offset:         112
        .size:           8
        .value_kind:     hidden_global_offset_z
      - .offset:         120
        .size:           2
        .value_kind:     hidden_grid_dims
      - .offset:         176
        .size:           4
        .value_kind:     hidden_dynamic_lds_size
    .group_segment_fixed_size: 0
    .kernarg_segment_align: 8
    .kernarg_segment_size: 312
    .language:       OpenCL C
    .language_version:
      - 2
      - 0
    .max_flat_workgroup_size: 1024
    .name:           _ZN5aiter20topk_softplus_kernelIf6__halfDv2_fLb0ELi0EEEvPKT_PKT0_PfPimiiif
    .private_segment_fixed_size: 0
    .sgpr_count:     40
    .sgpr_spill_count: 0
    .symbol:         _ZN5aiter20topk_softplus_kernelIf6__halfDv2_fLb0ELi0EEEvPKT_PKT0_PfPimiiif.kd
    .uniform_work_group_size: 1
    .uses_dynamic_stack: false
    .vgpr_count:     21
    .vgpr_spill_count: 0
    .wavefront_size: 64
  - .agpr_count:     0
    .args:
      - .actual_access:  read_only
        .address_space:  global
        .offset:         0
        .size:           8
        .value_kind:     global_buffer
      - .actual_access:  read_only
        .address_space:  global
        .offset:         8
        .size:           8
        .value_kind:     global_buffer
      - .actual_access:  write_only
        .address_space:  global
        .offset:         16
        .size:           8
        .value_kind:     global_buffer
      - .actual_access:  write_only
        .address_space:  global
        .offset:         24
        .size:           8
        .value_kind:     global_buffer
      - .offset:         32
        .size:           8
        .value_kind:     by_value
      - .offset:         40
        .size:           4
        .value_kind:     by_value
      - .offset:         44
        .size:           4
        .value_kind:     by_value
      - .offset:         48
        .size:           4
        .value_kind:     by_value
      - .offset:         52
        .size:           4
        .value_kind:     by_value
      - .offset:         56
        .size:           4
        .value_kind:     hidden_block_count_x
      - .offset:         60
        .size:           4
        .value_kind:     hidden_block_count_y
      - .offset:         64
        .size:           4
        .value_kind:     hidden_block_count_z
      - .offset:         68
        .size:           2
        .value_kind:     hidden_group_size_x
      - .offset:         70
        .size:           2
        .value_kind:     hidden_group_size_y
      - .offset:         72
        .size:           2
        .value_kind:     hidden_group_size_z
      - .offset:         74
        .size:           2
        .value_kind:     hidden_remainder_x
      - .offset:         76
        .size:           2
        .value_kind:     hidden_remainder_y
      - .offset:         78
        .size:           2
        .value_kind:     hidden_remainder_z
      - .offset:         96
        .size:           8
        .value_kind:     hidden_global_offset_x
      - .offset:         104
        .size:           8
        .value_kind:     hidden_global_offset_y
      - .offset:         112
        .size:           8
        .value_kind:     hidden_global_offset_z
      - .offset:         120
        .size:           2
        .value_kind:     hidden_grid_dims
      - .offset:         176
        .size:           4
        .value_kind:     hidden_dynamic_lds_size
    .group_segment_fixed_size: 0
    .kernarg_segment_align: 8
    .kernarg_segment_size: 312
    .language:       OpenCL C
    .language_version:
      - 2
      - 0
    .max_flat_workgroup_size: 1024
    .name:           _ZN5aiter20topk_softplus_kernelIf6__halfDv1_fLb1ELi0EEEvPKT_PKT0_PfPimiiif
    .private_segment_fixed_size: 0
    .sgpr_count:     35
    .sgpr_spill_count: 0
    .symbol:         _ZN5aiter20topk_softplus_kernelIf6__halfDv1_fLb1ELi0EEEvPKT_PKT0_PfPimiiif.kd
    .uniform_work_group_size: 1
    .uses_dynamic_stack: false
    .vgpr_count:     17
    .vgpr_spill_count: 0
    .wavefront_size: 64
  - .agpr_count:     0
    .args:
      - .actual_access:  read_only
        .address_space:  global
        .offset:         0
        .size:           8
        .value_kind:     global_buffer
      - .actual_access:  read_only
        .address_space:  global
        .offset:         8
        .size:           8
        .value_kind:     global_buffer
      - .actual_access:  write_only
        .address_space:  global
        .offset:         16
        .size:           8
        .value_kind:     global_buffer
      - .actual_access:  write_only
        .address_space:  global
        .offset:         24
        .size:           8
        .value_kind:     global_buffer
      - .offset:         32
        .size:           8
        .value_kind:     by_value
      - .offset:         40
        .size:           4
        .value_kind:     by_value
      - .offset:         44
        .size:           4
        .value_kind:     by_value
      - .offset:         48
        .size:           4
        .value_kind:     by_value
      - .offset:         52
        .size:           4
        .value_kind:     by_value
      - .offset:         56
        .size:           4
        .value_kind:     hidden_block_count_x
      - .offset:         60
        .size:           4
        .value_kind:     hidden_block_count_y
      - .offset:         64
        .size:           4
        .value_kind:     hidden_block_count_z
      - .offset:         68
        .size:           2
        .value_kind:     hidden_group_size_x
      - .offset:         70
        .size:           2
        .value_kind:     hidden_group_size_y
      - .offset:         72
        .size:           2
        .value_kind:     hidden_group_size_z
      - .offset:         74
        .size:           2
        .value_kind:     hidden_remainder_x
      - .offset:         76
        .size:           2
        .value_kind:     hidden_remainder_y
      - .offset:         78
        .size:           2
        .value_kind:     hidden_remainder_z
      - .offset:         96
        .size:           8
        .value_kind:     hidden_global_offset_x
      - .offset:         104
        .size:           8
        .value_kind:     hidden_global_offset_y
      - .offset:         112
        .size:           8
        .value_kind:     hidden_global_offset_z
      - .offset:         120
        .size:           2
        .value_kind:     hidden_grid_dims
      - .offset:         176
        .size:           4
        .value_kind:     hidden_dynamic_lds_size
    .group_segment_fixed_size: 0
    .kernarg_segment_align: 8
    .kernarg_segment_size: 312
    .language:       OpenCL C
    .language_version:
      - 2
      - 0
    .max_flat_workgroup_size: 1024
    .name:           _ZN5aiter20topk_softplus_kernelIf6__halfDv1_fLb0ELi0EEEvPKT_PKT0_PfPimiiif
    .private_segment_fixed_size: 0
    .sgpr_count:     35
    .sgpr_spill_count: 0
    .symbol:         _ZN5aiter20topk_softplus_kernelIf6__halfDv1_fLb0ELi0EEEvPKT_PKT0_PfPimiiif.kd
    .uniform_work_group_size: 1
    .uses_dynamic_stack: false
    .vgpr_count:     17
    .vgpr_spill_count: 0
    .wavefront_size: 64
  - .agpr_count:     0
    .args:
      - .actual_access:  read_only
        .address_space:  global
        .offset:         0
        .size:           8
        .value_kind:     global_buffer
      - .actual_access:  read_only
        .address_space:  global
        .offset:         8
        .size:           8
        .value_kind:     global_buffer
      - .actual_access:  write_only
        .address_space:  global
        .offset:         16
        .size:           8
        .value_kind:     global_buffer
      - .actual_access:  write_only
        .address_space:  global
        .offset:         24
        .size:           8
        .value_kind:     global_buffer
      - .offset:         32
        .size:           8
        .value_kind:     by_value
      - .offset:         40
        .size:           4
        .value_kind:     by_value
      - .offset:         44
        .size:           4
        .value_kind:     by_value
      - .offset:         48
        .size:           4
        .value_kind:     by_value
    .group_segment_fixed_size: 0
    .kernarg_segment_align: 8
    .kernarg_segment_size: 52
    .language:       OpenCL C
    .language_version:
      - 2
      - 0
    .max_flat_workgroup_size: 1024
    .name:           _ZN5aiter24topk_softplus_kernel_optIf12hip_bfloat16Li64ELb1ELi1EEEvPKT_PKT0_PfPimiif
    .private_segment_fixed_size: 0
    .sgpr_count:     17
    .sgpr_spill_count: 0
    .symbol:         _ZN5aiter24topk_softplus_kernel_optIf12hip_bfloat16Li64ELb1ELi1EEEvPKT_PKT0_PfPimiif.kd
    .uniform_work_group_size: 1
    .uses_dynamic_stack: false
    .vgpr_count:     14
    .vgpr_spill_count: 0
    .wavefront_size: 64
  - .agpr_count:     0
    .args:
      - .actual_access:  read_only
        .address_space:  global
        .offset:         0
        .size:           8
        .value_kind:     global_buffer
      - .actual_access:  read_only
        .address_space:  global
        .offset:         8
        .size:           8
        .value_kind:     global_buffer
      - .actual_access:  write_only
        .address_space:  global
        .offset:         16
        .size:           8
        .value_kind:     global_buffer
      - .actual_access:  write_only
        .address_space:  global
        .offset:         24
        .size:           8
        .value_kind:     global_buffer
      - .offset:         32
        .size:           8
        .value_kind:     by_value
      - .offset:         40
        .size:           4
        .value_kind:     by_value
      - .offset:         44
        .size:           4
        .value_kind:     by_value
      - .offset:         48
        .size:           4
        .value_kind:     by_value
    .group_segment_fixed_size: 0
    .kernarg_segment_align: 8
    .kernarg_segment_size: 52
    .language:       OpenCL C
    .language_version:
      - 2
      - 0
    .max_flat_workgroup_size: 1024
    .name:           _ZN5aiter24topk_softplus_kernel_optIf12hip_bfloat16Li64ELb0ELi1EEEvPKT_PKT0_PfPimiif
    .private_segment_fixed_size: 0
    .sgpr_count:     17
    .sgpr_spill_count: 0
    .symbol:         _ZN5aiter24topk_softplus_kernel_optIf12hip_bfloat16Li64ELb0ELi1EEEvPKT_PKT0_PfPimiif.kd
    .uniform_work_group_size: 1
    .uses_dynamic_stack: false
    .vgpr_count:     13
    .vgpr_spill_count: 0
    .wavefront_size: 64
  - .agpr_count:     0
    .args:
      - .actual_access:  read_only
        .address_space:  global
        .offset:         0
        .size:           8
        .value_kind:     global_buffer
      - .actual_access:  read_only
        .address_space:  global
        .offset:         8
        .size:           8
        .value_kind:     global_buffer
      - .actual_access:  write_only
        .address_space:  global
        .offset:         16
        .size:           8
        .value_kind:     global_buffer
      - .actual_access:  write_only
        .address_space:  global
        .offset:         24
        .size:           8
        .value_kind:     global_buffer
      - .offset:         32
        .size:           8
        .value_kind:     by_value
      - .offset:         40
        .size:           4
        .value_kind:     by_value
      - .offset:         44
        .size:           4
        .value_kind:     by_value
      - .offset:         48
        .size:           4
        .value_kind:     by_value
    .group_segment_fixed_size: 0
    .kernarg_segment_align: 8
    .kernarg_segment_size: 52
    .language:       OpenCL C
    .language_version:
      - 2
      - 0
    .max_flat_workgroup_size: 1024
    .name:           _ZN5aiter24topk_softplus_kernel_optIf12hip_bfloat16Li128ELb1ELi1EEEvPKT_PKT0_PfPimiif
    .private_segment_fixed_size: 0
    .sgpr_count:     17
    .sgpr_spill_count: 0
    .symbol:         _ZN5aiter24topk_softplus_kernel_optIf12hip_bfloat16Li128ELb1ELi1EEEvPKT_PKT0_PfPimiif.kd
    .uniform_work_group_size: 1
    .uses_dynamic_stack: false
    .vgpr_count:     21
    .vgpr_spill_count: 0
    .wavefront_size: 64
  - .agpr_count:     0
    .args:
      - .actual_access:  read_only
        .address_space:  global
        .offset:         0
        .size:           8
        .value_kind:     global_buffer
      - .actual_access:  read_only
        .address_space:  global
        .offset:         8
        .size:           8
        .value_kind:     global_buffer
      - .actual_access:  write_only
        .address_space:  global
        .offset:         16
        .size:           8
        .value_kind:     global_buffer
      - .actual_access:  write_only
        .address_space:  global
        .offset:         24
        .size:           8
        .value_kind:     global_buffer
      - .offset:         32
        .size:           8
        .value_kind:     by_value
      - .offset:         40
        .size:           4
        .value_kind:     by_value
      - .offset:         44
        .size:           4
        .value_kind:     by_value
      - .offset:         48
        .size:           4
        .value_kind:     by_value
    .group_segment_fixed_size: 0
    .kernarg_segment_align: 8
    .kernarg_segment_size: 52
    .language:       OpenCL C
    .language_version:
      - 2
      - 0
    .max_flat_workgroup_size: 1024
    .name:           _ZN5aiter24topk_softplus_kernel_optIf12hip_bfloat16Li128ELb0ELi1EEEvPKT_PKT0_PfPimiif
    .private_segment_fixed_size: 0
    .sgpr_count:     17
    .sgpr_spill_count: 0
    .symbol:         _ZN5aiter24topk_softplus_kernel_optIf12hip_bfloat16Li128ELb0ELi1EEEvPKT_PKT0_PfPimiif.kd
    .uniform_work_group_size: 1
    .uses_dynamic_stack: false
    .vgpr_count:     20
    .vgpr_spill_count: 0
    .wavefront_size: 64
  - .agpr_count:     0
    .args:
      - .actual_access:  read_only
        .address_space:  global
        .offset:         0
        .size:           8
        .value_kind:     global_buffer
      - .actual_access:  read_only
        .address_space:  global
        .offset:         8
        .size:           8
        .value_kind:     global_buffer
      - .actual_access:  write_only
        .address_space:  global
        .offset:         16
        .size:           8
        .value_kind:     global_buffer
      - .actual_access:  write_only
        .address_space:  global
        .offset:         24
        .size:           8
        .value_kind:     global_buffer
      - .offset:         32
        .size:           8
        .value_kind:     by_value
      - .offset:         40
        .size:           4
        .value_kind:     by_value
      - .offset:         44
        .size:           4
        .value_kind:     by_value
      - .offset:         48
        .size:           4
        .value_kind:     by_value
    .group_segment_fixed_size: 0
    .kernarg_segment_align: 8
    .kernarg_segment_size: 52
    .language:       OpenCL C
    .language_version:
      - 2
      - 0
    .max_flat_workgroup_size: 1024
    .name:           _ZN5aiter24topk_softplus_kernel_optIf12hip_bfloat16Li256ELb1ELi1EEEvPKT_PKT0_PfPimiif
    .private_segment_fixed_size: 0
    .sgpr_count:     17
    .sgpr_spill_count: 0
    .symbol:         _ZN5aiter24topk_softplus_kernel_optIf12hip_bfloat16Li256ELb1ELi1EEEvPKT_PKT0_PfPimiif.kd
    .uniform_work_group_size: 1
    .uses_dynamic_stack: false
    .vgpr_count:     27
    .vgpr_spill_count: 0
    .wavefront_size: 64
  - .agpr_count:     0
    .args:
      - .actual_access:  read_only
        .address_space:  global
        .offset:         0
        .size:           8
        .value_kind:     global_buffer
      - .actual_access:  read_only
        .address_space:  global
        .offset:         8
        .size:           8
        .value_kind:     global_buffer
      - .actual_access:  write_only
        .address_space:  global
        .offset:         16
        .size:           8
        .value_kind:     global_buffer
      - .actual_access:  write_only
        .address_space:  global
        .offset:         24
        .size:           8
        .value_kind:     global_buffer
      - .offset:         32
        .size:           8
        .value_kind:     by_value
      - .offset:         40
        .size:           4
        .value_kind:     by_value
      - .offset:         44
        .size:           4
        .value_kind:     by_value
      - .offset:         48
        .size:           4
        .value_kind:     by_value
    .group_segment_fixed_size: 0
    .kernarg_segment_align: 8
    .kernarg_segment_size: 52
    .language:       OpenCL C
    .language_version:
      - 2
      - 0
    .max_flat_workgroup_size: 1024
    .name:           _ZN5aiter24topk_softplus_kernel_optIf12hip_bfloat16Li256ELb0ELi1EEEvPKT_PKT0_PfPimiif
    .private_segment_fixed_size: 0
    .sgpr_count:     17
    .sgpr_spill_count: 0
    .symbol:         _ZN5aiter24topk_softplus_kernel_optIf12hip_bfloat16Li256ELb0ELi1EEEvPKT_PKT0_PfPimiif.kd
    .uniform_work_group_size: 1
    .uses_dynamic_stack: false
    .vgpr_count:     26
    .vgpr_spill_count: 0
    .wavefront_size: 64
  - .agpr_count:     0
    .args:
      - .actual_access:  read_only
        .address_space:  global
        .offset:         0
        .size:           8
        .value_kind:     global_buffer
      - .actual_access:  read_only
        .address_space:  global
        .offset:         8
        .size:           8
        .value_kind:     global_buffer
      - .actual_access:  write_only
        .address_space:  global
        .offset:         16
        .size:           8
        .value_kind:     global_buffer
      - .actual_access:  write_only
        .address_space:  global
        .offset:         24
        .size:           8
        .value_kind:     global_buffer
      - .offset:         32
        .size:           8
        .value_kind:     by_value
      - .offset:         40
        .size:           4
        .value_kind:     by_value
      - .offset:         44
        .size:           4
        .value_kind:     by_value
      - .offset:         48
        .size:           4
        .value_kind:     by_value
    .group_segment_fixed_size: 0
    .kernarg_segment_align: 8
    .kernarg_segment_size: 52
    .language:       OpenCL C
    .language_version:
      - 2
      - 0
    .max_flat_workgroup_size: 1024
    .name:           _ZN5aiter24topk_softplus_kernel_optIf12hip_bfloat16Li384ELb1ELi1EEEvPKT_PKT0_PfPimiif
    .private_segment_fixed_size: 0
    .sgpr_count:     26
    .sgpr_spill_count: 0
    .symbol:         _ZN5aiter24topk_softplus_kernel_optIf12hip_bfloat16Li384ELb1ELi1EEEvPKT_PKT0_PfPimiif.kd
    .uniform_work_group_size: 1
    .uses_dynamic_stack: false
    .vgpr_count:     30
    .vgpr_spill_count: 0
    .wavefront_size: 64
  - .agpr_count:     0
    .args:
      - .actual_access:  read_only
        .address_space:  global
        .offset:         0
        .size:           8
        .value_kind:     global_buffer
      - .actual_access:  read_only
        .address_space:  global
        .offset:         8
        .size:           8
        .value_kind:     global_buffer
      - .actual_access:  write_only
        .address_space:  global
        .offset:         16
        .size:           8
        .value_kind:     global_buffer
      - .actual_access:  write_only
        .address_space:  global
        .offset:         24
        .size:           8
        .value_kind:     global_buffer
      - .offset:         32
        .size:           8
        .value_kind:     by_value
      - .offset:         40
        .size:           4
        .value_kind:     by_value
      - .offset:         44
        .size:           4
        .value_kind:     by_value
      - .offset:         48
        .size:           4
        .value_kind:     by_value
    .group_segment_fixed_size: 0
    .kernarg_segment_align: 8
    .kernarg_segment_size: 52
    .language:       OpenCL C
    .language_version:
      - 2
      - 0
    .max_flat_workgroup_size: 1024
    .name:           _ZN5aiter24topk_softplus_kernel_optIf12hip_bfloat16Li384ELb0ELi1EEEvPKT_PKT0_PfPimiif
    .private_segment_fixed_size: 0
    .sgpr_count:     26
    .sgpr_spill_count: 0
    .symbol:         _ZN5aiter24topk_softplus_kernel_optIf12hip_bfloat16Li384ELb0ELi1EEEvPKT_PKT0_PfPimiif.kd
    .uniform_work_group_size: 1
    .uses_dynamic_stack: false
    .vgpr_count:     29
    .vgpr_spill_count: 0
    .wavefront_size: 64
  - .agpr_count:     0
    .args:
      - .actual_access:  read_only
        .address_space:  global
        .offset:         0
        .size:           8
        .value_kind:     global_buffer
      - .actual_access:  read_only
        .address_space:  global
        .offset:         8
        .size:           8
        .value_kind:     global_buffer
      - .actual_access:  write_only
        .address_space:  global
        .offset:         16
        .size:           8
        .value_kind:     global_buffer
      - .actual_access:  write_only
        .address_space:  global
        .offset:         24
        .size:           8
        .value_kind:     global_buffer
      - .offset:         32
        .size:           8
        .value_kind:     by_value
      - .offset:         40
        .size:           4
        .value_kind:     by_value
      - .offset:         44
        .size:           4
        .value_kind:     by_value
      - .offset:         48
        .size:           4
        .value_kind:     by_value
      - .offset:         52
        .size:           4
        .value_kind:     by_value
      - .offset:         56
        .size:           4
        .value_kind:     hidden_block_count_x
      - .offset:         60
        .size:           4
        .value_kind:     hidden_block_count_y
      - .offset:         64
        .size:           4
        .value_kind:     hidden_block_count_z
      - .offset:         68
        .size:           2
        .value_kind:     hidden_group_size_x
      - .offset:         70
        .size:           2
        .value_kind:     hidden_group_size_y
      - .offset:         72
        .size:           2
        .value_kind:     hidden_group_size_z
      - .offset:         74
        .size:           2
        .value_kind:     hidden_remainder_x
      - .offset:         76
        .size:           2
        .value_kind:     hidden_remainder_y
      - .offset:         78
        .size:           2
        .value_kind:     hidden_remainder_z
      - .offset:         96
        .size:           8
        .value_kind:     hidden_global_offset_x
      - .offset:         104
        .size:           8
        .value_kind:     hidden_global_offset_y
      - .offset:         112
        .size:           8
        .value_kind:     hidden_global_offset_z
      - .offset:         120
        .size:           2
        .value_kind:     hidden_grid_dims
      - .offset:         176
        .size:           4
        .value_kind:     hidden_dynamic_lds_size
    .group_segment_fixed_size: 0
    .kernarg_segment_align: 8
    .kernarg_segment_size: 312
    .language:       OpenCL C
    .language_version:
      - 2
      - 0
    .max_flat_workgroup_size: 1024
    .name:           _ZN5aiter20topk_softplus_kernelIf12hip_bfloat16Dv4_fLb1ELi1EEEvPKT_PKT0_PfPimiiif
    .private_segment_fixed_size: 0
    .sgpr_count:     40
    .sgpr_spill_count: 0
    .symbol:         _ZN5aiter20topk_softplus_kernelIf12hip_bfloat16Dv4_fLb1ELi1EEEvPKT_PKT0_PfPimiiif.kd
    .uniform_work_group_size: 1
    .uses_dynamic_stack: false
    .vgpr_count:     21
    .vgpr_spill_count: 0
    .wavefront_size: 64
  - .agpr_count:     0
    .args:
      - .actual_access:  read_only
        .address_space:  global
        .offset:         0
        .size:           8
        .value_kind:     global_buffer
      - .actual_access:  read_only
        .address_space:  global
        .offset:         8
        .size:           8
        .value_kind:     global_buffer
      - .actual_access:  write_only
        .address_space:  global
        .offset:         16
        .size:           8
        .value_kind:     global_buffer
      - .actual_access:  write_only
        .address_space:  global
        .offset:         24
        .size:           8
        .value_kind:     global_buffer
      - .offset:         32
        .size:           8
        .value_kind:     by_value
      - .offset:         40
        .size:           4
        .value_kind:     by_value
      - .offset:         44
        .size:           4
        .value_kind:     by_value
      - .offset:         48
        .size:           4
        .value_kind:     by_value
      - .offset:         52
        .size:           4
        .value_kind:     by_value
      - .offset:         56
        .size:           4
        .value_kind:     hidden_block_count_x
      - .offset:         60
        .size:           4
        .value_kind:     hidden_block_count_y
      - .offset:         64
        .size:           4
        .value_kind:     hidden_block_count_z
      - .offset:         68
        .size:           2
        .value_kind:     hidden_group_size_x
      - .offset:         70
        .size:           2
        .value_kind:     hidden_group_size_y
      - .offset:         72
        .size:           2
        .value_kind:     hidden_group_size_z
      - .offset:         74
        .size:           2
        .value_kind:     hidden_remainder_x
      - .offset:         76
        .size:           2
        .value_kind:     hidden_remainder_y
      - .offset:         78
        .size:           2
        .value_kind:     hidden_remainder_z
      - .offset:         96
        .size:           8
        .value_kind:     hidden_global_offset_x
      - .offset:         104
        .size:           8
        .value_kind:     hidden_global_offset_y
      - .offset:         112
        .size:           8
        .value_kind:     hidden_global_offset_z
      - .offset:         120
        .size:           2
        .value_kind:     hidden_grid_dims
      - .offset:         176
        .size:           4
        .value_kind:     hidden_dynamic_lds_size
    .group_segment_fixed_size: 0
    .kernarg_segment_align: 8
    .kernarg_segment_size: 312
    .language:       OpenCL C
    .language_version:
      - 2
      - 0
    .max_flat_workgroup_size: 1024
    .name:           _ZN5aiter20topk_softplus_kernelIf12hip_bfloat16Dv4_fLb0ELi1EEEvPKT_PKT0_PfPimiiif
    .private_segment_fixed_size: 0
    .sgpr_count:     40
    .sgpr_spill_count: 0
    .symbol:         _ZN5aiter20topk_softplus_kernelIf12hip_bfloat16Dv4_fLb0ELi1EEEvPKT_PKT0_PfPimiiif.kd
    .uniform_work_group_size: 1
    .uses_dynamic_stack: false
    .vgpr_count:     20
    .vgpr_spill_count: 0
    .wavefront_size: 64
  - .agpr_count:     0
    .args:
      - .actual_access:  read_only
        .address_space:  global
        .offset:         0
        .size:           8
        .value_kind:     global_buffer
      - .actual_access:  read_only
        .address_space:  global
        .offset:         8
        .size:           8
        .value_kind:     global_buffer
      - .actual_access:  write_only
        .address_space:  global
        .offset:         16
        .size:           8
        .value_kind:     global_buffer
      - .actual_access:  write_only
        .address_space:  global
        .offset:         24
        .size:           8
        .value_kind:     global_buffer
      - .offset:         32
        .size:           8
        .value_kind:     by_value
      - .offset:         40
        .size:           4
        .value_kind:     by_value
      - .offset:         44
        .size:           4
        .value_kind:     by_value
      - .offset:         48
        .size:           4
        .value_kind:     by_value
      - .offset:         52
        .size:           4
        .value_kind:     by_value
      - .offset:         56
        .size:           4
        .value_kind:     hidden_block_count_x
      - .offset:         60
        .size:           4
        .value_kind:     hidden_block_count_y
      - .offset:         64
        .size:           4
        .value_kind:     hidden_block_count_z
      - .offset:         68
        .size:           2
        .value_kind:     hidden_group_size_x
      - .offset:         70
        .size:           2
        .value_kind:     hidden_group_size_y
      - .offset:         72
        .size:           2
        .value_kind:     hidden_group_size_z
      - .offset:         74
        .size:           2
        .value_kind:     hidden_remainder_x
      - .offset:         76
        .size:           2
        .value_kind:     hidden_remainder_y
      - .offset:         78
        .size:           2
        .value_kind:     hidden_remainder_z
      - .offset:         96
        .size:           8
        .value_kind:     hidden_global_offset_x
      - .offset:         104
        .size:           8
        .value_kind:     hidden_global_offset_y
      - .offset:         112
        .size:           8
        .value_kind:     hidden_global_offset_z
      - .offset:         120
        .size:           2
        .value_kind:     hidden_grid_dims
      - .offset:         176
        .size:           4
        .value_kind:     hidden_dynamic_lds_size
    .group_segment_fixed_size: 0
    .kernarg_segment_align: 8
    .kernarg_segment_size: 312
    .language:       OpenCL C
    .language_version:
      - 2
      - 0
    .max_flat_workgroup_size: 1024
    .name:           _ZN5aiter20topk_softplus_kernelIf12hip_bfloat16Dv2_fLb1ELi1EEEvPKT_PKT0_PfPimiiif
    .private_segment_fixed_size: 0
    .sgpr_count:     33
    .sgpr_spill_count: 0
    .symbol:         _ZN5aiter20topk_softplus_kernelIf12hip_bfloat16Dv2_fLb1ELi1EEEvPKT_PKT0_PfPimiiif.kd
    .uniform_work_group_size: 1
    .uses_dynamic_stack: false
    .vgpr_count:     17
    .vgpr_spill_count: 0
    .wavefront_size: 64
  - .agpr_count:     0
    .args:
      - .actual_access:  read_only
        .address_space:  global
        .offset:         0
        .size:           8
        .value_kind:     global_buffer
      - .actual_access:  read_only
        .address_space:  global
        .offset:         8
        .size:           8
        .value_kind:     global_buffer
      - .actual_access:  write_only
        .address_space:  global
        .offset:         16
        .size:           8
        .value_kind:     global_buffer
      - .actual_access:  write_only
        .address_space:  global
        .offset:         24
        .size:           8
        .value_kind:     global_buffer
      - .offset:         32
        .size:           8
        .value_kind:     by_value
      - .offset:         40
        .size:           4
        .value_kind:     by_value
      - .offset:         44
        .size:           4
        .value_kind:     by_value
      - .offset:         48
        .size:           4
        .value_kind:     by_value
      - .offset:         52
        .size:           4
        .value_kind:     by_value
      - .offset:         56
        .size:           4
        .value_kind:     hidden_block_count_x
      - .offset:         60
        .size:           4
        .value_kind:     hidden_block_count_y
      - .offset:         64
        .size:           4
        .value_kind:     hidden_block_count_z
      - .offset:         68
        .size:           2
        .value_kind:     hidden_group_size_x
      - .offset:         70
        .size:           2
        .value_kind:     hidden_group_size_y
      - .offset:         72
        .size:           2
        .value_kind:     hidden_group_size_z
      - .offset:         74
        .size:           2
        .value_kind:     hidden_remainder_x
      - .offset:         76
        .size:           2
        .value_kind:     hidden_remainder_y
      - .offset:         78
        .size:           2
        .value_kind:     hidden_remainder_z
      - .offset:         96
        .size:           8
        .value_kind:     hidden_global_offset_x
      - .offset:         104
        .size:           8
        .value_kind:     hidden_global_offset_y
      - .offset:         112
        .size:           8
        .value_kind:     hidden_global_offset_z
      - .offset:         120
        .size:           2
        .value_kind:     hidden_grid_dims
      - .offset:         176
        .size:           4
        .value_kind:     hidden_dynamic_lds_size
    .group_segment_fixed_size: 0
    .kernarg_segment_align: 8
    .kernarg_segment_size: 312
    .language:       OpenCL C
    .language_version:
      - 2
      - 0
    .max_flat_workgroup_size: 1024
    .name:           _ZN5aiter20topk_softplus_kernelIf12hip_bfloat16Dv2_fLb0ELi1EEEvPKT_PKT0_PfPimiiif
    .private_segment_fixed_size: 0
    .sgpr_count:     33
    .sgpr_spill_count: 0
    .symbol:         _ZN5aiter20topk_softplus_kernelIf12hip_bfloat16Dv2_fLb0ELi1EEEvPKT_PKT0_PfPimiiif.kd
    .uniform_work_group_size: 1
    .uses_dynamic_stack: false
    .vgpr_count:     16
    .vgpr_spill_count: 0
    .wavefront_size: 64
  - .agpr_count:     0
    .args:
      - .actual_access:  read_only
        .address_space:  global
        .offset:         0
        .size:           8
        .value_kind:     global_buffer
      - .actual_access:  read_only
        .address_space:  global
        .offset:         8
        .size:           8
        .value_kind:     global_buffer
      - .actual_access:  write_only
        .address_space:  global
        .offset:         16
        .size:           8
        .value_kind:     global_buffer
      - .actual_access:  write_only
        .address_space:  global
        .offset:         24
        .size:           8
        .value_kind:     global_buffer
      - .offset:         32
        .size:           8
        .value_kind:     by_value
      - .offset:         40
        .size:           4
        .value_kind:     by_value
      - .offset:         44
        .size:           4
        .value_kind:     by_value
      - .offset:         48
        .size:           4
        .value_kind:     by_value
      - .offset:         52
        .size:           4
        .value_kind:     by_value
      - .offset:         56
        .size:           4
        .value_kind:     hidden_block_count_x
      - .offset:         60
        .size:           4
        .value_kind:     hidden_block_count_y
      - .offset:         64
        .size:           4
        .value_kind:     hidden_block_count_z
      - .offset:         68
        .size:           2
        .value_kind:     hidden_group_size_x
      - .offset:         70
        .size:           2
        .value_kind:     hidden_group_size_y
      - .offset:         72
        .size:           2
        .value_kind:     hidden_group_size_z
      - .offset:         74
        .size:           2
        .value_kind:     hidden_remainder_x
      - .offset:         76
        .size:           2
        .value_kind:     hidden_remainder_y
      - .offset:         78
        .size:           2
        .value_kind:     hidden_remainder_z
      - .offset:         96
        .size:           8
        .value_kind:     hidden_global_offset_x
      - .offset:         104
        .size:           8
        .value_kind:     hidden_global_offset_y
      - .offset:         112
        .size:           8
        .value_kind:     hidden_global_offset_z
      - .offset:         120
        .size:           2
        .value_kind:     hidden_grid_dims
      - .offset:         176
        .size:           4
        .value_kind:     hidden_dynamic_lds_size
    .group_segment_fixed_size: 0
    .kernarg_segment_align: 8
    .kernarg_segment_size: 312
    .language:       OpenCL C
    .language_version:
      - 2
      - 0
    .max_flat_workgroup_size: 1024
    .name:           _ZN5aiter20topk_softplus_kernelIf12hip_bfloat16Dv1_fLb1ELi1EEEvPKT_PKT0_PfPimiiif
    .private_segment_fixed_size: 0
    .sgpr_count:     28
    .sgpr_spill_count: 0
    .symbol:         _ZN5aiter20topk_softplus_kernelIf12hip_bfloat16Dv1_fLb1ELi1EEEvPKT_PKT0_PfPimiiif.kd
    .uniform_work_group_size: 1
    .uses_dynamic_stack: false
    .vgpr_count:     13
    .vgpr_spill_count: 0
    .wavefront_size: 64
  - .agpr_count:     0
    .args:
      - .actual_access:  read_only
        .address_space:  global
        .offset:         0
        .size:           8
        .value_kind:     global_buffer
      - .actual_access:  read_only
        .address_space:  global
        .offset:         8
        .size:           8
        .value_kind:     global_buffer
      - .actual_access:  write_only
        .address_space:  global
        .offset:         16
        .size:           8
        .value_kind:     global_buffer
      - .actual_access:  write_only
        .address_space:  global
        .offset:         24
        .size:           8
        .value_kind:     global_buffer
      - .offset:         32
        .size:           8
        .value_kind:     by_value
      - .offset:         40
        .size:           4
        .value_kind:     by_value
      - .offset:         44
        .size:           4
        .value_kind:     by_value
      - .offset:         48
        .size:           4
        .value_kind:     by_value
      - .offset:         52
        .size:           4
        .value_kind:     by_value
      - .offset:         56
        .size:           4
        .value_kind:     hidden_block_count_x
      - .offset:         60
        .size:           4
        .value_kind:     hidden_block_count_y
      - .offset:         64
        .size:           4
        .value_kind:     hidden_block_count_z
      - .offset:         68
        .size:           2
        .value_kind:     hidden_group_size_x
      - .offset:         70
        .size:           2
        .value_kind:     hidden_group_size_y
      - .offset:         72
        .size:           2
        .value_kind:     hidden_group_size_z
      - .offset:         74
        .size:           2
        .value_kind:     hidden_remainder_x
      - .offset:         76
        .size:           2
        .value_kind:     hidden_remainder_y
      - .offset:         78
        .size:           2
        .value_kind:     hidden_remainder_z
      - .offset:         96
        .size:           8
        .value_kind:     hidden_global_offset_x
      - .offset:         104
        .size:           8
        .value_kind:     hidden_global_offset_y
      - .offset:         112
        .size:           8
        .value_kind:     hidden_global_offset_z
      - .offset:         120
        .size:           2
        .value_kind:     hidden_grid_dims
      - .offset:         176
        .size:           4
        .value_kind:     hidden_dynamic_lds_size
    .group_segment_fixed_size: 0
    .kernarg_segment_align: 8
    .kernarg_segment_size: 312
    .language:       OpenCL C
    .language_version:
      - 2
      - 0
    .max_flat_workgroup_size: 1024
    .name:           _ZN5aiter20topk_softplus_kernelIf12hip_bfloat16Dv1_fLb0ELi1EEEvPKT_PKT0_PfPimiiif
    .private_segment_fixed_size: 0
    .sgpr_count:     28
    .sgpr_spill_count: 0
    .symbol:         _ZN5aiter20topk_softplus_kernelIf12hip_bfloat16Dv1_fLb0ELi1EEEvPKT_PKT0_PfPimiiif.kd
    .uniform_work_group_size: 1
    .uses_dynamic_stack: false
    .vgpr_count:     12
    .vgpr_spill_count: 0
    .wavefront_size: 64
  - .agpr_count:     0
    .args:
      - .actual_access:  read_only
        .address_space:  global
        .offset:         0
        .size:           8
        .value_kind:     global_buffer
      - .actual_access:  read_only
        .address_space:  global
        .offset:         8
        .size:           8
        .value_kind:     global_buffer
      - .actual_access:  write_only
        .address_space:  global
        .offset:         16
        .size:           8
        .value_kind:     global_buffer
      - .actual_access:  write_only
        .address_space:  global
        .offset:         24
        .size:           8
        .value_kind:     global_buffer
      - .offset:         32
        .size:           8
        .value_kind:     by_value
      - .offset:         40
        .size:           4
        .value_kind:     by_value
      - .offset:         44
        .size:           4
        .value_kind:     by_value
      - .offset:         48
        .size:           4
        .value_kind:     by_value
      - .offset:         52
        .size:           4
        .value_kind:     by_value
      - .offset:         56
        .size:           4
        .value_kind:     hidden_block_count_x
      - .offset:         60
        .size:           4
        .value_kind:     hidden_block_count_y
      - .offset:         64
        .size:           4
        .value_kind:     hidden_block_count_z
      - .offset:         68
        .size:           2
        .value_kind:     hidden_group_size_x
      - .offset:         70
        .size:           2
        .value_kind:     hidden_group_size_y
      - .offset:         72
        .size:           2
        .value_kind:     hidden_group_size_z
      - .offset:         74
        .size:           2
        .value_kind:     hidden_remainder_x
      - .offset:         76
        .size:           2
        .value_kind:     hidden_remainder_y
      - .offset:         78
        .size:           2
        .value_kind:     hidden_remainder_z
      - .offset:         96
        .size:           8
        .value_kind:     hidden_global_offset_x
      - .offset:         104
        .size:           8
        .value_kind:     hidden_global_offset_y
      - .offset:         112
        .size:           8
        .value_kind:     hidden_global_offset_z
      - .offset:         120
        .size:           2
        .value_kind:     hidden_grid_dims
      - .offset:         176
        .size:           4
        .value_kind:     hidden_dynamic_lds_size
    .group_segment_fixed_size: 0
    .kernarg_segment_align: 8
    .kernarg_segment_size: 312
    .language:       OpenCL C
    .language_version:
      - 2
      - 0
    .max_flat_workgroup_size: 1024
    .name:           _ZN5aiter20topk_softplus_kernelIf12hip_bfloat16Dv4_fLb1ELi2EEEvPKT_PKT0_PfPimiiif
    .private_segment_fixed_size: 0
    .sgpr_count:     29
    .sgpr_spill_count: 0
    .symbol:         _ZN5aiter20topk_softplus_kernelIf12hip_bfloat16Dv4_fLb1ELi2EEEvPKT_PKT0_PfPimiiif.kd
    .uniform_work_group_size: 1
    .uses_dynamic_stack: false
    .vgpr_count:     21
    .vgpr_spill_count: 0
    .wavefront_size: 64
  - .agpr_count:     0
    .args:
      - .actual_access:  read_only
        .address_space:  global
        .offset:         0
        .size:           8
        .value_kind:     global_buffer
      - .actual_access:  read_only
        .address_space:  global
        .offset:         8
        .size:           8
        .value_kind:     global_buffer
      - .actual_access:  write_only
        .address_space:  global
        .offset:         16
        .size:           8
        .value_kind:     global_buffer
      - .actual_access:  write_only
        .address_space:  global
        .offset:         24
        .size:           8
        .value_kind:     global_buffer
      - .offset:         32
        .size:           8
        .value_kind:     by_value
      - .offset:         40
        .size:           4
        .value_kind:     by_value
      - .offset:         44
        .size:           4
        .value_kind:     by_value
      - .offset:         48
        .size:           4
        .value_kind:     by_value
      - .offset:         52
        .size:           4
        .value_kind:     by_value
      - .offset:         56
        .size:           4
        .value_kind:     hidden_block_count_x
      - .offset:         60
        .size:           4
        .value_kind:     hidden_block_count_y
      - .offset:         64
        .size:           4
        .value_kind:     hidden_block_count_z
      - .offset:         68
        .size:           2
        .value_kind:     hidden_group_size_x
      - .offset:         70
        .size:           2
        .value_kind:     hidden_group_size_y
      - .offset:         72
        .size:           2
        .value_kind:     hidden_group_size_z
      - .offset:         74
        .size:           2
        .value_kind:     hidden_remainder_x
      - .offset:         76
        .size:           2
        .value_kind:     hidden_remainder_y
      - .offset:         78
        .size:           2
        .value_kind:     hidden_remainder_z
      - .offset:         96
        .size:           8
        .value_kind:     hidden_global_offset_x
      - .offset:         104
        .size:           8
        .value_kind:     hidden_global_offset_y
      - .offset:         112
        .size:           8
        .value_kind:     hidden_global_offset_z
      - .offset:         120
        .size:           2
        .value_kind:     hidden_grid_dims
      - .offset:         176
        .size:           4
        .value_kind:     hidden_dynamic_lds_size
    .group_segment_fixed_size: 0
    .kernarg_segment_align: 8
    .kernarg_segment_size: 312
    .language:       OpenCL C
    .language_version:
      - 2
      - 0
    .max_flat_workgroup_size: 1024
    .name:           _ZN5aiter20topk_softplus_kernelIf12hip_bfloat16Dv4_fLb0ELi2EEEvPKT_PKT0_PfPimiiif
    .private_segment_fixed_size: 0
    .sgpr_count:     29
    .sgpr_spill_count: 0
    .symbol:         _ZN5aiter20topk_softplus_kernelIf12hip_bfloat16Dv4_fLb0ELi2EEEvPKT_PKT0_PfPimiiif.kd
    .uniform_work_group_size: 1
    .uses_dynamic_stack: false
    .vgpr_count:     20
    .vgpr_spill_count: 0
    .wavefront_size: 64
  - .agpr_count:     0
    .args:
      - .actual_access:  read_only
        .address_space:  global
        .offset:         0
        .size:           8
        .value_kind:     global_buffer
      - .actual_access:  read_only
        .address_space:  global
        .offset:         8
        .size:           8
        .value_kind:     global_buffer
      - .actual_access:  write_only
        .address_space:  global
        .offset:         16
        .size:           8
        .value_kind:     global_buffer
      - .actual_access:  write_only
        .address_space:  global
        .offset:         24
        .size:           8
        .value_kind:     global_buffer
      - .offset:         32
        .size:           8
        .value_kind:     by_value
      - .offset:         40
        .size:           4
        .value_kind:     by_value
      - .offset:         44
        .size:           4
        .value_kind:     by_value
      - .offset:         48
        .size:           4
        .value_kind:     by_value
      - .offset:         52
        .size:           4
        .value_kind:     by_value
      - .offset:         56
        .size:           4
        .value_kind:     hidden_block_count_x
      - .offset:         60
        .size:           4
        .value_kind:     hidden_block_count_y
      - .offset:         64
        .size:           4
        .value_kind:     hidden_block_count_z
      - .offset:         68
        .size:           2
        .value_kind:     hidden_group_size_x
      - .offset:         70
        .size:           2
        .value_kind:     hidden_group_size_y
      - .offset:         72
        .size:           2
        .value_kind:     hidden_group_size_z
      - .offset:         74
        .size:           2
        .value_kind:     hidden_remainder_x
      - .offset:         76
        .size:           2
        .value_kind:     hidden_remainder_y
      - .offset:         78
        .size:           2
        .value_kind:     hidden_remainder_z
      - .offset:         96
        .size:           8
        .value_kind:     hidden_global_offset_x
      - .offset:         104
        .size:           8
        .value_kind:     hidden_global_offset_y
      - .offset:         112
        .size:           8
        .value_kind:     hidden_global_offset_z
      - .offset:         120
        .size:           2
        .value_kind:     hidden_grid_dims
      - .offset:         176
        .size:           4
        .value_kind:     hidden_dynamic_lds_size
    .group_segment_fixed_size: 0
    .kernarg_segment_align: 8
    .kernarg_segment_size: 312
    .language:       OpenCL C
    .language_version:
      - 2
      - 0
    .max_flat_workgroup_size: 1024
    .name:           _ZN5aiter20topk_softplus_kernelIf12hip_bfloat16Dv2_fLb1ELi2EEEvPKT_PKT0_PfPimiiif
    .private_segment_fixed_size: 0
    .sgpr_count:     29
    .sgpr_spill_count: 0
    .symbol:         _ZN5aiter20topk_softplus_kernelIf12hip_bfloat16Dv2_fLb1ELi2EEEvPKT_PKT0_PfPimiiif.kd
    .uniform_work_group_size: 1
    .uses_dynamic_stack: false
    .vgpr_count:     17
    .vgpr_spill_count: 0
    .wavefront_size: 64
  - .agpr_count:     0
    .args:
      - .actual_access:  read_only
        .address_space:  global
        .offset:         0
        .size:           8
        .value_kind:     global_buffer
      - .actual_access:  read_only
        .address_space:  global
        .offset:         8
        .size:           8
        .value_kind:     global_buffer
      - .actual_access:  write_only
        .address_space:  global
        .offset:         16
        .size:           8
        .value_kind:     global_buffer
      - .actual_access:  write_only
        .address_space:  global
        .offset:         24
        .size:           8
        .value_kind:     global_buffer
      - .offset:         32
        .size:           8
        .value_kind:     by_value
      - .offset:         40
        .size:           4
        .value_kind:     by_value
      - .offset:         44
        .size:           4
        .value_kind:     by_value
      - .offset:         48
        .size:           4
        .value_kind:     by_value
      - .offset:         52
        .size:           4
        .value_kind:     by_value
      - .offset:         56
        .size:           4
        .value_kind:     hidden_block_count_x
      - .offset:         60
        .size:           4
        .value_kind:     hidden_block_count_y
      - .offset:         64
        .size:           4
        .value_kind:     hidden_block_count_z
      - .offset:         68
        .size:           2
        .value_kind:     hidden_group_size_x
      - .offset:         70
        .size:           2
        .value_kind:     hidden_group_size_y
      - .offset:         72
        .size:           2
        .value_kind:     hidden_group_size_z
      - .offset:         74
        .size:           2
        .value_kind:     hidden_remainder_x
      - .offset:         76
        .size:           2
        .value_kind:     hidden_remainder_y
      - .offset:         78
        .size:           2
        .value_kind:     hidden_remainder_z
      - .offset:         96
        .size:           8
        .value_kind:     hidden_global_offset_x
      - .offset:         104
        .size:           8
        .value_kind:     hidden_global_offset_y
      - .offset:         112
        .size:           8
        .value_kind:     hidden_global_offset_z
      - .offset:         120
        .size:           2
        .value_kind:     hidden_grid_dims
      - .offset:         176
        .size:           4
        .value_kind:     hidden_dynamic_lds_size
    .group_segment_fixed_size: 0
    .kernarg_segment_align: 8
    .kernarg_segment_size: 312
    .language:       OpenCL C
    .language_version:
      - 2
      - 0
    .max_flat_workgroup_size: 1024
    .name:           _ZN5aiter20topk_softplus_kernelIf12hip_bfloat16Dv2_fLb0ELi2EEEvPKT_PKT0_PfPimiiif
    .private_segment_fixed_size: 0
    .sgpr_count:     29
    .sgpr_spill_count: 0
    .symbol:         _ZN5aiter20topk_softplus_kernelIf12hip_bfloat16Dv2_fLb0ELi2EEEvPKT_PKT0_PfPimiiif.kd
    .uniform_work_group_size: 1
    .uses_dynamic_stack: false
    .vgpr_count:     16
    .vgpr_spill_count: 0
    .wavefront_size: 64
  - .agpr_count:     0
    .args:
      - .actual_access:  read_only
        .address_space:  global
        .offset:         0
        .size:           8
        .value_kind:     global_buffer
      - .actual_access:  read_only
        .address_space:  global
        .offset:         8
        .size:           8
        .value_kind:     global_buffer
      - .actual_access:  write_only
        .address_space:  global
        .offset:         16
        .size:           8
        .value_kind:     global_buffer
      - .actual_access:  write_only
        .address_space:  global
        .offset:         24
        .size:           8
        .value_kind:     global_buffer
      - .offset:         32
        .size:           8
        .value_kind:     by_value
      - .offset:         40
        .size:           4
        .value_kind:     by_value
      - .offset:         44
        .size:           4
        .value_kind:     by_value
      - .offset:         48
        .size:           4
        .value_kind:     by_value
      - .offset:         52
        .size:           4
        .value_kind:     by_value
      - .offset:         56
        .size:           4
        .value_kind:     hidden_block_count_x
      - .offset:         60
        .size:           4
        .value_kind:     hidden_block_count_y
      - .offset:         64
        .size:           4
        .value_kind:     hidden_block_count_z
      - .offset:         68
        .size:           2
        .value_kind:     hidden_group_size_x
      - .offset:         70
        .size:           2
        .value_kind:     hidden_group_size_y
      - .offset:         72
        .size:           2
        .value_kind:     hidden_group_size_z
      - .offset:         74
        .size:           2
        .value_kind:     hidden_remainder_x
      - .offset:         76
        .size:           2
        .value_kind:     hidden_remainder_y
      - .offset:         78
        .size:           2
        .value_kind:     hidden_remainder_z
      - .offset:         96
        .size:           8
        .value_kind:     hidden_global_offset_x
      - .offset:         104
        .size:           8
        .value_kind:     hidden_global_offset_y
      - .offset:         112
        .size:           8
        .value_kind:     hidden_global_offset_z
      - .offset:         120
        .size:           2
        .value_kind:     hidden_grid_dims
      - .offset:         176
        .size:           4
        .value_kind:     hidden_dynamic_lds_size
    .group_segment_fixed_size: 0
    .kernarg_segment_align: 8
    .kernarg_segment_size: 312
    .language:       OpenCL C
    .language_version:
      - 2
      - 0
    .max_flat_workgroup_size: 1024
    .name:           _ZN5aiter20topk_softplus_kernelIf12hip_bfloat16Dv1_fLb1ELi2EEEvPKT_PKT0_PfPimiiif
    .private_segment_fixed_size: 0
    .sgpr_count:     28
    .sgpr_spill_count: 0
    .symbol:         _ZN5aiter20topk_softplus_kernelIf12hip_bfloat16Dv1_fLb1ELi2EEEvPKT_PKT0_PfPimiiif.kd
    .uniform_work_group_size: 1
    .uses_dynamic_stack: false
    .vgpr_count:     13
    .vgpr_spill_count: 0
    .wavefront_size: 64
  - .agpr_count:     0
    .args:
      - .actual_access:  read_only
        .address_space:  global
        .offset:         0
        .size:           8
        .value_kind:     global_buffer
      - .actual_access:  read_only
        .address_space:  global
        .offset:         8
        .size:           8
        .value_kind:     global_buffer
      - .actual_access:  write_only
        .address_space:  global
        .offset:         16
        .size:           8
        .value_kind:     global_buffer
      - .actual_access:  write_only
        .address_space:  global
        .offset:         24
        .size:           8
        .value_kind:     global_buffer
      - .offset:         32
        .size:           8
        .value_kind:     by_value
      - .offset:         40
        .size:           4
        .value_kind:     by_value
      - .offset:         44
        .size:           4
        .value_kind:     by_value
      - .offset:         48
        .size:           4
        .value_kind:     by_value
      - .offset:         52
        .size:           4
        .value_kind:     by_value
      - .offset:         56
        .size:           4
        .value_kind:     hidden_block_count_x
      - .offset:         60
        .size:           4
        .value_kind:     hidden_block_count_y
      - .offset:         64
        .size:           4
        .value_kind:     hidden_block_count_z
      - .offset:         68
        .size:           2
        .value_kind:     hidden_group_size_x
      - .offset:         70
        .size:           2
        .value_kind:     hidden_group_size_y
      - .offset:         72
        .size:           2
        .value_kind:     hidden_group_size_z
      - .offset:         74
        .size:           2
        .value_kind:     hidden_remainder_x
      - .offset:         76
        .size:           2
        .value_kind:     hidden_remainder_y
      - .offset:         78
        .size:           2
        .value_kind:     hidden_remainder_z
      - .offset:         96
        .size:           8
        .value_kind:     hidden_global_offset_x
      - .offset:         104
        .size:           8
        .value_kind:     hidden_global_offset_y
      - .offset:         112
        .size:           8
        .value_kind:     hidden_global_offset_z
      - .offset:         120
        .size:           2
        .value_kind:     hidden_grid_dims
      - .offset:         176
        .size:           4
        .value_kind:     hidden_dynamic_lds_size
    .group_segment_fixed_size: 0
    .kernarg_segment_align: 8
    .kernarg_segment_size: 312
    .language:       OpenCL C
    .language_version:
      - 2
      - 0
    .max_flat_workgroup_size: 1024
    .name:           _ZN5aiter20topk_softplus_kernelIf12hip_bfloat16Dv1_fLb0ELi2EEEvPKT_PKT0_PfPimiiif
    .private_segment_fixed_size: 0
    .sgpr_count:     28
    .sgpr_spill_count: 0
    .symbol:         _ZN5aiter20topk_softplus_kernelIf12hip_bfloat16Dv1_fLb0ELi2EEEvPKT_PKT0_PfPimiiif.kd
    .uniform_work_group_size: 1
    .uses_dynamic_stack: false
    .vgpr_count:     12
    .vgpr_spill_count: 0
    .wavefront_size: 64
  - .agpr_count:     0
    .args:
      - .actual_access:  read_only
        .address_space:  global
        .offset:         0
        .size:           8
        .value_kind:     global_buffer
      - .actual_access:  read_only
        .address_space:  global
        .offset:         8
        .size:           8
        .value_kind:     global_buffer
      - .actual_access:  write_only
        .address_space:  global
        .offset:         16
        .size:           8
        .value_kind:     global_buffer
      - .actual_access:  write_only
        .address_space:  global
        .offset:         24
        .size:           8
        .value_kind:     global_buffer
      - .offset:         32
        .size:           8
        .value_kind:     by_value
      - .offset:         40
        .size:           4
        .value_kind:     by_value
      - .offset:         44
        .size:           4
        .value_kind:     by_value
      - .offset:         48
        .size:           4
        .value_kind:     by_value
    .group_segment_fixed_size: 0
    .kernarg_segment_align: 8
    .kernarg_segment_size: 52
    .language:       OpenCL C
    .language_version:
      - 2
      - 0
    .max_flat_workgroup_size: 1024
    .name:           _ZN5aiter24topk_softplus_kernel_optIf12hip_bfloat16Li64ELb1ELi0EEEvPKT_PKT0_PfPimiif
    .private_segment_fixed_size: 0
    .sgpr_count:     17
    .sgpr_spill_count: 0
    .symbol:         _ZN5aiter24topk_softplus_kernel_optIf12hip_bfloat16Li64ELb1ELi0EEEvPKT_PKT0_PfPimiif.kd
    .uniform_work_group_size: 1
    .uses_dynamic_stack: false
    .vgpr_count:     14
    .vgpr_spill_count: 0
    .wavefront_size: 64
  - .agpr_count:     0
    .args:
      - .actual_access:  read_only
        .address_space:  global
        .offset:         0
        .size:           8
        .value_kind:     global_buffer
      - .actual_access:  read_only
        .address_space:  global
        .offset:         8
        .size:           8
        .value_kind:     global_buffer
      - .actual_access:  write_only
        .address_space:  global
        .offset:         16
        .size:           8
        .value_kind:     global_buffer
      - .actual_access:  write_only
        .address_space:  global
        .offset:         24
        .size:           8
        .value_kind:     global_buffer
      - .offset:         32
        .size:           8
        .value_kind:     by_value
      - .offset:         40
        .size:           4
        .value_kind:     by_value
      - .offset:         44
        .size:           4
        .value_kind:     by_value
      - .offset:         48
        .size:           4
        .value_kind:     by_value
    .group_segment_fixed_size: 0
    .kernarg_segment_align: 8
    .kernarg_segment_size: 52
    .language:       OpenCL C
    .language_version:
      - 2
      - 0
    .max_flat_workgroup_size: 1024
    .name:           _ZN5aiter24topk_softplus_kernel_optIf12hip_bfloat16Li64ELb0ELi0EEEvPKT_PKT0_PfPimiif
    .private_segment_fixed_size: 0
    .sgpr_count:     17
    .sgpr_spill_count: 0
    .symbol:         _ZN5aiter24topk_softplus_kernel_optIf12hip_bfloat16Li64ELb0ELi0EEEvPKT_PKT0_PfPimiif.kd
    .uniform_work_group_size: 1
    .uses_dynamic_stack: false
    .vgpr_count:     13
    .vgpr_spill_count: 0
    .wavefront_size: 64
  - .agpr_count:     0
    .args:
      - .actual_access:  read_only
        .address_space:  global
        .offset:         0
        .size:           8
        .value_kind:     global_buffer
      - .actual_access:  read_only
        .address_space:  global
        .offset:         8
        .size:           8
        .value_kind:     global_buffer
      - .actual_access:  write_only
        .address_space:  global
        .offset:         16
        .size:           8
        .value_kind:     global_buffer
      - .actual_access:  write_only
        .address_space:  global
        .offset:         24
        .size:           8
        .value_kind:     global_buffer
      - .offset:         32
        .size:           8
        .value_kind:     by_value
      - .offset:         40
        .size:           4
        .value_kind:     by_value
      - .offset:         44
        .size:           4
        .value_kind:     by_value
      - .offset:         48
        .size:           4
        .value_kind:     by_value
    .group_segment_fixed_size: 0
    .kernarg_segment_align: 8
    .kernarg_segment_size: 52
    .language:       OpenCL C
    .language_version:
      - 2
      - 0
    .max_flat_workgroup_size: 1024
    .name:           _ZN5aiter24topk_softplus_kernel_optIf12hip_bfloat16Li128ELb1ELi0EEEvPKT_PKT0_PfPimiif
    .private_segment_fixed_size: 0
    .sgpr_count:     19
    .sgpr_spill_count: 0
    .symbol:         _ZN5aiter24topk_softplus_kernel_optIf12hip_bfloat16Li128ELb1ELi0EEEvPKT_PKT0_PfPimiif.kd
    .uniform_work_group_size: 1
    .uses_dynamic_stack: false
    .vgpr_count:     21
    .vgpr_spill_count: 0
    .wavefront_size: 64
  - .agpr_count:     0
    .args:
      - .actual_access:  read_only
        .address_space:  global
        .offset:         0
        .size:           8
        .value_kind:     global_buffer
      - .actual_access:  read_only
        .address_space:  global
        .offset:         8
        .size:           8
        .value_kind:     global_buffer
      - .actual_access:  write_only
        .address_space:  global
        .offset:         16
        .size:           8
        .value_kind:     global_buffer
      - .actual_access:  write_only
        .address_space:  global
        .offset:         24
        .size:           8
        .value_kind:     global_buffer
      - .offset:         32
        .size:           8
        .value_kind:     by_value
      - .offset:         40
        .size:           4
        .value_kind:     by_value
      - .offset:         44
        .size:           4
        .value_kind:     by_value
      - .offset:         48
        .size:           4
        .value_kind:     by_value
    .group_segment_fixed_size: 0
    .kernarg_segment_align: 8
    .kernarg_segment_size: 52
    .language:       OpenCL C
    .language_version:
      - 2
      - 0
    .max_flat_workgroup_size: 1024
    .name:           _ZN5aiter24topk_softplus_kernel_optIf12hip_bfloat16Li128ELb0ELi0EEEvPKT_PKT0_PfPimiif
    .private_segment_fixed_size: 0
    .sgpr_count:     19
    .sgpr_spill_count: 0
    .symbol:         _ZN5aiter24topk_softplus_kernel_optIf12hip_bfloat16Li128ELb0ELi0EEEvPKT_PKT0_PfPimiif.kd
    .uniform_work_group_size: 1
    .uses_dynamic_stack: false
    .vgpr_count:     20
    .vgpr_spill_count: 0
    .wavefront_size: 64
  - .agpr_count:     0
    .args:
      - .actual_access:  read_only
        .address_space:  global
        .offset:         0
        .size:           8
        .value_kind:     global_buffer
      - .actual_access:  read_only
        .address_space:  global
        .offset:         8
        .size:           8
        .value_kind:     global_buffer
      - .actual_access:  write_only
        .address_space:  global
        .offset:         16
        .size:           8
        .value_kind:     global_buffer
      - .actual_access:  write_only
        .address_space:  global
        .offset:         24
        .size:           8
        .value_kind:     global_buffer
      - .offset:         32
        .size:           8
        .value_kind:     by_value
      - .offset:         40
        .size:           4
        .value_kind:     by_value
      - .offset:         44
        .size:           4
        .value_kind:     by_value
      - .offset:         48
        .size:           4
        .value_kind:     by_value
    .group_segment_fixed_size: 0
    .kernarg_segment_align: 8
    .kernarg_segment_size: 52
    .language:       OpenCL C
    .language_version:
      - 2
      - 0
    .max_flat_workgroup_size: 1024
    .name:           _ZN5aiter24topk_softplus_kernel_optIf12hip_bfloat16Li256ELb1ELi0EEEvPKT_PKT0_PfPimiif
    .private_segment_fixed_size: 0
    .sgpr_count:     19
    .sgpr_spill_count: 0
    .symbol:         _ZN5aiter24topk_softplus_kernel_optIf12hip_bfloat16Li256ELb1ELi0EEEvPKT_PKT0_PfPimiif.kd
    .uniform_work_group_size: 1
    .uses_dynamic_stack: false
    .vgpr_count:     27
    .vgpr_spill_count: 0
    .wavefront_size: 64
  - .agpr_count:     0
    .args:
      - .actual_access:  read_only
        .address_space:  global
        .offset:         0
        .size:           8
        .value_kind:     global_buffer
      - .actual_access:  read_only
        .address_space:  global
        .offset:         8
        .size:           8
        .value_kind:     global_buffer
      - .actual_access:  write_only
        .address_space:  global
        .offset:         16
        .size:           8
        .value_kind:     global_buffer
      - .actual_access:  write_only
        .address_space:  global
        .offset:         24
        .size:           8
        .value_kind:     global_buffer
      - .offset:         32
        .size:           8
        .value_kind:     by_value
      - .offset:         40
        .size:           4
        .value_kind:     by_value
      - .offset:         44
        .size:           4
        .value_kind:     by_value
      - .offset:         48
        .size:           4
        .value_kind:     by_value
    .group_segment_fixed_size: 0
    .kernarg_segment_align: 8
    .kernarg_segment_size: 52
    .language:       OpenCL C
    .language_version:
      - 2
      - 0
    .max_flat_workgroup_size: 1024
    .name:           _ZN5aiter24topk_softplus_kernel_optIf12hip_bfloat16Li256ELb0ELi0EEEvPKT_PKT0_PfPimiif
    .private_segment_fixed_size: 0
    .sgpr_count:     19
    .sgpr_spill_count: 0
    .symbol:         _ZN5aiter24topk_softplus_kernel_optIf12hip_bfloat16Li256ELb0ELi0EEEvPKT_PKT0_PfPimiif.kd
    .uniform_work_group_size: 1
    .uses_dynamic_stack: false
    .vgpr_count:     26
    .vgpr_spill_count: 0
    .wavefront_size: 64
  - .agpr_count:     0
    .args:
      - .actual_access:  read_only
        .address_space:  global
        .offset:         0
        .size:           8
        .value_kind:     global_buffer
      - .actual_access:  read_only
        .address_space:  global
        .offset:         8
        .size:           8
        .value_kind:     global_buffer
      - .actual_access:  write_only
        .address_space:  global
        .offset:         16
        .size:           8
        .value_kind:     global_buffer
      - .actual_access:  write_only
        .address_space:  global
        .offset:         24
        .size:           8
        .value_kind:     global_buffer
      - .offset:         32
        .size:           8
        .value_kind:     by_value
      - .offset:         40
        .size:           4
        .value_kind:     by_value
      - .offset:         44
        .size:           4
        .value_kind:     by_value
      - .offset:         48
        .size:           4
        .value_kind:     by_value
    .group_segment_fixed_size: 0
    .kernarg_segment_align: 8
    .kernarg_segment_size: 52
    .language:       OpenCL C
    .language_version:
      - 2
      - 0
    .max_flat_workgroup_size: 1024
    .name:           _ZN5aiter24topk_softplus_kernel_optIf12hip_bfloat16Li384ELb1ELi0EEEvPKT_PKT0_PfPimiif
    .private_segment_fixed_size: 0
    .sgpr_count:     26
    .sgpr_spill_count: 0
    .symbol:         _ZN5aiter24topk_softplus_kernel_optIf12hip_bfloat16Li384ELb1ELi0EEEvPKT_PKT0_PfPimiif.kd
    .uniform_work_group_size: 1
    .uses_dynamic_stack: false
    .vgpr_count:     30
    .vgpr_spill_count: 0
    .wavefront_size: 64
  - .agpr_count:     0
    .args:
      - .actual_access:  read_only
        .address_space:  global
        .offset:         0
        .size:           8
        .value_kind:     global_buffer
      - .actual_access:  read_only
        .address_space:  global
        .offset:         8
        .size:           8
        .value_kind:     global_buffer
      - .actual_access:  write_only
        .address_space:  global
        .offset:         16
        .size:           8
        .value_kind:     global_buffer
      - .actual_access:  write_only
        .address_space:  global
        .offset:         24
        .size:           8
        .value_kind:     global_buffer
      - .offset:         32
        .size:           8
        .value_kind:     by_value
      - .offset:         40
        .size:           4
        .value_kind:     by_value
      - .offset:         44
        .size:           4
        .value_kind:     by_value
      - .offset:         48
        .size:           4
        .value_kind:     by_value
    .group_segment_fixed_size: 0
    .kernarg_segment_align: 8
    .kernarg_segment_size: 52
    .language:       OpenCL C
    .language_version:
      - 2
      - 0
    .max_flat_workgroup_size: 1024
    .name:           _ZN5aiter24topk_softplus_kernel_optIf12hip_bfloat16Li384ELb0ELi0EEEvPKT_PKT0_PfPimiif
    .private_segment_fixed_size: 0
    .sgpr_count:     26
    .sgpr_spill_count: 0
    .symbol:         _ZN5aiter24topk_softplus_kernel_optIf12hip_bfloat16Li384ELb0ELi0EEEvPKT_PKT0_PfPimiif.kd
    .uniform_work_group_size: 1
    .uses_dynamic_stack: false
    .vgpr_count:     29
    .vgpr_spill_count: 0
    .wavefront_size: 64
  - .agpr_count:     0
    .args:
      - .actual_access:  read_only
        .address_space:  global
        .offset:         0
        .size:           8
        .value_kind:     global_buffer
      - .actual_access:  read_only
        .address_space:  global
        .offset:         8
        .size:           8
        .value_kind:     global_buffer
      - .actual_access:  write_only
        .address_space:  global
        .offset:         16
        .size:           8
        .value_kind:     global_buffer
      - .actual_access:  write_only
        .address_space:  global
        .offset:         24
        .size:           8
        .value_kind:     global_buffer
      - .offset:         32
        .size:           8
        .value_kind:     by_value
      - .offset:         40
        .size:           4
        .value_kind:     by_value
      - .offset:         44
        .size:           4
        .value_kind:     by_value
      - .offset:         48
        .size:           4
        .value_kind:     by_value
      - .offset:         52
        .size:           4
        .value_kind:     by_value
      - .offset:         56
        .size:           4
        .value_kind:     hidden_block_count_x
      - .offset:         60
        .size:           4
        .value_kind:     hidden_block_count_y
      - .offset:         64
        .size:           4
        .value_kind:     hidden_block_count_z
      - .offset:         68
        .size:           2
        .value_kind:     hidden_group_size_x
      - .offset:         70
        .size:           2
        .value_kind:     hidden_group_size_y
      - .offset:         72
        .size:           2
        .value_kind:     hidden_group_size_z
      - .offset:         74
        .size:           2
        .value_kind:     hidden_remainder_x
      - .offset:         76
        .size:           2
        .value_kind:     hidden_remainder_y
      - .offset:         78
        .size:           2
        .value_kind:     hidden_remainder_z
      - .offset:         96
        .size:           8
        .value_kind:     hidden_global_offset_x
      - .offset:         104
        .size:           8
        .value_kind:     hidden_global_offset_y
      - .offset:         112
        .size:           8
        .value_kind:     hidden_global_offset_z
      - .offset:         120
        .size:           2
        .value_kind:     hidden_grid_dims
      - .offset:         176
        .size:           4
        .value_kind:     hidden_dynamic_lds_size
    .group_segment_fixed_size: 0
    .kernarg_segment_align: 8
    .kernarg_segment_size: 312
    .language:       OpenCL C
    .language_version:
      - 2
      - 0
    .max_flat_workgroup_size: 1024
    .name:           _ZN5aiter20topk_softplus_kernelIf12hip_bfloat16Dv4_fLb1ELi0EEEvPKT_PKT0_PfPimiiif
    .private_segment_fixed_size: 0
    .sgpr_count:     47
    .sgpr_spill_count: 0
    .symbol:         _ZN5aiter20topk_softplus_kernelIf12hip_bfloat16Dv4_fLb1ELi0EEEvPKT_PKT0_PfPimiiif.kd
    .uniform_work_group_size: 1
    .uses_dynamic_stack: false
    .vgpr_count:     24
    .vgpr_spill_count: 0
    .wavefront_size: 64
  - .agpr_count:     0
    .args:
      - .actual_access:  read_only
        .address_space:  global
        .offset:         0
        .size:           8
        .value_kind:     global_buffer
      - .actual_access:  read_only
        .address_space:  global
        .offset:         8
        .size:           8
        .value_kind:     global_buffer
      - .actual_access:  write_only
        .address_space:  global
        .offset:         16
        .size:           8
        .value_kind:     global_buffer
      - .actual_access:  write_only
        .address_space:  global
        .offset:         24
        .size:           8
        .value_kind:     global_buffer
      - .offset:         32
        .size:           8
        .value_kind:     by_value
      - .offset:         40
        .size:           4
        .value_kind:     by_value
      - .offset:         44
        .size:           4
        .value_kind:     by_value
      - .offset:         48
        .size:           4
        .value_kind:     by_value
      - .offset:         52
        .size:           4
        .value_kind:     by_value
      - .offset:         56
        .size:           4
        .value_kind:     hidden_block_count_x
      - .offset:         60
        .size:           4
        .value_kind:     hidden_block_count_y
      - .offset:         64
        .size:           4
        .value_kind:     hidden_block_count_z
      - .offset:         68
        .size:           2
        .value_kind:     hidden_group_size_x
      - .offset:         70
        .size:           2
        .value_kind:     hidden_group_size_y
      - .offset:         72
        .size:           2
        .value_kind:     hidden_group_size_z
      - .offset:         74
        .size:           2
        .value_kind:     hidden_remainder_x
      - .offset:         76
        .size:           2
        .value_kind:     hidden_remainder_y
      - .offset:         78
        .size:           2
        .value_kind:     hidden_remainder_z
      - .offset:         96
        .size:           8
        .value_kind:     hidden_global_offset_x
      - .offset:         104
        .size:           8
        .value_kind:     hidden_global_offset_y
      - .offset:         112
        .size:           8
        .value_kind:     hidden_global_offset_z
      - .offset:         120
        .size:           2
        .value_kind:     hidden_grid_dims
      - .offset:         176
        .size:           4
        .value_kind:     hidden_dynamic_lds_size
    .group_segment_fixed_size: 0
    .kernarg_segment_align: 8
    .kernarg_segment_size: 312
    .language:       OpenCL C
    .language_version:
      - 2
      - 0
    .max_flat_workgroup_size: 1024
    .name:           _ZN5aiter20topk_softplus_kernelIf12hip_bfloat16Dv4_fLb0ELi0EEEvPKT_PKT0_PfPimiiif
    .private_segment_fixed_size: 0
    .sgpr_count:     47
    .sgpr_spill_count: 0
    .symbol:         _ZN5aiter20topk_softplus_kernelIf12hip_bfloat16Dv4_fLb0ELi0EEEvPKT_PKT0_PfPimiiif.kd
    .uniform_work_group_size: 1
    .uses_dynamic_stack: false
    .vgpr_count:     24
    .vgpr_spill_count: 0
    .wavefront_size: 64
  - .agpr_count:     0
    .args:
      - .actual_access:  read_only
        .address_space:  global
        .offset:         0
        .size:           8
        .value_kind:     global_buffer
      - .actual_access:  read_only
        .address_space:  global
        .offset:         8
        .size:           8
        .value_kind:     global_buffer
      - .actual_access:  write_only
        .address_space:  global
        .offset:         16
        .size:           8
        .value_kind:     global_buffer
      - .actual_access:  write_only
        .address_space:  global
        .offset:         24
        .size:           8
        .value_kind:     global_buffer
      - .offset:         32
        .size:           8
        .value_kind:     by_value
      - .offset:         40
        .size:           4
        .value_kind:     by_value
      - .offset:         44
        .size:           4
        .value_kind:     by_value
      - .offset:         48
        .size:           4
        .value_kind:     by_value
      - .offset:         52
        .size:           4
        .value_kind:     by_value
      - .offset:         56
        .size:           4
        .value_kind:     hidden_block_count_x
      - .offset:         60
        .size:           4
        .value_kind:     hidden_block_count_y
      - .offset:         64
        .size:           4
        .value_kind:     hidden_block_count_z
      - .offset:         68
        .size:           2
        .value_kind:     hidden_group_size_x
      - .offset:         70
        .size:           2
        .value_kind:     hidden_group_size_y
      - .offset:         72
        .size:           2
        .value_kind:     hidden_group_size_z
      - .offset:         74
        .size:           2
        .value_kind:     hidden_remainder_x
      - .offset:         76
        .size:           2
        .value_kind:     hidden_remainder_y
      - .offset:         78
        .size:           2
        .value_kind:     hidden_remainder_z
      - .offset:         96
        .size:           8
        .value_kind:     hidden_global_offset_x
      - .offset:         104
        .size:           8
        .value_kind:     hidden_global_offset_y
      - .offset:         112
        .size:           8
        .value_kind:     hidden_global_offset_z
      - .offset:         120
        .size:           2
        .value_kind:     hidden_grid_dims
      - .offset:         176
        .size:           4
        .value_kind:     hidden_dynamic_lds_size
    .group_segment_fixed_size: 0
    .kernarg_segment_align: 8
    .kernarg_segment_size: 312
    .language:       OpenCL C
    .language_version:
      - 2
      - 0
    .max_flat_workgroup_size: 1024
    .name:           _ZN5aiter20topk_softplus_kernelIf12hip_bfloat16Dv2_fLb1ELi0EEEvPKT_PKT0_PfPimiiif
    .private_segment_fixed_size: 0
    .sgpr_count:     40
    .sgpr_spill_count: 0
    .symbol:         _ZN5aiter20topk_softplus_kernelIf12hip_bfloat16Dv2_fLb1ELi0EEEvPKT_PKT0_PfPimiiif.kd
    .uniform_work_group_size: 1
    .uses_dynamic_stack: false
    .vgpr_count:     21
    .vgpr_spill_count: 0
    .wavefront_size: 64
  - .agpr_count:     0
    .args:
      - .actual_access:  read_only
        .address_space:  global
        .offset:         0
        .size:           8
        .value_kind:     global_buffer
      - .actual_access:  read_only
        .address_space:  global
        .offset:         8
        .size:           8
        .value_kind:     global_buffer
      - .actual_access:  write_only
        .address_space:  global
        .offset:         16
        .size:           8
        .value_kind:     global_buffer
      - .actual_access:  write_only
        .address_space:  global
        .offset:         24
        .size:           8
        .value_kind:     global_buffer
      - .offset:         32
        .size:           8
        .value_kind:     by_value
      - .offset:         40
        .size:           4
        .value_kind:     by_value
      - .offset:         44
        .size:           4
        .value_kind:     by_value
      - .offset:         48
        .size:           4
        .value_kind:     by_value
      - .offset:         52
        .size:           4
        .value_kind:     by_value
      - .offset:         56
        .size:           4
        .value_kind:     hidden_block_count_x
      - .offset:         60
        .size:           4
        .value_kind:     hidden_block_count_y
      - .offset:         64
        .size:           4
        .value_kind:     hidden_block_count_z
      - .offset:         68
        .size:           2
        .value_kind:     hidden_group_size_x
      - .offset:         70
        .size:           2
        .value_kind:     hidden_group_size_y
      - .offset:         72
        .size:           2
        .value_kind:     hidden_group_size_z
      - .offset:         74
        .size:           2
        .value_kind:     hidden_remainder_x
      - .offset:         76
        .size:           2
        .value_kind:     hidden_remainder_y
      - .offset:         78
        .size:           2
        .value_kind:     hidden_remainder_z
      - .offset:         96
        .size:           8
        .value_kind:     hidden_global_offset_x
      - .offset:         104
        .size:           8
        .value_kind:     hidden_global_offset_y
      - .offset:         112
        .size:           8
        .value_kind:     hidden_global_offset_z
      - .offset:         120
        .size:           2
        .value_kind:     hidden_grid_dims
      - .offset:         176
        .size:           4
        .value_kind:     hidden_dynamic_lds_size
    .group_segment_fixed_size: 0
    .kernarg_segment_align: 8
    .kernarg_segment_size: 312
    .language:       OpenCL C
    .language_version:
      - 2
      - 0
    .max_flat_workgroup_size: 1024
    .name:           _ZN5aiter20topk_softplus_kernelIf12hip_bfloat16Dv2_fLb0ELi0EEEvPKT_PKT0_PfPimiiif
    .private_segment_fixed_size: 0
    .sgpr_count:     40
    .sgpr_spill_count: 0
    .symbol:         _ZN5aiter20topk_softplus_kernelIf12hip_bfloat16Dv2_fLb0ELi0EEEvPKT_PKT0_PfPimiiif.kd
    .uniform_work_group_size: 1
    .uses_dynamic_stack: false
    .vgpr_count:     21
    .vgpr_spill_count: 0
    .wavefront_size: 64
  - .agpr_count:     0
    .args:
      - .actual_access:  read_only
        .address_space:  global
        .offset:         0
        .size:           8
        .value_kind:     global_buffer
      - .actual_access:  read_only
        .address_space:  global
        .offset:         8
        .size:           8
        .value_kind:     global_buffer
      - .actual_access:  write_only
        .address_space:  global
        .offset:         16
        .size:           8
        .value_kind:     global_buffer
      - .actual_access:  write_only
        .address_space:  global
        .offset:         24
        .size:           8
        .value_kind:     global_buffer
      - .offset:         32
        .size:           8
        .value_kind:     by_value
      - .offset:         40
        .size:           4
        .value_kind:     by_value
      - .offset:         44
        .size:           4
        .value_kind:     by_value
      - .offset:         48
        .size:           4
        .value_kind:     by_value
      - .offset:         52
        .size:           4
        .value_kind:     by_value
      - .offset:         56
        .size:           4
        .value_kind:     hidden_block_count_x
      - .offset:         60
        .size:           4
        .value_kind:     hidden_block_count_y
      - .offset:         64
        .size:           4
        .value_kind:     hidden_block_count_z
      - .offset:         68
        .size:           2
        .value_kind:     hidden_group_size_x
      - .offset:         70
        .size:           2
        .value_kind:     hidden_group_size_y
      - .offset:         72
        .size:           2
        .value_kind:     hidden_group_size_z
      - .offset:         74
        .size:           2
        .value_kind:     hidden_remainder_x
      - .offset:         76
        .size:           2
        .value_kind:     hidden_remainder_y
      - .offset:         78
        .size:           2
        .value_kind:     hidden_remainder_z
      - .offset:         96
        .size:           8
        .value_kind:     hidden_global_offset_x
      - .offset:         104
        .size:           8
        .value_kind:     hidden_global_offset_y
      - .offset:         112
        .size:           8
        .value_kind:     hidden_global_offset_z
      - .offset:         120
        .size:           2
        .value_kind:     hidden_grid_dims
      - .offset:         176
        .size:           4
        .value_kind:     hidden_dynamic_lds_size
    .group_segment_fixed_size: 0
    .kernarg_segment_align: 8
    .kernarg_segment_size: 312
    .language:       OpenCL C
    .language_version:
      - 2
      - 0
    .max_flat_workgroup_size: 1024
    .name:           _ZN5aiter20topk_softplus_kernelIf12hip_bfloat16Dv1_fLb1ELi0EEEvPKT_PKT0_PfPimiiif
    .private_segment_fixed_size: 0
    .sgpr_count:     35
    .sgpr_spill_count: 0
    .symbol:         _ZN5aiter20topk_softplus_kernelIf12hip_bfloat16Dv1_fLb1ELi0EEEvPKT_PKT0_PfPimiiif.kd
    .uniform_work_group_size: 1
    .uses_dynamic_stack: false
    .vgpr_count:     17
    .vgpr_spill_count: 0
    .wavefront_size: 64
  - .agpr_count:     0
    .args:
      - .actual_access:  read_only
        .address_space:  global
        .offset:         0
        .size:           8
        .value_kind:     global_buffer
      - .actual_access:  read_only
        .address_space:  global
        .offset:         8
        .size:           8
        .value_kind:     global_buffer
      - .actual_access:  write_only
        .address_space:  global
        .offset:         16
        .size:           8
        .value_kind:     global_buffer
      - .actual_access:  write_only
        .address_space:  global
        .offset:         24
        .size:           8
        .value_kind:     global_buffer
      - .offset:         32
        .size:           8
        .value_kind:     by_value
      - .offset:         40
        .size:           4
        .value_kind:     by_value
      - .offset:         44
        .size:           4
        .value_kind:     by_value
      - .offset:         48
        .size:           4
        .value_kind:     by_value
      - .offset:         52
        .size:           4
        .value_kind:     by_value
      - .offset:         56
        .size:           4
        .value_kind:     hidden_block_count_x
      - .offset:         60
        .size:           4
        .value_kind:     hidden_block_count_y
      - .offset:         64
        .size:           4
        .value_kind:     hidden_block_count_z
      - .offset:         68
        .size:           2
        .value_kind:     hidden_group_size_x
      - .offset:         70
        .size:           2
        .value_kind:     hidden_group_size_y
      - .offset:         72
        .size:           2
        .value_kind:     hidden_group_size_z
      - .offset:         74
        .size:           2
        .value_kind:     hidden_remainder_x
      - .offset:         76
        .size:           2
        .value_kind:     hidden_remainder_y
      - .offset:         78
        .size:           2
        .value_kind:     hidden_remainder_z
      - .offset:         96
        .size:           8
        .value_kind:     hidden_global_offset_x
      - .offset:         104
        .size:           8
        .value_kind:     hidden_global_offset_y
      - .offset:         112
        .size:           8
        .value_kind:     hidden_global_offset_z
      - .offset:         120
        .size:           2
        .value_kind:     hidden_grid_dims
      - .offset:         176
        .size:           4
        .value_kind:     hidden_dynamic_lds_size
    .group_segment_fixed_size: 0
    .kernarg_segment_align: 8
    .kernarg_segment_size: 312
    .language:       OpenCL C
    .language_version:
      - 2
      - 0
    .max_flat_workgroup_size: 1024
    .name:           _ZN5aiter20topk_softplus_kernelIf12hip_bfloat16Dv1_fLb0ELi0EEEvPKT_PKT0_PfPimiiif
    .private_segment_fixed_size: 0
    .sgpr_count:     35
    .sgpr_spill_count: 0
    .symbol:         _ZN5aiter20topk_softplus_kernelIf12hip_bfloat16Dv1_fLb0ELi0EEEvPKT_PKT0_PfPimiiif.kd
    .uniform_work_group_size: 1
    .uses_dynamic_stack: false
    .vgpr_count:     17
    .vgpr_spill_count: 0
    .wavefront_size: 64
  - .agpr_count:     0
    .args:
      - .actual_access:  read_only
        .address_space:  global
        .offset:         0
        .size:           8
        .value_kind:     global_buffer
      - .actual_access:  read_only
        .address_space:  global
        .offset:         8
        .size:           8
        .value_kind:     global_buffer
      - .actual_access:  write_only
        .address_space:  global
        .offset:         16
        .size:           8
        .value_kind:     global_buffer
      - .actual_access:  write_only
        .address_space:  global
        .offset:         24
        .size:           8
        .value_kind:     global_buffer
      - .offset:         32
        .size:           8
        .value_kind:     by_value
      - .offset:         40
        .size:           4
        .value_kind:     by_value
      - .offset:         44
        .size:           4
        .value_kind:     by_value
      - .offset:         48
        .size:           4
        .value_kind:     by_value
    .group_segment_fixed_size: 0
    .kernarg_segment_align: 8
    .kernarg_segment_size: 52
    .language:       OpenCL C
    .language_version:
      - 2
      - 0
    .max_flat_workgroup_size: 1024
    .name:           _ZN5aiter24topk_softplus_kernel_optI6__halffLi64ELb1ELi1EEEvPKT_PKT0_PfPimiif
    .private_segment_fixed_size: 0
    .sgpr_count:     17
    .sgpr_spill_count: 0
    .symbol:         _ZN5aiter24topk_softplus_kernel_optI6__halffLi64ELb1ELi1EEEvPKT_PKT0_PfPimiif.kd
    .uniform_work_group_size: 1
    .uses_dynamic_stack: false
    .vgpr_count:     14
    .vgpr_spill_count: 0
    .wavefront_size: 64
  - .agpr_count:     0
    .args:
      - .actual_access:  read_only
        .address_space:  global
        .offset:         0
        .size:           8
        .value_kind:     global_buffer
      - .actual_access:  read_only
        .address_space:  global
        .offset:         8
        .size:           8
        .value_kind:     global_buffer
      - .actual_access:  write_only
        .address_space:  global
        .offset:         16
        .size:           8
        .value_kind:     global_buffer
      - .actual_access:  write_only
        .address_space:  global
        .offset:         24
        .size:           8
        .value_kind:     global_buffer
      - .offset:         32
        .size:           8
        .value_kind:     by_value
      - .offset:         40
        .size:           4
        .value_kind:     by_value
      - .offset:         44
        .size:           4
        .value_kind:     by_value
      - .offset:         48
        .size:           4
        .value_kind:     by_value
    .group_segment_fixed_size: 0
    .kernarg_segment_align: 8
    .kernarg_segment_size: 52
    .language:       OpenCL C
    .language_version:
      - 2
      - 0
    .max_flat_workgroup_size: 1024
    .name:           _ZN5aiter24topk_softplus_kernel_optI6__halffLi64ELb0ELi1EEEvPKT_PKT0_PfPimiif
    .private_segment_fixed_size: 0
    .sgpr_count:     17
    .sgpr_spill_count: 0
    .symbol:         _ZN5aiter24topk_softplus_kernel_optI6__halffLi64ELb0ELi1EEEvPKT_PKT0_PfPimiif.kd
    .uniform_work_group_size: 1
    .uses_dynamic_stack: false
    .vgpr_count:     13
    .vgpr_spill_count: 0
    .wavefront_size: 64
  - .agpr_count:     0
    .args:
      - .actual_access:  read_only
        .address_space:  global
        .offset:         0
        .size:           8
        .value_kind:     global_buffer
      - .actual_access:  read_only
        .address_space:  global
        .offset:         8
        .size:           8
        .value_kind:     global_buffer
      - .actual_access:  write_only
        .address_space:  global
        .offset:         16
        .size:           8
        .value_kind:     global_buffer
      - .actual_access:  write_only
        .address_space:  global
        .offset:         24
        .size:           8
        .value_kind:     global_buffer
      - .offset:         32
        .size:           8
        .value_kind:     by_value
      - .offset:         40
        .size:           4
        .value_kind:     by_value
      - .offset:         44
        .size:           4
        .value_kind:     by_value
      - .offset:         48
        .size:           4
        .value_kind:     by_value
    .group_segment_fixed_size: 0
    .kernarg_segment_align: 8
    .kernarg_segment_size: 52
    .language:       OpenCL C
    .language_version:
      - 2
      - 0
    .max_flat_workgroup_size: 1024
    .name:           _ZN5aiter24topk_softplus_kernel_optI6__halffLi128ELb1ELi1EEEvPKT_PKT0_PfPimiif
    .private_segment_fixed_size: 0
    .sgpr_count:     17
    .sgpr_spill_count: 0
    .symbol:         _ZN5aiter24topk_softplus_kernel_optI6__halffLi128ELb1ELi1EEEvPKT_PKT0_PfPimiif.kd
    .uniform_work_group_size: 1
    .uses_dynamic_stack: false
    .vgpr_count:     21
    .vgpr_spill_count: 0
    .wavefront_size: 64
  - .agpr_count:     0
    .args:
      - .actual_access:  read_only
        .address_space:  global
        .offset:         0
        .size:           8
        .value_kind:     global_buffer
      - .actual_access:  read_only
        .address_space:  global
        .offset:         8
        .size:           8
        .value_kind:     global_buffer
      - .actual_access:  write_only
        .address_space:  global
        .offset:         16
        .size:           8
        .value_kind:     global_buffer
      - .actual_access:  write_only
        .address_space:  global
        .offset:         24
        .size:           8
        .value_kind:     global_buffer
      - .offset:         32
        .size:           8
        .value_kind:     by_value
      - .offset:         40
        .size:           4
        .value_kind:     by_value
      - .offset:         44
        .size:           4
        .value_kind:     by_value
      - .offset:         48
        .size:           4
        .value_kind:     by_value
    .group_segment_fixed_size: 0
    .kernarg_segment_align: 8
    .kernarg_segment_size: 52
    .language:       OpenCL C
    .language_version:
      - 2
      - 0
    .max_flat_workgroup_size: 1024
    .name:           _ZN5aiter24topk_softplus_kernel_optI6__halffLi128ELb0ELi1EEEvPKT_PKT0_PfPimiif
    .private_segment_fixed_size: 0
    .sgpr_count:     17
    .sgpr_spill_count: 0
    .symbol:         _ZN5aiter24topk_softplus_kernel_optI6__halffLi128ELb0ELi1EEEvPKT_PKT0_PfPimiif.kd
    .uniform_work_group_size: 1
    .uses_dynamic_stack: false
    .vgpr_count:     20
    .vgpr_spill_count: 0
    .wavefront_size: 64
  - .agpr_count:     0
    .args:
      - .actual_access:  read_only
        .address_space:  global
        .offset:         0
        .size:           8
        .value_kind:     global_buffer
      - .actual_access:  read_only
        .address_space:  global
        .offset:         8
        .size:           8
        .value_kind:     global_buffer
      - .actual_access:  write_only
        .address_space:  global
        .offset:         16
        .size:           8
        .value_kind:     global_buffer
      - .actual_access:  write_only
        .address_space:  global
        .offset:         24
        .size:           8
        .value_kind:     global_buffer
      - .offset:         32
        .size:           8
        .value_kind:     by_value
      - .offset:         40
        .size:           4
        .value_kind:     by_value
      - .offset:         44
        .size:           4
        .value_kind:     by_value
      - .offset:         48
        .size:           4
        .value_kind:     by_value
    .group_segment_fixed_size: 0
    .kernarg_segment_align: 8
    .kernarg_segment_size: 52
    .language:       OpenCL C
    .language_version:
      - 2
      - 0
    .max_flat_workgroup_size: 1024
    .name:           _ZN5aiter24topk_softplus_kernel_optI6__halffLi256ELb1ELi1EEEvPKT_PKT0_PfPimiif
    .private_segment_fixed_size: 0
    .sgpr_count:     17
    .sgpr_spill_count: 0
    .symbol:         _ZN5aiter24topk_softplus_kernel_optI6__halffLi256ELb1ELi1EEEvPKT_PKT0_PfPimiif.kd
    .uniform_work_group_size: 1
    .uses_dynamic_stack: false
    .vgpr_count:     27
    .vgpr_spill_count: 0
    .wavefront_size: 64
  - .agpr_count:     0
    .args:
      - .actual_access:  read_only
        .address_space:  global
        .offset:         0
        .size:           8
        .value_kind:     global_buffer
      - .actual_access:  read_only
        .address_space:  global
        .offset:         8
        .size:           8
        .value_kind:     global_buffer
      - .actual_access:  write_only
        .address_space:  global
        .offset:         16
        .size:           8
        .value_kind:     global_buffer
      - .actual_access:  write_only
        .address_space:  global
        .offset:         24
        .size:           8
        .value_kind:     global_buffer
      - .offset:         32
        .size:           8
        .value_kind:     by_value
      - .offset:         40
        .size:           4
        .value_kind:     by_value
      - .offset:         44
        .size:           4
        .value_kind:     by_value
      - .offset:         48
        .size:           4
        .value_kind:     by_value
    .group_segment_fixed_size: 0
    .kernarg_segment_align: 8
    .kernarg_segment_size: 52
    .language:       OpenCL C
    .language_version:
      - 2
      - 0
    .max_flat_workgroup_size: 1024
    .name:           _ZN5aiter24topk_softplus_kernel_optI6__halffLi256ELb0ELi1EEEvPKT_PKT0_PfPimiif
    .private_segment_fixed_size: 0
    .sgpr_count:     17
    .sgpr_spill_count: 0
    .symbol:         _ZN5aiter24topk_softplus_kernel_optI6__halffLi256ELb0ELi1EEEvPKT_PKT0_PfPimiif.kd
    .uniform_work_group_size: 1
    .uses_dynamic_stack: false
    .vgpr_count:     26
    .vgpr_spill_count: 0
    .wavefront_size: 64
  - .agpr_count:     0
    .args:
      - .actual_access:  read_only
        .address_space:  global
        .offset:         0
        .size:           8
        .value_kind:     global_buffer
      - .actual_access:  read_only
        .address_space:  global
        .offset:         8
        .size:           8
        .value_kind:     global_buffer
      - .actual_access:  write_only
        .address_space:  global
        .offset:         16
        .size:           8
        .value_kind:     global_buffer
      - .actual_access:  write_only
        .address_space:  global
        .offset:         24
        .size:           8
        .value_kind:     global_buffer
      - .offset:         32
        .size:           8
        .value_kind:     by_value
      - .offset:         40
        .size:           4
        .value_kind:     by_value
      - .offset:         44
        .size:           4
        .value_kind:     by_value
      - .offset:         48
        .size:           4
        .value_kind:     by_value
    .group_segment_fixed_size: 0
    .kernarg_segment_align: 8
    .kernarg_segment_size: 52
    .language:       OpenCL C
    .language_version:
      - 2
      - 0
    .max_flat_workgroup_size: 1024
    .name:           _ZN5aiter24topk_softplus_kernel_optI6__halffLi384ELb1ELi1EEEvPKT_PKT0_PfPimiif
    .private_segment_fixed_size: 0
    .sgpr_count:     26
    .sgpr_spill_count: 0
    .symbol:         _ZN5aiter24topk_softplus_kernel_optI6__halffLi384ELb1ELi1EEEvPKT_PKT0_PfPimiif.kd
    .uniform_work_group_size: 1
    .uses_dynamic_stack: false
    .vgpr_count:     30
    .vgpr_spill_count: 0
    .wavefront_size: 64
  - .agpr_count:     0
    .args:
      - .actual_access:  read_only
        .address_space:  global
        .offset:         0
        .size:           8
        .value_kind:     global_buffer
      - .actual_access:  read_only
        .address_space:  global
        .offset:         8
        .size:           8
        .value_kind:     global_buffer
      - .actual_access:  write_only
        .address_space:  global
        .offset:         16
        .size:           8
        .value_kind:     global_buffer
      - .actual_access:  write_only
        .address_space:  global
        .offset:         24
        .size:           8
        .value_kind:     global_buffer
      - .offset:         32
        .size:           8
        .value_kind:     by_value
      - .offset:         40
        .size:           4
        .value_kind:     by_value
      - .offset:         44
        .size:           4
        .value_kind:     by_value
      - .offset:         48
        .size:           4
        .value_kind:     by_value
    .group_segment_fixed_size: 0
    .kernarg_segment_align: 8
    .kernarg_segment_size: 52
    .language:       OpenCL C
    .language_version:
      - 2
      - 0
    .max_flat_workgroup_size: 1024
    .name:           _ZN5aiter24topk_softplus_kernel_optI6__halffLi384ELb0ELi1EEEvPKT_PKT0_PfPimiif
    .private_segment_fixed_size: 0
    .sgpr_count:     26
    .sgpr_spill_count: 0
    .symbol:         _ZN5aiter24topk_softplus_kernel_optI6__halffLi384ELb0ELi1EEEvPKT_PKT0_PfPimiif.kd
    .uniform_work_group_size: 1
    .uses_dynamic_stack: false
    .vgpr_count:     29
    .vgpr_spill_count: 0
    .wavefront_size: 64
  - .agpr_count:     0
    .args:
      - .actual_access:  read_only
        .address_space:  global
        .offset:         0
        .size:           8
        .value_kind:     global_buffer
      - .actual_access:  read_only
        .address_space:  global
        .offset:         8
        .size:           8
        .value_kind:     global_buffer
      - .actual_access:  write_only
        .address_space:  global
        .offset:         16
        .size:           8
        .value_kind:     global_buffer
      - .actual_access:  write_only
        .address_space:  global
        .offset:         24
        .size:           8
        .value_kind:     global_buffer
      - .offset:         32
        .size:           8
        .value_kind:     by_value
      - .offset:         40
        .size:           4
        .value_kind:     by_value
      - .offset:         44
        .size:           4
        .value_kind:     by_value
      - .offset:         48
        .size:           4
        .value_kind:     by_value
      - .offset:         52
        .size:           4
        .value_kind:     by_value
      - .offset:         56
        .size:           4
        .value_kind:     hidden_block_count_x
      - .offset:         60
        .size:           4
        .value_kind:     hidden_block_count_y
      - .offset:         64
        .size:           4
        .value_kind:     hidden_block_count_z
      - .offset:         68
        .size:           2
        .value_kind:     hidden_group_size_x
      - .offset:         70
        .size:           2
        .value_kind:     hidden_group_size_y
      - .offset:         72
        .size:           2
        .value_kind:     hidden_group_size_z
      - .offset:         74
        .size:           2
        .value_kind:     hidden_remainder_x
      - .offset:         76
        .size:           2
        .value_kind:     hidden_remainder_y
      - .offset:         78
        .size:           2
        .value_kind:     hidden_remainder_z
      - .offset:         96
        .size:           8
        .value_kind:     hidden_global_offset_x
      - .offset:         104
        .size:           8
        .value_kind:     hidden_global_offset_y
      - .offset:         112
        .size:           8
        .value_kind:     hidden_global_offset_z
      - .offset:         120
        .size:           2
        .value_kind:     hidden_grid_dims
      - .offset:         176
        .size:           4
        .value_kind:     hidden_dynamic_lds_size
    .group_segment_fixed_size: 0
    .kernarg_segment_align: 8
    .kernarg_segment_size: 312
    .language:       OpenCL C
    .language_version:
      - 2
      - 0
    .max_flat_workgroup_size: 1024
    .name:           _ZN5aiter20topk_softplus_kernelI6__halffDv4_fLb1ELi1EEEvPKT_PKT0_PfPimiiif
    .private_segment_fixed_size: 0
    .sgpr_count:     42
    .sgpr_spill_count: 0
    .symbol:         _ZN5aiter20topk_softplus_kernelI6__halffDv4_fLb1ELi1EEEvPKT_PKT0_PfPimiiif.kd
    .uniform_work_group_size: 1
    .uses_dynamic_stack: false
    .vgpr_count:     20
    .vgpr_spill_count: 0
    .wavefront_size: 64
  - .agpr_count:     0
    .args:
      - .actual_access:  read_only
        .address_space:  global
        .offset:         0
        .size:           8
        .value_kind:     global_buffer
      - .actual_access:  read_only
        .address_space:  global
        .offset:         8
        .size:           8
        .value_kind:     global_buffer
      - .actual_access:  write_only
        .address_space:  global
        .offset:         16
        .size:           8
        .value_kind:     global_buffer
      - .actual_access:  write_only
        .address_space:  global
        .offset:         24
        .size:           8
        .value_kind:     global_buffer
      - .offset:         32
        .size:           8
        .value_kind:     by_value
      - .offset:         40
        .size:           4
        .value_kind:     by_value
      - .offset:         44
        .size:           4
        .value_kind:     by_value
      - .offset:         48
        .size:           4
        .value_kind:     by_value
      - .offset:         52
        .size:           4
        .value_kind:     by_value
      - .offset:         56
        .size:           4
        .value_kind:     hidden_block_count_x
      - .offset:         60
        .size:           4
        .value_kind:     hidden_block_count_y
      - .offset:         64
        .size:           4
        .value_kind:     hidden_block_count_z
      - .offset:         68
        .size:           2
        .value_kind:     hidden_group_size_x
      - .offset:         70
        .size:           2
        .value_kind:     hidden_group_size_y
      - .offset:         72
        .size:           2
        .value_kind:     hidden_group_size_z
      - .offset:         74
        .size:           2
        .value_kind:     hidden_remainder_x
      - .offset:         76
        .size:           2
        .value_kind:     hidden_remainder_y
      - .offset:         78
        .size:           2
        .value_kind:     hidden_remainder_z
      - .offset:         96
        .size:           8
        .value_kind:     hidden_global_offset_x
      - .offset:         104
        .size:           8
        .value_kind:     hidden_global_offset_y
      - .offset:         112
        .size:           8
        .value_kind:     hidden_global_offset_z
      - .offset:         120
        .size:           2
        .value_kind:     hidden_grid_dims
      - .offset:         176
        .size:           4
        .value_kind:     hidden_dynamic_lds_size
    .group_segment_fixed_size: 0
    .kernarg_segment_align: 8
    .kernarg_segment_size: 312
    .language:       OpenCL C
    .language_version:
      - 2
      - 0
    .max_flat_workgroup_size: 1024
    .name:           _ZN5aiter20topk_softplus_kernelI6__halffDv4_fLb0ELi1EEEvPKT_PKT0_PfPimiiif
    .private_segment_fixed_size: 0
    .sgpr_count:     42
    .sgpr_spill_count: 0
    .symbol:         _ZN5aiter20topk_softplus_kernelI6__halffDv4_fLb0ELi1EEEvPKT_PKT0_PfPimiiif.kd
    .uniform_work_group_size: 1
    .uses_dynamic_stack: false
    .vgpr_count:     20
    .vgpr_spill_count: 0
    .wavefront_size: 64
  - .agpr_count:     0
    .args:
      - .actual_access:  read_only
        .address_space:  global
        .offset:         0
        .size:           8
        .value_kind:     global_buffer
      - .actual_access:  read_only
        .address_space:  global
        .offset:         8
        .size:           8
        .value_kind:     global_buffer
      - .actual_access:  write_only
        .address_space:  global
        .offset:         16
        .size:           8
        .value_kind:     global_buffer
      - .actual_access:  write_only
        .address_space:  global
        .offset:         24
        .size:           8
        .value_kind:     global_buffer
      - .offset:         32
        .size:           8
        .value_kind:     by_value
      - .offset:         40
        .size:           4
        .value_kind:     by_value
      - .offset:         44
        .size:           4
        .value_kind:     by_value
      - .offset:         48
        .size:           4
        .value_kind:     by_value
      - .offset:         52
        .size:           4
        .value_kind:     by_value
      - .offset:         56
        .size:           4
        .value_kind:     hidden_block_count_x
      - .offset:         60
        .size:           4
        .value_kind:     hidden_block_count_y
      - .offset:         64
        .size:           4
        .value_kind:     hidden_block_count_z
      - .offset:         68
        .size:           2
        .value_kind:     hidden_group_size_x
      - .offset:         70
        .size:           2
        .value_kind:     hidden_group_size_y
      - .offset:         72
        .size:           2
        .value_kind:     hidden_group_size_z
      - .offset:         74
        .size:           2
        .value_kind:     hidden_remainder_x
      - .offset:         76
        .size:           2
        .value_kind:     hidden_remainder_y
      - .offset:         78
        .size:           2
        .value_kind:     hidden_remainder_z
      - .offset:         96
        .size:           8
        .value_kind:     hidden_global_offset_x
      - .offset:         104
        .size:           8
        .value_kind:     hidden_global_offset_y
      - .offset:         112
        .size:           8
        .value_kind:     hidden_global_offset_z
      - .offset:         120
        .size:           2
        .value_kind:     hidden_grid_dims
      - .offset:         176
        .size:           4
        .value_kind:     hidden_dynamic_lds_size
    .group_segment_fixed_size: 0
    .kernarg_segment_align: 8
    .kernarg_segment_size: 312
    .language:       OpenCL C
    .language_version:
      - 2
      - 0
    .max_flat_workgroup_size: 1024
    .name:           _ZN5aiter20topk_softplus_kernelI6__halffDv2_fLb1ELi1EEEvPKT_PKT0_PfPimiiif
    .private_segment_fixed_size: 0
    .sgpr_count:     34
    .sgpr_spill_count: 0
    .symbol:         _ZN5aiter20topk_softplus_kernelI6__halffDv2_fLb1ELi1EEEvPKT_PKT0_PfPimiiif.kd
    .uniform_work_group_size: 1
    .uses_dynamic_stack: false
    .vgpr_count:     16
    .vgpr_spill_count: 0
    .wavefront_size: 64
  - .agpr_count:     0
    .args:
      - .actual_access:  read_only
        .address_space:  global
        .offset:         0
        .size:           8
        .value_kind:     global_buffer
      - .actual_access:  read_only
        .address_space:  global
        .offset:         8
        .size:           8
        .value_kind:     global_buffer
      - .actual_access:  write_only
        .address_space:  global
        .offset:         16
        .size:           8
        .value_kind:     global_buffer
      - .actual_access:  write_only
        .address_space:  global
        .offset:         24
        .size:           8
        .value_kind:     global_buffer
      - .offset:         32
        .size:           8
        .value_kind:     by_value
      - .offset:         40
        .size:           4
        .value_kind:     by_value
      - .offset:         44
        .size:           4
        .value_kind:     by_value
      - .offset:         48
        .size:           4
        .value_kind:     by_value
      - .offset:         52
        .size:           4
        .value_kind:     by_value
      - .offset:         56
        .size:           4
        .value_kind:     hidden_block_count_x
      - .offset:         60
        .size:           4
        .value_kind:     hidden_block_count_y
      - .offset:         64
        .size:           4
        .value_kind:     hidden_block_count_z
      - .offset:         68
        .size:           2
        .value_kind:     hidden_group_size_x
      - .offset:         70
        .size:           2
        .value_kind:     hidden_group_size_y
      - .offset:         72
        .size:           2
        .value_kind:     hidden_group_size_z
      - .offset:         74
        .size:           2
        .value_kind:     hidden_remainder_x
      - .offset:         76
        .size:           2
        .value_kind:     hidden_remainder_y
      - .offset:         78
        .size:           2
        .value_kind:     hidden_remainder_z
      - .offset:         96
        .size:           8
        .value_kind:     hidden_global_offset_x
      - .offset:         104
        .size:           8
        .value_kind:     hidden_global_offset_y
      - .offset:         112
        .size:           8
        .value_kind:     hidden_global_offset_z
      - .offset:         120
        .size:           2
        .value_kind:     hidden_grid_dims
      - .offset:         176
        .size:           4
        .value_kind:     hidden_dynamic_lds_size
    .group_segment_fixed_size: 0
    .kernarg_segment_align: 8
    .kernarg_segment_size: 312
    .language:       OpenCL C
    .language_version:
      - 2
      - 0
    .max_flat_workgroup_size: 1024
    .name:           _ZN5aiter20topk_softplus_kernelI6__halffDv2_fLb0ELi1EEEvPKT_PKT0_PfPimiiif
    .private_segment_fixed_size: 0
    .sgpr_count:     34
    .sgpr_spill_count: 0
    .symbol:         _ZN5aiter20topk_softplus_kernelI6__halffDv2_fLb0ELi1EEEvPKT_PKT0_PfPimiiif.kd
    .uniform_work_group_size: 1
    .uses_dynamic_stack: false
    .vgpr_count:     15
    .vgpr_spill_count: 0
    .wavefront_size: 64
  - .agpr_count:     0
    .args:
      - .actual_access:  read_only
        .address_space:  global
        .offset:         0
        .size:           8
        .value_kind:     global_buffer
      - .actual_access:  read_only
        .address_space:  global
        .offset:         8
        .size:           8
        .value_kind:     global_buffer
      - .actual_access:  write_only
        .address_space:  global
        .offset:         16
        .size:           8
        .value_kind:     global_buffer
      - .actual_access:  write_only
        .address_space:  global
        .offset:         24
        .size:           8
        .value_kind:     global_buffer
      - .offset:         32
        .size:           8
        .value_kind:     by_value
      - .offset:         40
        .size:           4
        .value_kind:     by_value
      - .offset:         44
        .size:           4
        .value_kind:     by_value
      - .offset:         48
        .size:           4
        .value_kind:     by_value
      - .offset:         52
        .size:           4
        .value_kind:     by_value
      - .offset:         56
        .size:           4
        .value_kind:     hidden_block_count_x
      - .offset:         60
        .size:           4
        .value_kind:     hidden_block_count_y
      - .offset:         64
        .size:           4
        .value_kind:     hidden_block_count_z
      - .offset:         68
        .size:           2
        .value_kind:     hidden_group_size_x
      - .offset:         70
        .size:           2
        .value_kind:     hidden_group_size_y
      - .offset:         72
        .size:           2
        .value_kind:     hidden_group_size_z
      - .offset:         74
        .size:           2
        .value_kind:     hidden_remainder_x
      - .offset:         76
        .size:           2
        .value_kind:     hidden_remainder_y
      - .offset:         78
        .size:           2
        .value_kind:     hidden_remainder_z
      - .offset:         96
        .size:           8
        .value_kind:     hidden_global_offset_x
      - .offset:         104
        .size:           8
        .value_kind:     hidden_global_offset_y
      - .offset:         112
        .size:           8
        .value_kind:     hidden_global_offset_z
      - .offset:         120
        .size:           2
        .value_kind:     hidden_grid_dims
      - .offset:         176
        .size:           4
        .value_kind:     hidden_dynamic_lds_size
    .group_segment_fixed_size: 0
    .kernarg_segment_align: 8
    .kernarg_segment_size: 312
    .language:       OpenCL C
    .language_version:
      - 2
      - 0
    .max_flat_workgroup_size: 1024
    .name:           _ZN5aiter20topk_softplus_kernelI6__halffDv1_fLb1ELi1EEEvPKT_PKT0_PfPimiiif
    .private_segment_fixed_size: 0
    .sgpr_count:     29
    .sgpr_spill_count: 0
    .symbol:         _ZN5aiter20topk_softplus_kernelI6__halffDv1_fLb1ELi1EEEvPKT_PKT0_PfPimiiif.kd
    .uniform_work_group_size: 1
    .uses_dynamic_stack: false
    .vgpr_count:     12
    .vgpr_spill_count: 0
    .wavefront_size: 64
  - .agpr_count:     0
    .args:
      - .actual_access:  read_only
        .address_space:  global
        .offset:         0
        .size:           8
        .value_kind:     global_buffer
      - .actual_access:  read_only
        .address_space:  global
        .offset:         8
        .size:           8
        .value_kind:     global_buffer
      - .actual_access:  write_only
        .address_space:  global
        .offset:         16
        .size:           8
        .value_kind:     global_buffer
      - .actual_access:  write_only
        .address_space:  global
        .offset:         24
        .size:           8
        .value_kind:     global_buffer
      - .offset:         32
        .size:           8
        .value_kind:     by_value
      - .offset:         40
        .size:           4
        .value_kind:     by_value
      - .offset:         44
        .size:           4
        .value_kind:     by_value
      - .offset:         48
        .size:           4
        .value_kind:     by_value
      - .offset:         52
        .size:           4
        .value_kind:     by_value
      - .offset:         56
        .size:           4
        .value_kind:     hidden_block_count_x
      - .offset:         60
        .size:           4
        .value_kind:     hidden_block_count_y
      - .offset:         64
        .size:           4
        .value_kind:     hidden_block_count_z
      - .offset:         68
        .size:           2
        .value_kind:     hidden_group_size_x
      - .offset:         70
        .size:           2
        .value_kind:     hidden_group_size_y
      - .offset:         72
        .size:           2
        .value_kind:     hidden_group_size_z
      - .offset:         74
        .size:           2
        .value_kind:     hidden_remainder_x
      - .offset:         76
        .size:           2
        .value_kind:     hidden_remainder_y
      - .offset:         78
        .size:           2
        .value_kind:     hidden_remainder_z
      - .offset:         96
        .size:           8
        .value_kind:     hidden_global_offset_x
      - .offset:         104
        .size:           8
        .value_kind:     hidden_global_offset_y
      - .offset:         112
        .size:           8
        .value_kind:     hidden_global_offset_z
      - .offset:         120
        .size:           2
        .value_kind:     hidden_grid_dims
      - .offset:         176
        .size:           4
        .value_kind:     hidden_dynamic_lds_size
    .group_segment_fixed_size: 0
    .kernarg_segment_align: 8
    .kernarg_segment_size: 312
    .language:       OpenCL C
    .language_version:
      - 2
      - 0
    .max_flat_workgroup_size: 1024
    .name:           _ZN5aiter20topk_softplus_kernelI6__halffDv1_fLb0ELi1EEEvPKT_PKT0_PfPimiiif
    .private_segment_fixed_size: 0
    .sgpr_count:     29
    .sgpr_spill_count: 0
    .symbol:         _ZN5aiter20topk_softplus_kernelI6__halffDv1_fLb0ELi1EEEvPKT_PKT0_PfPimiiif.kd
    .uniform_work_group_size: 1
    .uses_dynamic_stack: false
    .vgpr_count:     12
    .vgpr_spill_count: 0
    .wavefront_size: 64
  - .agpr_count:     0
    .args:
      - .actual_access:  read_only
        .address_space:  global
        .offset:         0
        .size:           8
        .value_kind:     global_buffer
      - .actual_access:  read_only
        .address_space:  global
        .offset:         8
        .size:           8
        .value_kind:     global_buffer
      - .actual_access:  write_only
        .address_space:  global
        .offset:         16
        .size:           8
        .value_kind:     global_buffer
      - .actual_access:  write_only
        .address_space:  global
        .offset:         24
        .size:           8
        .value_kind:     global_buffer
      - .offset:         32
        .size:           8
        .value_kind:     by_value
      - .offset:         40
        .size:           4
        .value_kind:     by_value
      - .offset:         44
        .size:           4
        .value_kind:     by_value
      - .offset:         48
        .size:           4
        .value_kind:     by_value
      - .offset:         52
        .size:           4
        .value_kind:     by_value
      - .offset:         56
        .size:           4
        .value_kind:     hidden_block_count_x
      - .offset:         60
        .size:           4
        .value_kind:     hidden_block_count_y
      - .offset:         64
        .size:           4
        .value_kind:     hidden_block_count_z
      - .offset:         68
        .size:           2
        .value_kind:     hidden_group_size_x
      - .offset:         70
        .size:           2
        .value_kind:     hidden_group_size_y
      - .offset:         72
        .size:           2
        .value_kind:     hidden_group_size_z
      - .offset:         74
        .size:           2
        .value_kind:     hidden_remainder_x
      - .offset:         76
        .size:           2
        .value_kind:     hidden_remainder_y
      - .offset:         78
        .size:           2
        .value_kind:     hidden_remainder_z
      - .offset:         96
        .size:           8
        .value_kind:     hidden_global_offset_x
      - .offset:         104
        .size:           8
        .value_kind:     hidden_global_offset_y
      - .offset:         112
        .size:           8
        .value_kind:     hidden_global_offset_z
      - .offset:         120
        .size:           2
        .value_kind:     hidden_grid_dims
      - .offset:         176
        .size:           4
        .value_kind:     hidden_dynamic_lds_size
    .group_segment_fixed_size: 0
    .kernarg_segment_align: 8
    .kernarg_segment_size: 312
    .language:       OpenCL C
    .language_version:
      - 2
      - 0
    .max_flat_workgroup_size: 1024
    .name:           _ZN5aiter20topk_softplus_kernelI6__halffDv4_fLb1ELi2EEEvPKT_PKT0_PfPimiiif
    .private_segment_fixed_size: 0
    .sgpr_count:     30
    .sgpr_spill_count: 0
    .symbol:         _ZN5aiter20topk_softplus_kernelI6__halffDv4_fLb1ELi2EEEvPKT_PKT0_PfPimiiif.kd
    .uniform_work_group_size: 1
    .uses_dynamic_stack: false
    .vgpr_count:     20
    .vgpr_spill_count: 0
    .wavefront_size: 64
  - .agpr_count:     0
    .args:
      - .actual_access:  read_only
        .address_space:  global
        .offset:         0
        .size:           8
        .value_kind:     global_buffer
      - .actual_access:  read_only
        .address_space:  global
        .offset:         8
        .size:           8
        .value_kind:     global_buffer
      - .actual_access:  write_only
        .address_space:  global
        .offset:         16
        .size:           8
        .value_kind:     global_buffer
      - .actual_access:  write_only
        .address_space:  global
        .offset:         24
        .size:           8
        .value_kind:     global_buffer
      - .offset:         32
        .size:           8
        .value_kind:     by_value
      - .offset:         40
        .size:           4
        .value_kind:     by_value
      - .offset:         44
        .size:           4
        .value_kind:     by_value
      - .offset:         48
        .size:           4
        .value_kind:     by_value
      - .offset:         52
        .size:           4
        .value_kind:     by_value
      - .offset:         56
        .size:           4
        .value_kind:     hidden_block_count_x
      - .offset:         60
        .size:           4
        .value_kind:     hidden_block_count_y
      - .offset:         64
        .size:           4
        .value_kind:     hidden_block_count_z
      - .offset:         68
        .size:           2
        .value_kind:     hidden_group_size_x
      - .offset:         70
        .size:           2
        .value_kind:     hidden_group_size_y
      - .offset:         72
        .size:           2
        .value_kind:     hidden_group_size_z
      - .offset:         74
        .size:           2
        .value_kind:     hidden_remainder_x
      - .offset:         76
        .size:           2
        .value_kind:     hidden_remainder_y
      - .offset:         78
        .size:           2
        .value_kind:     hidden_remainder_z
      - .offset:         96
        .size:           8
        .value_kind:     hidden_global_offset_x
      - .offset:         104
        .size:           8
        .value_kind:     hidden_global_offset_y
      - .offset:         112
        .size:           8
        .value_kind:     hidden_global_offset_z
      - .offset:         120
        .size:           2
        .value_kind:     hidden_grid_dims
      - .offset:         176
        .size:           4
        .value_kind:     hidden_dynamic_lds_size
    .group_segment_fixed_size: 0
    .kernarg_segment_align: 8
    .kernarg_segment_size: 312
    .language:       OpenCL C
    .language_version:
      - 2
      - 0
    .max_flat_workgroup_size: 1024
    .name:           _ZN5aiter20topk_softplus_kernelI6__halffDv4_fLb0ELi2EEEvPKT_PKT0_PfPimiiif
    .private_segment_fixed_size: 0
    .sgpr_count:     30
    .sgpr_spill_count: 0
    .symbol:         _ZN5aiter20topk_softplus_kernelI6__halffDv4_fLb0ELi2EEEvPKT_PKT0_PfPimiiif.kd
    .uniform_work_group_size: 1
    .uses_dynamic_stack: false
    .vgpr_count:     19
    .vgpr_spill_count: 0
    .wavefront_size: 64
  - .agpr_count:     0
    .args:
      - .actual_access:  read_only
        .address_space:  global
        .offset:         0
        .size:           8
        .value_kind:     global_buffer
      - .actual_access:  read_only
        .address_space:  global
        .offset:         8
        .size:           8
        .value_kind:     global_buffer
      - .actual_access:  write_only
        .address_space:  global
        .offset:         16
        .size:           8
        .value_kind:     global_buffer
      - .actual_access:  write_only
        .address_space:  global
        .offset:         24
        .size:           8
        .value_kind:     global_buffer
      - .offset:         32
        .size:           8
        .value_kind:     by_value
      - .offset:         40
        .size:           4
        .value_kind:     by_value
      - .offset:         44
        .size:           4
        .value_kind:     by_value
      - .offset:         48
        .size:           4
        .value_kind:     by_value
      - .offset:         52
        .size:           4
        .value_kind:     by_value
      - .offset:         56
        .size:           4
        .value_kind:     hidden_block_count_x
      - .offset:         60
        .size:           4
        .value_kind:     hidden_block_count_y
      - .offset:         64
        .size:           4
        .value_kind:     hidden_block_count_z
      - .offset:         68
        .size:           2
        .value_kind:     hidden_group_size_x
      - .offset:         70
        .size:           2
        .value_kind:     hidden_group_size_y
      - .offset:         72
        .size:           2
        .value_kind:     hidden_group_size_z
      - .offset:         74
        .size:           2
        .value_kind:     hidden_remainder_x
      - .offset:         76
        .size:           2
        .value_kind:     hidden_remainder_y
      - .offset:         78
        .size:           2
        .value_kind:     hidden_remainder_z
      - .offset:         96
        .size:           8
        .value_kind:     hidden_global_offset_x
      - .offset:         104
        .size:           8
        .value_kind:     hidden_global_offset_y
      - .offset:         112
        .size:           8
        .value_kind:     hidden_global_offset_z
      - .offset:         120
        .size:           2
        .value_kind:     hidden_grid_dims
      - .offset:         176
        .size:           4
        .value_kind:     hidden_dynamic_lds_size
    .group_segment_fixed_size: 0
    .kernarg_segment_align: 8
    .kernarg_segment_size: 312
    .language:       OpenCL C
    .language_version:
      - 2
      - 0
    .max_flat_workgroup_size: 1024
    .name:           _ZN5aiter20topk_softplus_kernelI6__halffDv2_fLb1ELi2EEEvPKT_PKT0_PfPimiiif
    .private_segment_fixed_size: 0
    .sgpr_count:     30
    .sgpr_spill_count: 0
    .symbol:         _ZN5aiter20topk_softplus_kernelI6__halffDv2_fLb1ELi2EEEvPKT_PKT0_PfPimiiif.kd
    .uniform_work_group_size: 1
    .uses_dynamic_stack: false
    .vgpr_count:     16
    .vgpr_spill_count: 0
    .wavefront_size: 64
  - .agpr_count:     0
    .args:
      - .actual_access:  read_only
        .address_space:  global
        .offset:         0
        .size:           8
        .value_kind:     global_buffer
      - .actual_access:  read_only
        .address_space:  global
        .offset:         8
        .size:           8
        .value_kind:     global_buffer
      - .actual_access:  write_only
        .address_space:  global
        .offset:         16
        .size:           8
        .value_kind:     global_buffer
      - .actual_access:  write_only
        .address_space:  global
        .offset:         24
        .size:           8
        .value_kind:     global_buffer
      - .offset:         32
        .size:           8
        .value_kind:     by_value
      - .offset:         40
        .size:           4
        .value_kind:     by_value
      - .offset:         44
        .size:           4
        .value_kind:     by_value
      - .offset:         48
        .size:           4
        .value_kind:     by_value
      - .offset:         52
        .size:           4
        .value_kind:     by_value
      - .offset:         56
        .size:           4
        .value_kind:     hidden_block_count_x
      - .offset:         60
        .size:           4
        .value_kind:     hidden_block_count_y
      - .offset:         64
        .size:           4
        .value_kind:     hidden_block_count_z
      - .offset:         68
        .size:           2
        .value_kind:     hidden_group_size_x
      - .offset:         70
        .size:           2
        .value_kind:     hidden_group_size_y
      - .offset:         72
        .size:           2
        .value_kind:     hidden_group_size_z
      - .offset:         74
        .size:           2
        .value_kind:     hidden_remainder_x
      - .offset:         76
        .size:           2
        .value_kind:     hidden_remainder_y
      - .offset:         78
        .size:           2
        .value_kind:     hidden_remainder_z
      - .offset:         96
        .size:           8
        .value_kind:     hidden_global_offset_x
      - .offset:         104
        .size:           8
        .value_kind:     hidden_global_offset_y
      - .offset:         112
        .size:           8
        .value_kind:     hidden_global_offset_z
      - .offset:         120
        .size:           2
        .value_kind:     hidden_grid_dims
      - .offset:         176
        .size:           4
        .value_kind:     hidden_dynamic_lds_size
    .group_segment_fixed_size: 0
    .kernarg_segment_align: 8
    .kernarg_segment_size: 312
    .language:       OpenCL C
    .language_version:
      - 2
      - 0
    .max_flat_workgroup_size: 1024
    .name:           _ZN5aiter20topk_softplus_kernelI6__halffDv2_fLb0ELi2EEEvPKT_PKT0_PfPimiiif
    .private_segment_fixed_size: 0
    .sgpr_count:     30
    .sgpr_spill_count: 0
    .symbol:         _ZN5aiter20topk_softplus_kernelI6__halffDv2_fLb0ELi2EEEvPKT_PKT0_PfPimiiif.kd
    .uniform_work_group_size: 1
    .uses_dynamic_stack: false
    .vgpr_count:     15
    .vgpr_spill_count: 0
    .wavefront_size: 64
  - .agpr_count:     0
    .args:
      - .actual_access:  read_only
        .address_space:  global
        .offset:         0
        .size:           8
        .value_kind:     global_buffer
      - .actual_access:  read_only
        .address_space:  global
        .offset:         8
        .size:           8
        .value_kind:     global_buffer
      - .actual_access:  write_only
        .address_space:  global
        .offset:         16
        .size:           8
        .value_kind:     global_buffer
      - .actual_access:  write_only
        .address_space:  global
        .offset:         24
        .size:           8
        .value_kind:     global_buffer
      - .offset:         32
        .size:           8
        .value_kind:     by_value
      - .offset:         40
        .size:           4
        .value_kind:     by_value
      - .offset:         44
        .size:           4
        .value_kind:     by_value
      - .offset:         48
        .size:           4
        .value_kind:     by_value
      - .offset:         52
        .size:           4
        .value_kind:     by_value
      - .offset:         56
        .size:           4
        .value_kind:     hidden_block_count_x
      - .offset:         60
        .size:           4
        .value_kind:     hidden_block_count_y
      - .offset:         64
        .size:           4
        .value_kind:     hidden_block_count_z
      - .offset:         68
        .size:           2
        .value_kind:     hidden_group_size_x
      - .offset:         70
        .size:           2
        .value_kind:     hidden_group_size_y
      - .offset:         72
        .size:           2
        .value_kind:     hidden_group_size_z
      - .offset:         74
        .size:           2
        .value_kind:     hidden_remainder_x
      - .offset:         76
        .size:           2
        .value_kind:     hidden_remainder_y
      - .offset:         78
        .size:           2
        .value_kind:     hidden_remainder_z
      - .offset:         96
        .size:           8
        .value_kind:     hidden_global_offset_x
      - .offset:         104
        .size:           8
        .value_kind:     hidden_global_offset_y
      - .offset:         112
        .size:           8
        .value_kind:     hidden_global_offset_z
      - .offset:         120
        .size:           2
        .value_kind:     hidden_grid_dims
      - .offset:         176
        .size:           4
        .value_kind:     hidden_dynamic_lds_size
    .group_segment_fixed_size: 0
    .kernarg_segment_align: 8
    .kernarg_segment_size: 312
    .language:       OpenCL C
    .language_version:
      - 2
      - 0
    .max_flat_workgroup_size: 1024
    .name:           _ZN5aiter20topk_softplus_kernelI6__halffDv1_fLb1ELi2EEEvPKT_PKT0_PfPimiiif
    .private_segment_fixed_size: 0
    .sgpr_count:     28
    .sgpr_spill_count: 0
    .symbol:         _ZN5aiter20topk_softplus_kernelI6__halffDv1_fLb1ELi2EEEvPKT_PKT0_PfPimiiif.kd
    .uniform_work_group_size: 1
    .uses_dynamic_stack: false
    .vgpr_count:     12
    .vgpr_spill_count: 0
    .wavefront_size: 64
  - .agpr_count:     0
    .args:
      - .actual_access:  read_only
        .address_space:  global
        .offset:         0
        .size:           8
        .value_kind:     global_buffer
      - .actual_access:  read_only
        .address_space:  global
        .offset:         8
        .size:           8
        .value_kind:     global_buffer
      - .actual_access:  write_only
        .address_space:  global
        .offset:         16
        .size:           8
        .value_kind:     global_buffer
      - .actual_access:  write_only
        .address_space:  global
        .offset:         24
        .size:           8
        .value_kind:     global_buffer
      - .offset:         32
        .size:           8
        .value_kind:     by_value
      - .offset:         40
        .size:           4
        .value_kind:     by_value
      - .offset:         44
        .size:           4
        .value_kind:     by_value
      - .offset:         48
        .size:           4
        .value_kind:     by_value
      - .offset:         52
        .size:           4
        .value_kind:     by_value
      - .offset:         56
        .size:           4
        .value_kind:     hidden_block_count_x
      - .offset:         60
        .size:           4
        .value_kind:     hidden_block_count_y
      - .offset:         64
        .size:           4
        .value_kind:     hidden_block_count_z
      - .offset:         68
        .size:           2
        .value_kind:     hidden_group_size_x
      - .offset:         70
        .size:           2
        .value_kind:     hidden_group_size_y
      - .offset:         72
        .size:           2
        .value_kind:     hidden_group_size_z
      - .offset:         74
        .size:           2
        .value_kind:     hidden_remainder_x
      - .offset:         76
        .size:           2
        .value_kind:     hidden_remainder_y
      - .offset:         78
        .size:           2
        .value_kind:     hidden_remainder_z
      - .offset:         96
        .size:           8
        .value_kind:     hidden_global_offset_x
      - .offset:         104
        .size:           8
        .value_kind:     hidden_global_offset_y
      - .offset:         112
        .size:           8
        .value_kind:     hidden_global_offset_z
      - .offset:         120
        .size:           2
        .value_kind:     hidden_grid_dims
      - .offset:         176
        .size:           4
        .value_kind:     hidden_dynamic_lds_size
    .group_segment_fixed_size: 0
    .kernarg_segment_align: 8
    .kernarg_segment_size: 312
    .language:       OpenCL C
    .language_version:
      - 2
      - 0
    .max_flat_workgroup_size: 1024
    .name:           _ZN5aiter20topk_softplus_kernelI6__halffDv1_fLb0ELi2EEEvPKT_PKT0_PfPimiiif
    .private_segment_fixed_size: 0
    .sgpr_count:     28
    .sgpr_spill_count: 0
    .symbol:         _ZN5aiter20topk_softplus_kernelI6__halffDv1_fLb0ELi2EEEvPKT_PKT0_PfPimiiif.kd
    .uniform_work_group_size: 1
    .uses_dynamic_stack: false
    .vgpr_count:     12
    .vgpr_spill_count: 0
    .wavefront_size: 64
  - .agpr_count:     0
    .args:
      - .actual_access:  read_only
        .address_space:  global
        .offset:         0
        .size:           8
        .value_kind:     global_buffer
      - .actual_access:  read_only
        .address_space:  global
        .offset:         8
        .size:           8
        .value_kind:     global_buffer
      - .actual_access:  write_only
        .address_space:  global
        .offset:         16
        .size:           8
        .value_kind:     global_buffer
      - .actual_access:  write_only
        .address_space:  global
        .offset:         24
        .size:           8
        .value_kind:     global_buffer
      - .offset:         32
        .size:           8
        .value_kind:     by_value
      - .offset:         40
        .size:           4
        .value_kind:     by_value
      - .offset:         44
        .size:           4
        .value_kind:     by_value
      - .offset:         48
        .size:           4
        .value_kind:     by_value
    .group_segment_fixed_size: 0
    .kernarg_segment_align: 8
    .kernarg_segment_size: 52
    .language:       OpenCL C
    .language_version:
      - 2
      - 0
    .max_flat_workgroup_size: 1024
    .name:           _ZN5aiter24topk_softplus_kernel_optI6__halffLi64ELb1ELi0EEEvPKT_PKT0_PfPimiif
    .private_segment_fixed_size: 0
    .sgpr_count:     17
    .sgpr_spill_count: 0
    .symbol:         _ZN5aiter24topk_softplus_kernel_optI6__halffLi64ELb1ELi0EEEvPKT_PKT0_PfPimiif.kd
    .uniform_work_group_size: 1
    .uses_dynamic_stack: false
    .vgpr_count:     14
    .vgpr_spill_count: 0
    .wavefront_size: 64
  - .agpr_count:     0
    .args:
      - .actual_access:  read_only
        .address_space:  global
        .offset:         0
        .size:           8
        .value_kind:     global_buffer
      - .actual_access:  read_only
        .address_space:  global
        .offset:         8
        .size:           8
        .value_kind:     global_buffer
      - .actual_access:  write_only
        .address_space:  global
        .offset:         16
        .size:           8
        .value_kind:     global_buffer
      - .actual_access:  write_only
        .address_space:  global
        .offset:         24
        .size:           8
        .value_kind:     global_buffer
      - .offset:         32
        .size:           8
        .value_kind:     by_value
      - .offset:         40
        .size:           4
        .value_kind:     by_value
      - .offset:         44
        .size:           4
        .value_kind:     by_value
      - .offset:         48
        .size:           4
        .value_kind:     by_value
    .group_segment_fixed_size: 0
    .kernarg_segment_align: 8
    .kernarg_segment_size: 52
    .language:       OpenCL C
    .language_version:
      - 2
      - 0
    .max_flat_workgroup_size: 1024
    .name:           _ZN5aiter24topk_softplus_kernel_optI6__halffLi64ELb0ELi0EEEvPKT_PKT0_PfPimiif
    .private_segment_fixed_size: 0
    .sgpr_count:     17
    .sgpr_spill_count: 0
    .symbol:         _ZN5aiter24topk_softplus_kernel_optI6__halffLi64ELb0ELi0EEEvPKT_PKT0_PfPimiif.kd
    .uniform_work_group_size: 1
    .uses_dynamic_stack: false
    .vgpr_count:     13
    .vgpr_spill_count: 0
    .wavefront_size: 64
  - .agpr_count:     0
    .args:
      - .actual_access:  read_only
        .address_space:  global
        .offset:         0
        .size:           8
        .value_kind:     global_buffer
      - .actual_access:  read_only
        .address_space:  global
        .offset:         8
        .size:           8
        .value_kind:     global_buffer
      - .actual_access:  write_only
        .address_space:  global
        .offset:         16
        .size:           8
        .value_kind:     global_buffer
      - .actual_access:  write_only
        .address_space:  global
        .offset:         24
        .size:           8
        .value_kind:     global_buffer
      - .offset:         32
        .size:           8
        .value_kind:     by_value
      - .offset:         40
        .size:           4
        .value_kind:     by_value
      - .offset:         44
        .size:           4
        .value_kind:     by_value
      - .offset:         48
        .size:           4
        .value_kind:     by_value
    .group_segment_fixed_size: 0
    .kernarg_segment_align: 8
    .kernarg_segment_size: 52
    .language:       OpenCL C
    .language_version:
      - 2
      - 0
    .max_flat_workgroup_size: 1024
    .name:           _ZN5aiter24topk_softplus_kernel_optI6__halffLi128ELb1ELi0EEEvPKT_PKT0_PfPimiif
    .private_segment_fixed_size: 0
    .sgpr_count:     20
    .sgpr_spill_count: 0
    .symbol:         _ZN5aiter24topk_softplus_kernel_optI6__halffLi128ELb1ELi0EEEvPKT_PKT0_PfPimiif.kd
    .uniform_work_group_size: 1
    .uses_dynamic_stack: false
    .vgpr_count:     21
    .vgpr_spill_count: 0
    .wavefront_size: 64
  - .agpr_count:     0
    .args:
      - .actual_access:  read_only
        .address_space:  global
        .offset:         0
        .size:           8
        .value_kind:     global_buffer
      - .actual_access:  read_only
        .address_space:  global
        .offset:         8
        .size:           8
        .value_kind:     global_buffer
      - .actual_access:  write_only
        .address_space:  global
        .offset:         16
        .size:           8
        .value_kind:     global_buffer
      - .actual_access:  write_only
        .address_space:  global
        .offset:         24
        .size:           8
        .value_kind:     global_buffer
      - .offset:         32
        .size:           8
        .value_kind:     by_value
      - .offset:         40
        .size:           4
        .value_kind:     by_value
      - .offset:         44
        .size:           4
        .value_kind:     by_value
      - .offset:         48
        .size:           4
        .value_kind:     by_value
    .group_segment_fixed_size: 0
    .kernarg_segment_align: 8
    .kernarg_segment_size: 52
    .language:       OpenCL C
    .language_version:
      - 2
      - 0
    .max_flat_workgroup_size: 1024
    .name:           _ZN5aiter24topk_softplus_kernel_optI6__halffLi128ELb0ELi0EEEvPKT_PKT0_PfPimiif
    .private_segment_fixed_size: 0
    .sgpr_count:     20
    .sgpr_spill_count: 0
    .symbol:         _ZN5aiter24topk_softplus_kernel_optI6__halffLi128ELb0ELi0EEEvPKT_PKT0_PfPimiif.kd
    .uniform_work_group_size: 1
    .uses_dynamic_stack: false
    .vgpr_count:     20
    .vgpr_spill_count: 0
    .wavefront_size: 64
  - .agpr_count:     0
    .args:
      - .actual_access:  read_only
        .address_space:  global
        .offset:         0
        .size:           8
        .value_kind:     global_buffer
      - .actual_access:  read_only
        .address_space:  global
        .offset:         8
        .size:           8
        .value_kind:     global_buffer
      - .actual_access:  write_only
        .address_space:  global
        .offset:         16
        .size:           8
        .value_kind:     global_buffer
      - .actual_access:  write_only
        .address_space:  global
        .offset:         24
        .size:           8
        .value_kind:     global_buffer
      - .offset:         32
        .size:           8
        .value_kind:     by_value
      - .offset:         40
        .size:           4
        .value_kind:     by_value
      - .offset:         44
        .size:           4
        .value_kind:     by_value
      - .offset:         48
        .size:           4
        .value_kind:     by_value
    .group_segment_fixed_size: 0
    .kernarg_segment_align: 8
    .kernarg_segment_size: 52
    .language:       OpenCL C
    .language_version:
      - 2
      - 0
    .max_flat_workgroup_size: 1024
    .name:           _ZN5aiter24topk_softplus_kernel_optI6__halffLi256ELb1ELi0EEEvPKT_PKT0_PfPimiif
    .private_segment_fixed_size: 0
    .sgpr_count:     20
    .sgpr_spill_count: 0
    .symbol:         _ZN5aiter24topk_softplus_kernel_optI6__halffLi256ELb1ELi0EEEvPKT_PKT0_PfPimiif.kd
    .uniform_work_group_size: 1
    .uses_dynamic_stack: false
    .vgpr_count:     27
    .vgpr_spill_count: 0
    .wavefront_size: 64
  - .agpr_count:     0
    .args:
      - .actual_access:  read_only
        .address_space:  global
        .offset:         0
        .size:           8
        .value_kind:     global_buffer
      - .actual_access:  read_only
        .address_space:  global
        .offset:         8
        .size:           8
        .value_kind:     global_buffer
      - .actual_access:  write_only
        .address_space:  global
        .offset:         16
        .size:           8
        .value_kind:     global_buffer
      - .actual_access:  write_only
        .address_space:  global
        .offset:         24
        .size:           8
        .value_kind:     global_buffer
      - .offset:         32
        .size:           8
        .value_kind:     by_value
      - .offset:         40
        .size:           4
        .value_kind:     by_value
      - .offset:         44
        .size:           4
        .value_kind:     by_value
      - .offset:         48
        .size:           4
        .value_kind:     by_value
    .group_segment_fixed_size: 0
    .kernarg_segment_align: 8
    .kernarg_segment_size: 52
    .language:       OpenCL C
    .language_version:
      - 2
      - 0
    .max_flat_workgroup_size: 1024
    .name:           _ZN5aiter24topk_softplus_kernel_optI6__halffLi256ELb0ELi0EEEvPKT_PKT0_PfPimiif
    .private_segment_fixed_size: 0
    .sgpr_count:     20
    .sgpr_spill_count: 0
    .symbol:         _ZN5aiter24topk_softplus_kernel_optI6__halffLi256ELb0ELi0EEEvPKT_PKT0_PfPimiif.kd
    .uniform_work_group_size: 1
    .uses_dynamic_stack: false
    .vgpr_count:     26
    .vgpr_spill_count: 0
    .wavefront_size: 64
  - .agpr_count:     0
    .args:
      - .actual_access:  read_only
        .address_space:  global
        .offset:         0
        .size:           8
        .value_kind:     global_buffer
      - .actual_access:  read_only
        .address_space:  global
        .offset:         8
        .size:           8
        .value_kind:     global_buffer
      - .actual_access:  write_only
        .address_space:  global
        .offset:         16
        .size:           8
        .value_kind:     global_buffer
      - .actual_access:  write_only
        .address_space:  global
        .offset:         24
        .size:           8
        .value_kind:     global_buffer
      - .offset:         32
        .size:           8
        .value_kind:     by_value
      - .offset:         40
        .size:           4
        .value_kind:     by_value
      - .offset:         44
        .size:           4
        .value_kind:     by_value
      - .offset:         48
        .size:           4
        .value_kind:     by_value
    .group_segment_fixed_size: 0
    .kernarg_segment_align: 8
    .kernarg_segment_size: 52
    .language:       OpenCL C
    .language_version:
      - 2
      - 0
    .max_flat_workgroup_size: 1024
    .name:           _ZN5aiter24topk_softplus_kernel_optI6__halffLi384ELb1ELi0EEEvPKT_PKT0_PfPimiif
    .private_segment_fixed_size: 0
    .sgpr_count:     26
    .sgpr_spill_count: 0
    .symbol:         _ZN5aiter24topk_softplus_kernel_optI6__halffLi384ELb1ELi0EEEvPKT_PKT0_PfPimiif.kd
    .uniform_work_group_size: 1
    .uses_dynamic_stack: false
    .vgpr_count:     30
    .vgpr_spill_count: 0
    .wavefront_size: 64
  - .agpr_count:     0
    .args:
      - .actual_access:  read_only
        .address_space:  global
        .offset:         0
        .size:           8
        .value_kind:     global_buffer
      - .actual_access:  read_only
        .address_space:  global
        .offset:         8
        .size:           8
        .value_kind:     global_buffer
      - .actual_access:  write_only
        .address_space:  global
        .offset:         16
        .size:           8
        .value_kind:     global_buffer
      - .actual_access:  write_only
        .address_space:  global
        .offset:         24
        .size:           8
        .value_kind:     global_buffer
      - .offset:         32
        .size:           8
        .value_kind:     by_value
      - .offset:         40
        .size:           4
        .value_kind:     by_value
      - .offset:         44
        .size:           4
        .value_kind:     by_value
      - .offset:         48
        .size:           4
        .value_kind:     by_value
    .group_segment_fixed_size: 0
    .kernarg_segment_align: 8
    .kernarg_segment_size: 52
    .language:       OpenCL C
    .language_version:
      - 2
      - 0
    .max_flat_workgroup_size: 1024
    .name:           _ZN5aiter24topk_softplus_kernel_optI6__halffLi384ELb0ELi0EEEvPKT_PKT0_PfPimiif
    .private_segment_fixed_size: 0
    .sgpr_count:     26
    .sgpr_spill_count: 0
    .symbol:         _ZN5aiter24topk_softplus_kernel_optI6__halffLi384ELb0ELi0EEEvPKT_PKT0_PfPimiif.kd
    .uniform_work_group_size: 1
    .uses_dynamic_stack: false
    .vgpr_count:     29
    .vgpr_spill_count: 0
    .wavefront_size: 64
  - .agpr_count:     0
    .args:
      - .actual_access:  read_only
        .address_space:  global
        .offset:         0
        .size:           8
        .value_kind:     global_buffer
      - .actual_access:  read_only
        .address_space:  global
        .offset:         8
        .size:           8
        .value_kind:     global_buffer
      - .actual_access:  write_only
        .address_space:  global
        .offset:         16
        .size:           8
        .value_kind:     global_buffer
      - .actual_access:  write_only
        .address_space:  global
        .offset:         24
        .size:           8
        .value_kind:     global_buffer
      - .offset:         32
        .size:           8
        .value_kind:     by_value
      - .offset:         40
        .size:           4
        .value_kind:     by_value
      - .offset:         44
        .size:           4
        .value_kind:     by_value
      - .offset:         48
        .size:           4
        .value_kind:     by_value
      - .offset:         52
        .size:           4
        .value_kind:     by_value
      - .offset:         56
        .size:           4
        .value_kind:     hidden_block_count_x
      - .offset:         60
        .size:           4
        .value_kind:     hidden_block_count_y
      - .offset:         64
        .size:           4
        .value_kind:     hidden_block_count_z
      - .offset:         68
        .size:           2
        .value_kind:     hidden_group_size_x
      - .offset:         70
        .size:           2
        .value_kind:     hidden_group_size_y
      - .offset:         72
        .size:           2
        .value_kind:     hidden_group_size_z
      - .offset:         74
        .size:           2
        .value_kind:     hidden_remainder_x
      - .offset:         76
        .size:           2
        .value_kind:     hidden_remainder_y
      - .offset:         78
        .size:           2
        .value_kind:     hidden_remainder_z
      - .offset:         96
        .size:           8
        .value_kind:     hidden_global_offset_x
      - .offset:         104
        .size:           8
        .value_kind:     hidden_global_offset_y
      - .offset:         112
        .size:           8
        .value_kind:     hidden_global_offset_z
      - .offset:         120
        .size:           2
        .value_kind:     hidden_grid_dims
      - .offset:         176
        .size:           4
        .value_kind:     hidden_dynamic_lds_size
    .group_segment_fixed_size: 0
    .kernarg_segment_align: 8
    .kernarg_segment_size: 312
    .language:       OpenCL C
    .language_version:
      - 2
      - 0
    .max_flat_workgroup_size: 1024
    .name:           _ZN5aiter20topk_softplus_kernelI6__halffDv4_fLb1ELi0EEEvPKT_PKT0_PfPimiiif
    .private_segment_fixed_size: 0
    .sgpr_count:     49
    .sgpr_spill_count: 0
    .symbol:         _ZN5aiter20topk_softplus_kernelI6__halffDv4_fLb1ELi0EEEvPKT_PKT0_PfPimiiif.kd
    .uniform_work_group_size: 1
    .uses_dynamic_stack: false
    .vgpr_count:     25
    .vgpr_spill_count: 0
    .wavefront_size: 64
  - .agpr_count:     0
    .args:
      - .actual_access:  read_only
        .address_space:  global
        .offset:         0
        .size:           8
        .value_kind:     global_buffer
      - .actual_access:  read_only
        .address_space:  global
        .offset:         8
        .size:           8
        .value_kind:     global_buffer
      - .actual_access:  write_only
        .address_space:  global
        .offset:         16
        .size:           8
        .value_kind:     global_buffer
      - .actual_access:  write_only
        .address_space:  global
        .offset:         24
        .size:           8
        .value_kind:     global_buffer
      - .offset:         32
        .size:           8
        .value_kind:     by_value
      - .offset:         40
        .size:           4
        .value_kind:     by_value
      - .offset:         44
        .size:           4
        .value_kind:     by_value
      - .offset:         48
        .size:           4
        .value_kind:     by_value
      - .offset:         52
        .size:           4
        .value_kind:     by_value
      - .offset:         56
        .size:           4
        .value_kind:     hidden_block_count_x
      - .offset:         60
        .size:           4
        .value_kind:     hidden_block_count_y
      - .offset:         64
        .size:           4
        .value_kind:     hidden_block_count_z
      - .offset:         68
        .size:           2
        .value_kind:     hidden_group_size_x
      - .offset:         70
        .size:           2
        .value_kind:     hidden_group_size_y
      - .offset:         72
        .size:           2
        .value_kind:     hidden_group_size_z
      - .offset:         74
        .size:           2
        .value_kind:     hidden_remainder_x
      - .offset:         76
        .size:           2
        .value_kind:     hidden_remainder_y
      - .offset:         78
        .size:           2
        .value_kind:     hidden_remainder_z
      - .offset:         96
        .size:           8
        .value_kind:     hidden_global_offset_x
      - .offset:         104
        .size:           8
        .value_kind:     hidden_global_offset_y
      - .offset:         112
        .size:           8
        .value_kind:     hidden_global_offset_z
      - .offset:         120
        .size:           2
        .value_kind:     hidden_grid_dims
      - .offset:         176
        .size:           4
        .value_kind:     hidden_dynamic_lds_size
    .group_segment_fixed_size: 0
    .kernarg_segment_align: 8
    .kernarg_segment_size: 312
    .language:       OpenCL C
    .language_version:
      - 2
      - 0
    .max_flat_workgroup_size: 1024
    .name:           _ZN5aiter20topk_softplus_kernelI6__halffDv4_fLb0ELi0EEEvPKT_PKT0_PfPimiiif
    .private_segment_fixed_size: 0
    .sgpr_count:     49
    .sgpr_spill_count: 0
    .symbol:         _ZN5aiter20topk_softplus_kernelI6__halffDv4_fLb0ELi0EEEvPKT_PKT0_PfPimiiif.kd
    .uniform_work_group_size: 1
    .uses_dynamic_stack: false
    .vgpr_count:     25
    .vgpr_spill_count: 0
    .wavefront_size: 64
  - .agpr_count:     0
    .args:
      - .actual_access:  read_only
        .address_space:  global
        .offset:         0
        .size:           8
        .value_kind:     global_buffer
      - .actual_access:  read_only
        .address_space:  global
        .offset:         8
        .size:           8
        .value_kind:     global_buffer
      - .actual_access:  write_only
        .address_space:  global
        .offset:         16
        .size:           8
        .value_kind:     global_buffer
      - .actual_access:  write_only
        .address_space:  global
        .offset:         24
        .size:           8
        .value_kind:     global_buffer
      - .offset:         32
        .size:           8
        .value_kind:     by_value
      - .offset:         40
        .size:           4
        .value_kind:     by_value
      - .offset:         44
        .size:           4
        .value_kind:     by_value
      - .offset:         48
        .size:           4
        .value_kind:     by_value
      - .offset:         52
        .size:           4
        .value_kind:     by_value
      - .offset:         56
        .size:           4
        .value_kind:     hidden_block_count_x
      - .offset:         60
        .size:           4
        .value_kind:     hidden_block_count_y
      - .offset:         64
        .size:           4
        .value_kind:     hidden_block_count_z
      - .offset:         68
        .size:           2
        .value_kind:     hidden_group_size_x
      - .offset:         70
        .size:           2
        .value_kind:     hidden_group_size_y
      - .offset:         72
        .size:           2
        .value_kind:     hidden_group_size_z
      - .offset:         74
        .size:           2
        .value_kind:     hidden_remainder_x
      - .offset:         76
        .size:           2
        .value_kind:     hidden_remainder_y
      - .offset:         78
        .size:           2
        .value_kind:     hidden_remainder_z
      - .offset:         96
        .size:           8
        .value_kind:     hidden_global_offset_x
      - .offset:         104
        .size:           8
        .value_kind:     hidden_global_offset_y
      - .offset:         112
        .size:           8
        .value_kind:     hidden_global_offset_z
      - .offset:         120
        .size:           2
        .value_kind:     hidden_grid_dims
      - .offset:         176
        .size:           4
        .value_kind:     hidden_dynamic_lds_size
    .group_segment_fixed_size: 0
    .kernarg_segment_align: 8
    .kernarg_segment_size: 312
    .language:       OpenCL C
    .language_version:
      - 2
      - 0
    .max_flat_workgroup_size: 1024
    .name:           _ZN5aiter20topk_softplus_kernelI6__halffDv2_fLb1ELi0EEEvPKT_PKT0_PfPimiiif
    .private_segment_fixed_size: 0
    .sgpr_count:     41
    .sgpr_spill_count: 0
    .symbol:         _ZN5aiter20topk_softplus_kernelI6__halffDv2_fLb1ELi0EEEvPKT_PKT0_PfPimiiif.kd
    .uniform_work_group_size: 1
    .uses_dynamic_stack: false
    .vgpr_count:     21
    .vgpr_spill_count: 0
    .wavefront_size: 64
  - .agpr_count:     0
    .args:
      - .actual_access:  read_only
        .address_space:  global
        .offset:         0
        .size:           8
        .value_kind:     global_buffer
      - .actual_access:  read_only
        .address_space:  global
        .offset:         8
        .size:           8
        .value_kind:     global_buffer
      - .actual_access:  write_only
        .address_space:  global
        .offset:         16
        .size:           8
        .value_kind:     global_buffer
      - .actual_access:  write_only
        .address_space:  global
        .offset:         24
        .size:           8
        .value_kind:     global_buffer
      - .offset:         32
        .size:           8
        .value_kind:     by_value
      - .offset:         40
        .size:           4
        .value_kind:     by_value
      - .offset:         44
        .size:           4
        .value_kind:     by_value
      - .offset:         48
        .size:           4
        .value_kind:     by_value
      - .offset:         52
        .size:           4
        .value_kind:     by_value
      - .offset:         56
        .size:           4
        .value_kind:     hidden_block_count_x
      - .offset:         60
        .size:           4
        .value_kind:     hidden_block_count_y
      - .offset:         64
        .size:           4
        .value_kind:     hidden_block_count_z
      - .offset:         68
        .size:           2
        .value_kind:     hidden_group_size_x
      - .offset:         70
        .size:           2
        .value_kind:     hidden_group_size_y
      - .offset:         72
        .size:           2
        .value_kind:     hidden_group_size_z
      - .offset:         74
        .size:           2
        .value_kind:     hidden_remainder_x
      - .offset:         76
        .size:           2
        .value_kind:     hidden_remainder_y
      - .offset:         78
        .size:           2
        .value_kind:     hidden_remainder_z
      - .offset:         96
        .size:           8
        .value_kind:     hidden_global_offset_x
      - .offset:         104
        .size:           8
        .value_kind:     hidden_global_offset_y
      - .offset:         112
        .size:           8
        .value_kind:     hidden_global_offset_z
      - .offset:         120
        .size:           2
        .value_kind:     hidden_grid_dims
      - .offset:         176
        .size:           4
        .value_kind:     hidden_dynamic_lds_size
    .group_segment_fixed_size: 0
    .kernarg_segment_align: 8
    .kernarg_segment_size: 312
    .language:       OpenCL C
    .language_version:
      - 2
      - 0
    .max_flat_workgroup_size: 1024
    .name:           _ZN5aiter20topk_softplus_kernelI6__halffDv2_fLb0ELi0EEEvPKT_PKT0_PfPimiiif
    .private_segment_fixed_size: 0
    .sgpr_count:     41
    .sgpr_spill_count: 0
    .symbol:         _ZN5aiter20topk_softplus_kernelI6__halffDv2_fLb0ELi0EEEvPKT_PKT0_PfPimiiif.kd
    .uniform_work_group_size: 1
    .uses_dynamic_stack: false
    .vgpr_count:     21
    .vgpr_spill_count: 0
    .wavefront_size: 64
  - .agpr_count:     0
    .args:
      - .actual_access:  read_only
        .address_space:  global
        .offset:         0
        .size:           8
        .value_kind:     global_buffer
      - .actual_access:  read_only
        .address_space:  global
        .offset:         8
        .size:           8
        .value_kind:     global_buffer
      - .actual_access:  write_only
        .address_space:  global
        .offset:         16
        .size:           8
        .value_kind:     global_buffer
      - .actual_access:  write_only
        .address_space:  global
        .offset:         24
        .size:           8
        .value_kind:     global_buffer
      - .offset:         32
        .size:           8
        .value_kind:     by_value
      - .offset:         40
        .size:           4
        .value_kind:     by_value
      - .offset:         44
        .size:           4
        .value_kind:     by_value
      - .offset:         48
        .size:           4
        .value_kind:     by_value
      - .offset:         52
        .size:           4
        .value_kind:     by_value
      - .offset:         56
        .size:           4
        .value_kind:     hidden_block_count_x
      - .offset:         60
        .size:           4
        .value_kind:     hidden_block_count_y
      - .offset:         64
        .size:           4
        .value_kind:     hidden_block_count_z
      - .offset:         68
        .size:           2
        .value_kind:     hidden_group_size_x
      - .offset:         70
        .size:           2
        .value_kind:     hidden_group_size_y
      - .offset:         72
        .size:           2
        .value_kind:     hidden_group_size_z
      - .offset:         74
        .size:           2
        .value_kind:     hidden_remainder_x
      - .offset:         76
        .size:           2
        .value_kind:     hidden_remainder_y
      - .offset:         78
        .size:           2
        .value_kind:     hidden_remainder_z
      - .offset:         96
        .size:           8
        .value_kind:     hidden_global_offset_x
      - .offset:         104
        .size:           8
        .value_kind:     hidden_global_offset_y
      - .offset:         112
        .size:           8
        .value_kind:     hidden_global_offset_z
      - .offset:         120
        .size:           2
        .value_kind:     hidden_grid_dims
      - .offset:         176
        .size:           4
        .value_kind:     hidden_dynamic_lds_size
    .group_segment_fixed_size: 0
    .kernarg_segment_align: 8
    .kernarg_segment_size: 312
    .language:       OpenCL C
    .language_version:
      - 2
      - 0
    .max_flat_workgroup_size: 1024
    .name:           _ZN5aiter20topk_softplus_kernelI6__halffDv1_fLb1ELi0EEEvPKT_PKT0_PfPimiiif
    .private_segment_fixed_size: 0
    .sgpr_count:     36
    .sgpr_spill_count: 0
    .symbol:         _ZN5aiter20topk_softplus_kernelI6__halffDv1_fLb1ELi0EEEvPKT_PKT0_PfPimiiif.kd
    .uniform_work_group_size: 1
    .uses_dynamic_stack: false
    .vgpr_count:     17
    .vgpr_spill_count: 0
    .wavefront_size: 64
  - .agpr_count:     0
    .args:
      - .actual_access:  read_only
        .address_space:  global
        .offset:         0
        .size:           8
        .value_kind:     global_buffer
      - .actual_access:  read_only
        .address_space:  global
        .offset:         8
        .size:           8
        .value_kind:     global_buffer
      - .actual_access:  write_only
        .address_space:  global
        .offset:         16
        .size:           8
        .value_kind:     global_buffer
      - .actual_access:  write_only
        .address_space:  global
        .offset:         24
        .size:           8
        .value_kind:     global_buffer
      - .offset:         32
        .size:           8
        .value_kind:     by_value
      - .offset:         40
        .size:           4
        .value_kind:     by_value
      - .offset:         44
        .size:           4
        .value_kind:     by_value
      - .offset:         48
        .size:           4
        .value_kind:     by_value
      - .offset:         52
        .size:           4
        .value_kind:     by_value
      - .offset:         56
        .size:           4
        .value_kind:     hidden_block_count_x
      - .offset:         60
        .size:           4
        .value_kind:     hidden_block_count_y
      - .offset:         64
        .size:           4
        .value_kind:     hidden_block_count_z
      - .offset:         68
        .size:           2
        .value_kind:     hidden_group_size_x
      - .offset:         70
        .size:           2
        .value_kind:     hidden_group_size_y
      - .offset:         72
        .size:           2
        .value_kind:     hidden_group_size_z
      - .offset:         74
        .size:           2
        .value_kind:     hidden_remainder_x
      - .offset:         76
        .size:           2
        .value_kind:     hidden_remainder_y
      - .offset:         78
        .size:           2
        .value_kind:     hidden_remainder_z
      - .offset:         96
        .size:           8
        .value_kind:     hidden_global_offset_x
      - .offset:         104
        .size:           8
        .value_kind:     hidden_global_offset_y
      - .offset:         112
        .size:           8
        .value_kind:     hidden_global_offset_z
      - .offset:         120
        .size:           2
        .value_kind:     hidden_grid_dims
      - .offset:         176
        .size:           4
        .value_kind:     hidden_dynamic_lds_size
    .group_segment_fixed_size: 0
    .kernarg_segment_align: 8
    .kernarg_segment_size: 312
    .language:       OpenCL C
    .language_version:
      - 2
      - 0
    .max_flat_workgroup_size: 1024
    .name:           _ZN5aiter20topk_softplus_kernelI6__halffDv1_fLb0ELi0EEEvPKT_PKT0_PfPimiiif
    .private_segment_fixed_size: 0
    .sgpr_count:     36
    .sgpr_spill_count: 0
    .symbol:         _ZN5aiter20topk_softplus_kernelI6__halffDv1_fLb0ELi0EEEvPKT_PKT0_PfPimiiif.kd
    .uniform_work_group_size: 1
    .uses_dynamic_stack: false
    .vgpr_count:     17
    .vgpr_spill_count: 0
    .wavefront_size: 64
  - .agpr_count:     0
    .args:
      - .actual_access:  read_only
        .address_space:  global
        .offset:         0
        .size:           8
        .value_kind:     global_buffer
      - .actual_access:  read_only
        .address_space:  global
        .offset:         8
        .size:           8
        .value_kind:     global_buffer
      - .actual_access:  write_only
        .address_space:  global
        .offset:         16
        .size:           8
        .value_kind:     global_buffer
      - .actual_access:  write_only
        .address_space:  global
        .offset:         24
        .size:           8
        .value_kind:     global_buffer
      - .offset:         32
        .size:           8
        .value_kind:     by_value
      - .offset:         40
        .size:           4
        .value_kind:     by_value
      - .offset:         44
        .size:           4
        .value_kind:     by_value
      - .offset:         48
        .size:           4
        .value_kind:     by_value
    .group_segment_fixed_size: 0
    .kernarg_segment_align: 8
    .kernarg_segment_size: 52
    .language:       OpenCL C
    .language_version:
      - 2
      - 0
    .max_flat_workgroup_size: 1024
    .name:           _ZN5aiter24topk_softplus_kernel_optI6__halfS1_Li64ELb1ELi1EEEvPKT_PKT0_PfPimiif
    .private_segment_fixed_size: 0
    .sgpr_count:     17
    .sgpr_spill_count: 0
    .symbol:         _ZN5aiter24topk_softplus_kernel_optI6__halfS1_Li64ELb1ELi1EEEvPKT_PKT0_PfPimiif.kd
    .uniform_work_group_size: 1
    .uses_dynamic_stack: false
    .vgpr_count:     13
    .vgpr_spill_count: 0
    .wavefront_size: 64
  - .agpr_count:     0
    .args:
      - .actual_access:  read_only
        .address_space:  global
        .offset:         0
        .size:           8
        .value_kind:     global_buffer
      - .actual_access:  read_only
        .address_space:  global
        .offset:         8
        .size:           8
        .value_kind:     global_buffer
      - .actual_access:  write_only
        .address_space:  global
        .offset:         16
        .size:           8
        .value_kind:     global_buffer
      - .actual_access:  write_only
        .address_space:  global
        .offset:         24
        .size:           8
        .value_kind:     global_buffer
      - .offset:         32
        .size:           8
        .value_kind:     by_value
      - .offset:         40
        .size:           4
        .value_kind:     by_value
      - .offset:         44
        .size:           4
        .value_kind:     by_value
      - .offset:         48
        .size:           4
        .value_kind:     by_value
    .group_segment_fixed_size: 0
    .kernarg_segment_align: 8
    .kernarg_segment_size: 52
    .language:       OpenCL C
    .language_version:
      - 2
      - 0
    .max_flat_workgroup_size: 1024
    .name:           _ZN5aiter24topk_softplus_kernel_optI6__halfS1_Li64ELb0ELi1EEEvPKT_PKT0_PfPimiif
    .private_segment_fixed_size: 0
    .sgpr_count:     17
    .sgpr_spill_count: 0
    .symbol:         _ZN5aiter24topk_softplus_kernel_optI6__halfS1_Li64ELb0ELi1EEEvPKT_PKT0_PfPimiif.kd
    .uniform_work_group_size: 1
    .uses_dynamic_stack: false
    .vgpr_count:     12
    .vgpr_spill_count: 0
    .wavefront_size: 64
  - .agpr_count:     0
    .args:
      - .actual_access:  read_only
        .address_space:  global
        .offset:         0
        .size:           8
        .value_kind:     global_buffer
      - .actual_access:  read_only
        .address_space:  global
        .offset:         8
        .size:           8
        .value_kind:     global_buffer
      - .actual_access:  write_only
        .address_space:  global
        .offset:         16
        .size:           8
        .value_kind:     global_buffer
      - .actual_access:  write_only
        .address_space:  global
        .offset:         24
        .size:           8
        .value_kind:     global_buffer
      - .offset:         32
        .size:           8
        .value_kind:     by_value
      - .offset:         40
        .size:           4
        .value_kind:     by_value
      - .offset:         44
        .size:           4
        .value_kind:     by_value
      - .offset:         48
        .size:           4
        .value_kind:     by_value
    .group_segment_fixed_size: 0
    .kernarg_segment_align: 8
    .kernarg_segment_size: 52
    .language:       OpenCL C
    .language_version:
      - 2
      - 0
    .max_flat_workgroup_size: 1024
    .name:           _ZN5aiter24topk_softplus_kernel_optI6__halfS1_Li128ELb1ELi1EEEvPKT_PKT0_PfPimiif
    .private_segment_fixed_size: 0
    .sgpr_count:     17
    .sgpr_spill_count: 0
    .symbol:         _ZN5aiter24topk_softplus_kernel_optI6__halfS1_Li128ELb1ELi1EEEvPKT_PKT0_PfPimiif.kd
    .uniform_work_group_size: 1
    .uses_dynamic_stack: false
    .vgpr_count:     20
    .vgpr_spill_count: 0
    .wavefront_size: 64
  - .agpr_count:     0
    .args:
      - .actual_access:  read_only
        .address_space:  global
        .offset:         0
        .size:           8
        .value_kind:     global_buffer
      - .actual_access:  read_only
        .address_space:  global
        .offset:         8
        .size:           8
        .value_kind:     global_buffer
      - .actual_access:  write_only
        .address_space:  global
        .offset:         16
        .size:           8
        .value_kind:     global_buffer
      - .actual_access:  write_only
        .address_space:  global
        .offset:         24
        .size:           8
        .value_kind:     global_buffer
      - .offset:         32
        .size:           8
        .value_kind:     by_value
      - .offset:         40
        .size:           4
        .value_kind:     by_value
      - .offset:         44
        .size:           4
        .value_kind:     by_value
      - .offset:         48
        .size:           4
        .value_kind:     by_value
    .group_segment_fixed_size: 0
    .kernarg_segment_align: 8
    .kernarg_segment_size: 52
    .language:       OpenCL C
    .language_version:
      - 2
      - 0
    .max_flat_workgroup_size: 1024
    .name:           _ZN5aiter24topk_softplus_kernel_optI6__halfS1_Li128ELb0ELi1EEEvPKT_PKT0_PfPimiif
    .private_segment_fixed_size: 0
    .sgpr_count:     17
    .sgpr_spill_count: 0
    .symbol:         _ZN5aiter24topk_softplus_kernel_optI6__halfS1_Li128ELb0ELi1EEEvPKT_PKT0_PfPimiif.kd
    .uniform_work_group_size: 1
    .uses_dynamic_stack: false
    .vgpr_count:     19
    .vgpr_spill_count: 0
    .wavefront_size: 64
  - .agpr_count:     0
    .args:
      - .actual_access:  read_only
        .address_space:  global
        .offset:         0
        .size:           8
        .value_kind:     global_buffer
      - .actual_access:  read_only
        .address_space:  global
        .offset:         8
        .size:           8
        .value_kind:     global_buffer
      - .actual_access:  write_only
        .address_space:  global
        .offset:         16
        .size:           8
        .value_kind:     global_buffer
      - .actual_access:  write_only
        .address_space:  global
        .offset:         24
        .size:           8
        .value_kind:     global_buffer
      - .offset:         32
        .size:           8
        .value_kind:     by_value
      - .offset:         40
        .size:           4
        .value_kind:     by_value
      - .offset:         44
        .size:           4
        .value_kind:     by_value
      - .offset:         48
        .size:           4
        .value_kind:     by_value
    .group_segment_fixed_size: 0
    .kernarg_segment_align: 8
    .kernarg_segment_size: 52
    .language:       OpenCL C
    .language_version:
      - 2
      - 0
    .max_flat_workgroup_size: 1024
    .name:           _ZN5aiter24topk_softplus_kernel_optI6__halfS1_Li256ELb1ELi1EEEvPKT_PKT0_PfPimiif
    .private_segment_fixed_size: 0
    .sgpr_count:     17
    .sgpr_spill_count: 0
    .symbol:         _ZN5aiter24topk_softplus_kernel_optI6__halfS1_Li256ELb1ELi1EEEvPKT_PKT0_PfPimiif.kd
    .uniform_work_group_size: 1
    .uses_dynamic_stack: false
    .vgpr_count:     26
    .vgpr_spill_count: 0
    .wavefront_size: 64
  - .agpr_count:     0
    .args:
      - .actual_access:  read_only
        .address_space:  global
        .offset:         0
        .size:           8
        .value_kind:     global_buffer
      - .actual_access:  read_only
        .address_space:  global
        .offset:         8
        .size:           8
        .value_kind:     global_buffer
      - .actual_access:  write_only
        .address_space:  global
        .offset:         16
        .size:           8
        .value_kind:     global_buffer
      - .actual_access:  write_only
        .address_space:  global
        .offset:         24
        .size:           8
        .value_kind:     global_buffer
      - .offset:         32
        .size:           8
        .value_kind:     by_value
      - .offset:         40
        .size:           4
        .value_kind:     by_value
      - .offset:         44
        .size:           4
        .value_kind:     by_value
      - .offset:         48
        .size:           4
        .value_kind:     by_value
    .group_segment_fixed_size: 0
    .kernarg_segment_align: 8
    .kernarg_segment_size: 52
    .language:       OpenCL C
    .language_version:
      - 2
      - 0
    .max_flat_workgroup_size: 1024
    .name:           _ZN5aiter24topk_softplus_kernel_optI6__halfS1_Li256ELb0ELi1EEEvPKT_PKT0_PfPimiif
    .private_segment_fixed_size: 0
    .sgpr_count:     17
    .sgpr_spill_count: 0
    .symbol:         _ZN5aiter24topk_softplus_kernel_optI6__halfS1_Li256ELb0ELi1EEEvPKT_PKT0_PfPimiif.kd
    .uniform_work_group_size: 1
    .uses_dynamic_stack: false
    .vgpr_count:     25
    .vgpr_spill_count: 0
    .wavefront_size: 64
  - .agpr_count:     0
    .args:
      - .actual_access:  read_only
        .address_space:  global
        .offset:         0
        .size:           8
        .value_kind:     global_buffer
      - .actual_access:  read_only
        .address_space:  global
        .offset:         8
        .size:           8
        .value_kind:     global_buffer
      - .actual_access:  write_only
        .address_space:  global
        .offset:         16
        .size:           8
        .value_kind:     global_buffer
      - .actual_access:  write_only
        .address_space:  global
        .offset:         24
        .size:           8
        .value_kind:     global_buffer
      - .offset:         32
        .size:           8
        .value_kind:     by_value
      - .offset:         40
        .size:           4
        .value_kind:     by_value
      - .offset:         44
        .size:           4
        .value_kind:     by_value
      - .offset:         48
        .size:           4
        .value_kind:     by_value
    .group_segment_fixed_size: 0
    .kernarg_segment_align: 8
    .kernarg_segment_size: 52
    .language:       OpenCL C
    .language_version:
      - 2
      - 0
    .max_flat_workgroup_size: 1024
    .name:           _ZN5aiter24topk_softplus_kernel_optI6__halfS1_Li384ELb1ELi1EEEvPKT_PKT0_PfPimiif
    .private_segment_fixed_size: 0
    .sgpr_count:     26
    .sgpr_spill_count: 0
    .symbol:         _ZN5aiter24topk_softplus_kernel_optI6__halfS1_Li384ELb1ELi1EEEvPKT_PKT0_PfPimiif.kd
    .uniform_work_group_size: 1
    .uses_dynamic_stack: false
    .vgpr_count:     29
    .vgpr_spill_count: 0
    .wavefront_size: 64
  - .agpr_count:     0
    .args:
      - .actual_access:  read_only
        .address_space:  global
        .offset:         0
        .size:           8
        .value_kind:     global_buffer
      - .actual_access:  read_only
        .address_space:  global
        .offset:         8
        .size:           8
        .value_kind:     global_buffer
      - .actual_access:  write_only
        .address_space:  global
        .offset:         16
        .size:           8
        .value_kind:     global_buffer
      - .actual_access:  write_only
        .address_space:  global
        .offset:         24
        .size:           8
        .value_kind:     global_buffer
      - .offset:         32
        .size:           8
        .value_kind:     by_value
      - .offset:         40
        .size:           4
        .value_kind:     by_value
      - .offset:         44
        .size:           4
        .value_kind:     by_value
      - .offset:         48
        .size:           4
        .value_kind:     by_value
    .group_segment_fixed_size: 0
    .kernarg_segment_align: 8
    .kernarg_segment_size: 52
    .language:       OpenCL C
    .language_version:
      - 2
      - 0
    .max_flat_workgroup_size: 1024
    .name:           _ZN5aiter24topk_softplus_kernel_optI6__halfS1_Li384ELb0ELi1EEEvPKT_PKT0_PfPimiif
    .private_segment_fixed_size: 0
    .sgpr_count:     26
    .sgpr_spill_count: 0
    .symbol:         _ZN5aiter24topk_softplus_kernel_optI6__halfS1_Li384ELb0ELi1EEEvPKT_PKT0_PfPimiif.kd
    .uniform_work_group_size: 1
    .uses_dynamic_stack: false
    .vgpr_count:     28
    .vgpr_spill_count: 0
    .wavefront_size: 64
  - .agpr_count:     0
    .args:
      - .actual_access:  read_only
        .address_space:  global
        .offset:         0
        .size:           8
        .value_kind:     global_buffer
      - .actual_access:  read_only
        .address_space:  global
        .offset:         8
        .size:           8
        .value_kind:     global_buffer
      - .actual_access:  write_only
        .address_space:  global
        .offset:         16
        .size:           8
        .value_kind:     global_buffer
      - .actual_access:  write_only
        .address_space:  global
        .offset:         24
        .size:           8
        .value_kind:     global_buffer
      - .offset:         32
        .size:           8
        .value_kind:     by_value
      - .offset:         40
        .size:           4
        .value_kind:     by_value
      - .offset:         44
        .size:           4
        .value_kind:     by_value
      - .offset:         48
        .size:           4
        .value_kind:     by_value
      - .offset:         52
        .size:           4
        .value_kind:     by_value
      - .offset:         56
        .size:           4
        .value_kind:     hidden_block_count_x
      - .offset:         60
        .size:           4
        .value_kind:     hidden_block_count_y
      - .offset:         64
        .size:           4
        .value_kind:     hidden_block_count_z
      - .offset:         68
        .size:           2
        .value_kind:     hidden_group_size_x
      - .offset:         70
        .size:           2
        .value_kind:     hidden_group_size_y
      - .offset:         72
        .size:           2
        .value_kind:     hidden_group_size_z
      - .offset:         74
        .size:           2
        .value_kind:     hidden_remainder_x
      - .offset:         76
        .size:           2
        .value_kind:     hidden_remainder_y
      - .offset:         78
        .size:           2
        .value_kind:     hidden_remainder_z
      - .offset:         96
        .size:           8
        .value_kind:     hidden_global_offset_x
      - .offset:         104
        .size:           8
        .value_kind:     hidden_global_offset_y
      - .offset:         112
        .size:           8
        .value_kind:     hidden_global_offset_z
      - .offset:         120
        .size:           2
        .value_kind:     hidden_grid_dims
      - .offset:         176
        .size:           4
        .value_kind:     hidden_dynamic_lds_size
    .group_segment_fixed_size: 0
    .kernarg_segment_align: 8
    .kernarg_segment_size: 312
    .language:       OpenCL C
    .language_version:
      - 2
      - 0
    .max_flat_workgroup_size: 1024
    .name:           _ZN5aiter20topk_softplus_kernelI6__halfS1_Dv4_fLb1ELi1EEEvPKT_PKT0_PfPimiiif
    .private_segment_fixed_size: 0
    .sgpr_count:     42
    .sgpr_spill_count: 0
    .symbol:         _ZN5aiter20topk_softplus_kernelI6__halfS1_Dv4_fLb1ELi1EEEvPKT_PKT0_PfPimiiif.kd
    .uniform_work_group_size: 1
    .uses_dynamic_stack: false
    .vgpr_count:     21
    .vgpr_spill_count: 0
    .wavefront_size: 64
  - .agpr_count:     0
    .args:
      - .actual_access:  read_only
        .address_space:  global
        .offset:         0
        .size:           8
        .value_kind:     global_buffer
      - .actual_access:  read_only
        .address_space:  global
        .offset:         8
        .size:           8
        .value_kind:     global_buffer
      - .actual_access:  write_only
        .address_space:  global
        .offset:         16
        .size:           8
        .value_kind:     global_buffer
      - .actual_access:  write_only
        .address_space:  global
        .offset:         24
        .size:           8
        .value_kind:     global_buffer
      - .offset:         32
        .size:           8
        .value_kind:     by_value
      - .offset:         40
        .size:           4
        .value_kind:     by_value
      - .offset:         44
        .size:           4
        .value_kind:     by_value
      - .offset:         48
        .size:           4
        .value_kind:     by_value
      - .offset:         52
        .size:           4
        .value_kind:     by_value
      - .offset:         56
        .size:           4
        .value_kind:     hidden_block_count_x
      - .offset:         60
        .size:           4
        .value_kind:     hidden_block_count_y
      - .offset:         64
        .size:           4
        .value_kind:     hidden_block_count_z
      - .offset:         68
        .size:           2
        .value_kind:     hidden_group_size_x
      - .offset:         70
        .size:           2
        .value_kind:     hidden_group_size_y
      - .offset:         72
        .size:           2
        .value_kind:     hidden_group_size_z
      - .offset:         74
        .size:           2
        .value_kind:     hidden_remainder_x
      - .offset:         76
        .size:           2
        .value_kind:     hidden_remainder_y
      - .offset:         78
        .size:           2
        .value_kind:     hidden_remainder_z
      - .offset:         96
        .size:           8
        .value_kind:     hidden_global_offset_x
      - .offset:         104
        .size:           8
        .value_kind:     hidden_global_offset_y
      - .offset:         112
        .size:           8
        .value_kind:     hidden_global_offset_z
      - .offset:         120
        .size:           2
        .value_kind:     hidden_grid_dims
      - .offset:         176
        .size:           4
        .value_kind:     hidden_dynamic_lds_size
    .group_segment_fixed_size: 0
    .kernarg_segment_align: 8
    .kernarg_segment_size: 312
    .language:       OpenCL C
    .language_version:
      - 2
      - 0
    .max_flat_workgroup_size: 1024
    .name:           _ZN5aiter20topk_softplus_kernelI6__halfS1_Dv4_fLb0ELi1EEEvPKT_PKT0_PfPimiiif
    .private_segment_fixed_size: 0
    .sgpr_count:     42
    .sgpr_spill_count: 0
    .symbol:         _ZN5aiter20topk_softplus_kernelI6__halfS1_Dv4_fLb0ELi1EEEvPKT_PKT0_PfPimiiif.kd
    .uniform_work_group_size: 1
    .uses_dynamic_stack: false
    .vgpr_count:     20
    .vgpr_spill_count: 0
    .wavefront_size: 64
  - .agpr_count:     0
    .args:
      - .actual_access:  read_only
        .address_space:  global
        .offset:         0
        .size:           8
        .value_kind:     global_buffer
      - .actual_access:  read_only
        .address_space:  global
        .offset:         8
        .size:           8
        .value_kind:     global_buffer
      - .actual_access:  write_only
        .address_space:  global
        .offset:         16
        .size:           8
        .value_kind:     global_buffer
      - .actual_access:  write_only
        .address_space:  global
        .offset:         24
        .size:           8
        .value_kind:     global_buffer
      - .offset:         32
        .size:           8
        .value_kind:     by_value
      - .offset:         40
        .size:           4
        .value_kind:     by_value
      - .offset:         44
        .size:           4
        .value_kind:     by_value
      - .offset:         48
        .size:           4
        .value_kind:     by_value
      - .offset:         52
        .size:           4
        .value_kind:     by_value
      - .offset:         56
        .size:           4
        .value_kind:     hidden_block_count_x
      - .offset:         60
        .size:           4
        .value_kind:     hidden_block_count_y
      - .offset:         64
        .size:           4
        .value_kind:     hidden_block_count_z
      - .offset:         68
        .size:           2
        .value_kind:     hidden_group_size_x
      - .offset:         70
        .size:           2
        .value_kind:     hidden_group_size_y
      - .offset:         72
        .size:           2
        .value_kind:     hidden_group_size_z
      - .offset:         74
        .size:           2
        .value_kind:     hidden_remainder_x
      - .offset:         76
        .size:           2
        .value_kind:     hidden_remainder_y
      - .offset:         78
        .size:           2
        .value_kind:     hidden_remainder_z
      - .offset:         96
        .size:           8
        .value_kind:     hidden_global_offset_x
      - .offset:         104
        .size:           8
        .value_kind:     hidden_global_offset_y
      - .offset:         112
        .size:           8
        .value_kind:     hidden_global_offset_z
      - .offset:         120
        .size:           2
        .value_kind:     hidden_grid_dims
      - .offset:         176
        .size:           4
        .value_kind:     hidden_dynamic_lds_size
    .group_segment_fixed_size: 0
    .kernarg_segment_align: 8
    .kernarg_segment_size: 312
    .language:       OpenCL C
    .language_version:
      - 2
      - 0
    .max_flat_workgroup_size: 1024
    .name:           _ZN5aiter20topk_softplus_kernelI6__halfS1_Dv2_fLb1ELi1EEEvPKT_PKT0_PfPimiiif
    .private_segment_fixed_size: 0
    .sgpr_count:     32
    .sgpr_spill_count: 0
    .symbol:         _ZN5aiter20topk_softplus_kernelI6__halfS1_Dv2_fLb1ELi1EEEvPKT_PKT0_PfPimiiif.kd
    .uniform_work_group_size: 1
    .uses_dynamic_stack: false
    .vgpr_count:     17
    .vgpr_spill_count: 0
    .wavefront_size: 64
  - .agpr_count:     0
    .args:
      - .actual_access:  read_only
        .address_space:  global
        .offset:         0
        .size:           8
        .value_kind:     global_buffer
      - .actual_access:  read_only
        .address_space:  global
        .offset:         8
        .size:           8
        .value_kind:     global_buffer
      - .actual_access:  write_only
        .address_space:  global
        .offset:         16
        .size:           8
        .value_kind:     global_buffer
      - .actual_access:  write_only
        .address_space:  global
        .offset:         24
        .size:           8
        .value_kind:     global_buffer
      - .offset:         32
        .size:           8
        .value_kind:     by_value
      - .offset:         40
        .size:           4
        .value_kind:     by_value
      - .offset:         44
        .size:           4
        .value_kind:     by_value
      - .offset:         48
        .size:           4
        .value_kind:     by_value
      - .offset:         52
        .size:           4
        .value_kind:     by_value
      - .offset:         56
        .size:           4
        .value_kind:     hidden_block_count_x
      - .offset:         60
        .size:           4
        .value_kind:     hidden_block_count_y
      - .offset:         64
        .size:           4
        .value_kind:     hidden_block_count_z
      - .offset:         68
        .size:           2
        .value_kind:     hidden_group_size_x
      - .offset:         70
        .size:           2
        .value_kind:     hidden_group_size_y
      - .offset:         72
        .size:           2
        .value_kind:     hidden_group_size_z
      - .offset:         74
        .size:           2
        .value_kind:     hidden_remainder_x
      - .offset:         76
        .size:           2
        .value_kind:     hidden_remainder_y
      - .offset:         78
        .size:           2
        .value_kind:     hidden_remainder_z
      - .offset:         96
        .size:           8
        .value_kind:     hidden_global_offset_x
      - .offset:         104
        .size:           8
        .value_kind:     hidden_global_offset_y
      - .offset:         112
        .size:           8
        .value_kind:     hidden_global_offset_z
      - .offset:         120
        .size:           2
        .value_kind:     hidden_grid_dims
      - .offset:         176
        .size:           4
        .value_kind:     hidden_dynamic_lds_size
    .group_segment_fixed_size: 0
    .kernarg_segment_align: 8
    .kernarg_segment_size: 312
    .language:       OpenCL C
    .language_version:
      - 2
      - 0
    .max_flat_workgroup_size: 1024
    .name:           _ZN5aiter20topk_softplus_kernelI6__halfS1_Dv2_fLb0ELi1EEEvPKT_PKT0_PfPimiiif
    .private_segment_fixed_size: 0
    .sgpr_count:     32
    .sgpr_spill_count: 0
    .symbol:         _ZN5aiter20topk_softplus_kernelI6__halfS1_Dv2_fLb0ELi1EEEvPKT_PKT0_PfPimiiif.kd
    .uniform_work_group_size: 1
    .uses_dynamic_stack: false
    .vgpr_count:     16
    .vgpr_spill_count: 0
    .wavefront_size: 64
  - .agpr_count:     0
    .args:
      - .actual_access:  read_only
        .address_space:  global
        .offset:         0
        .size:           8
        .value_kind:     global_buffer
      - .actual_access:  read_only
        .address_space:  global
        .offset:         8
        .size:           8
        .value_kind:     global_buffer
      - .actual_access:  write_only
        .address_space:  global
        .offset:         16
        .size:           8
        .value_kind:     global_buffer
      - .actual_access:  write_only
        .address_space:  global
        .offset:         24
        .size:           8
        .value_kind:     global_buffer
      - .offset:         32
        .size:           8
        .value_kind:     by_value
      - .offset:         40
        .size:           4
        .value_kind:     by_value
      - .offset:         44
        .size:           4
        .value_kind:     by_value
      - .offset:         48
        .size:           4
        .value_kind:     by_value
      - .offset:         52
        .size:           4
        .value_kind:     by_value
      - .offset:         56
        .size:           4
        .value_kind:     hidden_block_count_x
      - .offset:         60
        .size:           4
        .value_kind:     hidden_block_count_y
      - .offset:         64
        .size:           4
        .value_kind:     hidden_block_count_z
      - .offset:         68
        .size:           2
        .value_kind:     hidden_group_size_x
      - .offset:         70
        .size:           2
        .value_kind:     hidden_group_size_y
      - .offset:         72
        .size:           2
        .value_kind:     hidden_group_size_z
      - .offset:         74
        .size:           2
        .value_kind:     hidden_remainder_x
      - .offset:         76
        .size:           2
        .value_kind:     hidden_remainder_y
      - .offset:         78
        .size:           2
        .value_kind:     hidden_remainder_z
      - .offset:         96
        .size:           8
        .value_kind:     hidden_global_offset_x
      - .offset:         104
        .size:           8
        .value_kind:     hidden_global_offset_y
      - .offset:         112
        .size:           8
        .value_kind:     hidden_global_offset_z
      - .offset:         120
        .size:           2
        .value_kind:     hidden_grid_dims
      - .offset:         176
        .size:           4
        .value_kind:     hidden_dynamic_lds_size
    .group_segment_fixed_size: 0
    .kernarg_segment_align: 8
    .kernarg_segment_size: 312
    .language:       OpenCL C
    .language_version:
      - 2
      - 0
    .max_flat_workgroup_size: 1024
    .name:           _ZN5aiter20topk_softplus_kernelI6__halfS1_Dv1_fLb1ELi1EEEvPKT_PKT0_PfPimiiif
    .private_segment_fixed_size: 0
    .sgpr_count:     29
    .sgpr_spill_count: 0
    .symbol:         _ZN5aiter20topk_softplus_kernelI6__halfS1_Dv1_fLb1ELi1EEEvPKT_PKT0_PfPimiiif.kd
    .uniform_work_group_size: 1
    .uses_dynamic_stack: false
    .vgpr_count:     13
    .vgpr_spill_count: 0
    .wavefront_size: 64
  - .agpr_count:     0
    .args:
      - .actual_access:  read_only
        .address_space:  global
        .offset:         0
        .size:           8
        .value_kind:     global_buffer
      - .actual_access:  read_only
        .address_space:  global
        .offset:         8
        .size:           8
        .value_kind:     global_buffer
      - .actual_access:  write_only
        .address_space:  global
        .offset:         16
        .size:           8
        .value_kind:     global_buffer
      - .actual_access:  write_only
        .address_space:  global
        .offset:         24
        .size:           8
        .value_kind:     global_buffer
      - .offset:         32
        .size:           8
        .value_kind:     by_value
      - .offset:         40
        .size:           4
        .value_kind:     by_value
      - .offset:         44
        .size:           4
        .value_kind:     by_value
      - .offset:         48
        .size:           4
        .value_kind:     by_value
      - .offset:         52
        .size:           4
        .value_kind:     by_value
      - .offset:         56
        .size:           4
        .value_kind:     hidden_block_count_x
      - .offset:         60
        .size:           4
        .value_kind:     hidden_block_count_y
      - .offset:         64
        .size:           4
        .value_kind:     hidden_block_count_z
      - .offset:         68
        .size:           2
        .value_kind:     hidden_group_size_x
      - .offset:         70
        .size:           2
        .value_kind:     hidden_group_size_y
      - .offset:         72
        .size:           2
        .value_kind:     hidden_group_size_z
      - .offset:         74
        .size:           2
        .value_kind:     hidden_remainder_x
      - .offset:         76
        .size:           2
        .value_kind:     hidden_remainder_y
      - .offset:         78
        .size:           2
        .value_kind:     hidden_remainder_z
      - .offset:         96
        .size:           8
        .value_kind:     hidden_global_offset_x
      - .offset:         104
        .size:           8
        .value_kind:     hidden_global_offset_y
      - .offset:         112
        .size:           8
        .value_kind:     hidden_global_offset_z
      - .offset:         120
        .size:           2
        .value_kind:     hidden_grid_dims
      - .offset:         176
        .size:           4
        .value_kind:     hidden_dynamic_lds_size
    .group_segment_fixed_size: 0
    .kernarg_segment_align: 8
    .kernarg_segment_size: 312
    .language:       OpenCL C
    .language_version:
      - 2
      - 0
    .max_flat_workgroup_size: 1024
    .name:           _ZN5aiter20topk_softplus_kernelI6__halfS1_Dv1_fLb0ELi1EEEvPKT_PKT0_PfPimiiif
    .private_segment_fixed_size: 0
    .sgpr_count:     29
    .sgpr_spill_count: 0
    .symbol:         _ZN5aiter20topk_softplus_kernelI6__halfS1_Dv1_fLb0ELi1EEEvPKT_PKT0_PfPimiiif.kd
    .uniform_work_group_size: 1
    .uses_dynamic_stack: false
    .vgpr_count:     12
    .vgpr_spill_count: 0
    .wavefront_size: 64
  - .agpr_count:     0
    .args:
      - .actual_access:  read_only
        .address_space:  global
        .offset:         0
        .size:           8
        .value_kind:     global_buffer
      - .actual_access:  read_only
        .address_space:  global
        .offset:         8
        .size:           8
        .value_kind:     global_buffer
      - .actual_access:  write_only
        .address_space:  global
        .offset:         16
        .size:           8
        .value_kind:     global_buffer
      - .actual_access:  write_only
        .address_space:  global
        .offset:         24
        .size:           8
        .value_kind:     global_buffer
      - .offset:         32
        .size:           8
        .value_kind:     by_value
      - .offset:         40
        .size:           4
        .value_kind:     by_value
      - .offset:         44
        .size:           4
        .value_kind:     by_value
      - .offset:         48
        .size:           4
        .value_kind:     by_value
      - .offset:         52
        .size:           4
        .value_kind:     by_value
      - .offset:         56
        .size:           4
        .value_kind:     hidden_block_count_x
      - .offset:         60
        .size:           4
        .value_kind:     hidden_block_count_y
      - .offset:         64
        .size:           4
        .value_kind:     hidden_block_count_z
      - .offset:         68
        .size:           2
        .value_kind:     hidden_group_size_x
      - .offset:         70
        .size:           2
        .value_kind:     hidden_group_size_y
      - .offset:         72
        .size:           2
        .value_kind:     hidden_group_size_z
      - .offset:         74
        .size:           2
        .value_kind:     hidden_remainder_x
      - .offset:         76
        .size:           2
        .value_kind:     hidden_remainder_y
      - .offset:         78
        .size:           2
        .value_kind:     hidden_remainder_z
      - .offset:         96
        .size:           8
        .value_kind:     hidden_global_offset_x
      - .offset:         104
        .size:           8
        .value_kind:     hidden_global_offset_y
      - .offset:         112
        .size:           8
        .value_kind:     hidden_global_offset_z
      - .offset:         120
        .size:           2
        .value_kind:     hidden_grid_dims
      - .offset:         176
        .size:           4
        .value_kind:     hidden_dynamic_lds_size
    .group_segment_fixed_size: 0
    .kernarg_segment_align: 8
    .kernarg_segment_size: 312
    .language:       OpenCL C
    .language_version:
      - 2
      - 0
    .max_flat_workgroup_size: 1024
    .name:           _ZN5aiter20topk_softplus_kernelI6__halfS1_Dv4_fLb1ELi2EEEvPKT_PKT0_PfPimiiif
    .private_segment_fixed_size: 0
    .sgpr_count:     30
    .sgpr_spill_count: 0
    .symbol:         _ZN5aiter20topk_softplus_kernelI6__halfS1_Dv4_fLb1ELi2EEEvPKT_PKT0_PfPimiiif.kd
    .uniform_work_group_size: 1
    .uses_dynamic_stack: false
    .vgpr_count:     21
    .vgpr_spill_count: 0
    .wavefront_size: 64
  - .agpr_count:     0
    .args:
      - .actual_access:  read_only
        .address_space:  global
        .offset:         0
        .size:           8
        .value_kind:     global_buffer
      - .actual_access:  read_only
        .address_space:  global
        .offset:         8
        .size:           8
        .value_kind:     global_buffer
      - .actual_access:  write_only
        .address_space:  global
        .offset:         16
        .size:           8
        .value_kind:     global_buffer
      - .actual_access:  write_only
        .address_space:  global
        .offset:         24
        .size:           8
        .value_kind:     global_buffer
      - .offset:         32
        .size:           8
        .value_kind:     by_value
      - .offset:         40
        .size:           4
        .value_kind:     by_value
      - .offset:         44
        .size:           4
        .value_kind:     by_value
      - .offset:         48
        .size:           4
        .value_kind:     by_value
      - .offset:         52
        .size:           4
        .value_kind:     by_value
      - .offset:         56
        .size:           4
        .value_kind:     hidden_block_count_x
      - .offset:         60
        .size:           4
        .value_kind:     hidden_block_count_y
      - .offset:         64
        .size:           4
        .value_kind:     hidden_block_count_z
      - .offset:         68
        .size:           2
        .value_kind:     hidden_group_size_x
      - .offset:         70
        .size:           2
        .value_kind:     hidden_group_size_y
      - .offset:         72
        .size:           2
        .value_kind:     hidden_group_size_z
      - .offset:         74
        .size:           2
        .value_kind:     hidden_remainder_x
      - .offset:         76
        .size:           2
        .value_kind:     hidden_remainder_y
      - .offset:         78
        .size:           2
        .value_kind:     hidden_remainder_z
      - .offset:         96
        .size:           8
        .value_kind:     hidden_global_offset_x
      - .offset:         104
        .size:           8
        .value_kind:     hidden_global_offset_y
      - .offset:         112
        .size:           8
        .value_kind:     hidden_global_offset_z
      - .offset:         120
        .size:           2
        .value_kind:     hidden_grid_dims
      - .offset:         176
        .size:           4
        .value_kind:     hidden_dynamic_lds_size
    .group_segment_fixed_size: 0
    .kernarg_segment_align: 8
    .kernarg_segment_size: 312
    .language:       OpenCL C
    .language_version:
      - 2
      - 0
    .max_flat_workgroup_size: 1024
    .name:           _ZN5aiter20topk_softplus_kernelI6__halfS1_Dv4_fLb0ELi2EEEvPKT_PKT0_PfPimiiif
    .private_segment_fixed_size: 0
    .sgpr_count:     30
    .sgpr_spill_count: 0
    .symbol:         _ZN5aiter20topk_softplus_kernelI6__halfS1_Dv4_fLb0ELi2EEEvPKT_PKT0_PfPimiiif.kd
    .uniform_work_group_size: 1
    .uses_dynamic_stack: false
    .vgpr_count:     20
    .vgpr_spill_count: 0
    .wavefront_size: 64
  - .agpr_count:     0
    .args:
      - .actual_access:  read_only
        .address_space:  global
        .offset:         0
        .size:           8
        .value_kind:     global_buffer
      - .actual_access:  read_only
        .address_space:  global
        .offset:         8
        .size:           8
        .value_kind:     global_buffer
      - .actual_access:  write_only
        .address_space:  global
        .offset:         16
        .size:           8
        .value_kind:     global_buffer
      - .actual_access:  write_only
        .address_space:  global
        .offset:         24
        .size:           8
        .value_kind:     global_buffer
      - .offset:         32
        .size:           8
        .value_kind:     by_value
      - .offset:         40
        .size:           4
        .value_kind:     by_value
      - .offset:         44
        .size:           4
        .value_kind:     by_value
      - .offset:         48
        .size:           4
        .value_kind:     by_value
      - .offset:         52
        .size:           4
        .value_kind:     by_value
      - .offset:         56
        .size:           4
        .value_kind:     hidden_block_count_x
      - .offset:         60
        .size:           4
        .value_kind:     hidden_block_count_y
      - .offset:         64
        .size:           4
        .value_kind:     hidden_block_count_z
      - .offset:         68
        .size:           2
        .value_kind:     hidden_group_size_x
      - .offset:         70
        .size:           2
        .value_kind:     hidden_group_size_y
      - .offset:         72
        .size:           2
        .value_kind:     hidden_group_size_z
      - .offset:         74
        .size:           2
        .value_kind:     hidden_remainder_x
      - .offset:         76
        .size:           2
        .value_kind:     hidden_remainder_y
      - .offset:         78
        .size:           2
        .value_kind:     hidden_remainder_z
      - .offset:         96
        .size:           8
        .value_kind:     hidden_global_offset_x
      - .offset:         104
        .size:           8
        .value_kind:     hidden_global_offset_y
      - .offset:         112
        .size:           8
        .value_kind:     hidden_global_offset_z
      - .offset:         120
        .size:           2
        .value_kind:     hidden_grid_dims
      - .offset:         176
        .size:           4
        .value_kind:     hidden_dynamic_lds_size
    .group_segment_fixed_size: 0
    .kernarg_segment_align: 8
    .kernarg_segment_size: 312
    .language:       OpenCL C
    .language_version:
      - 2
      - 0
    .max_flat_workgroup_size: 1024
    .name:           _ZN5aiter20topk_softplus_kernelI6__halfS1_Dv2_fLb1ELi2EEEvPKT_PKT0_PfPimiiif
    .private_segment_fixed_size: 0
    .sgpr_count:     30
    .sgpr_spill_count: 0
    .symbol:         _ZN5aiter20topk_softplus_kernelI6__halfS1_Dv2_fLb1ELi2EEEvPKT_PKT0_PfPimiiif.kd
    .uniform_work_group_size: 1
    .uses_dynamic_stack: false
    .vgpr_count:     17
    .vgpr_spill_count: 0
    .wavefront_size: 64
  - .agpr_count:     0
    .args:
      - .actual_access:  read_only
        .address_space:  global
        .offset:         0
        .size:           8
        .value_kind:     global_buffer
      - .actual_access:  read_only
        .address_space:  global
        .offset:         8
        .size:           8
        .value_kind:     global_buffer
      - .actual_access:  write_only
        .address_space:  global
        .offset:         16
        .size:           8
        .value_kind:     global_buffer
      - .actual_access:  write_only
        .address_space:  global
        .offset:         24
        .size:           8
        .value_kind:     global_buffer
      - .offset:         32
        .size:           8
        .value_kind:     by_value
      - .offset:         40
        .size:           4
        .value_kind:     by_value
      - .offset:         44
        .size:           4
        .value_kind:     by_value
      - .offset:         48
        .size:           4
        .value_kind:     by_value
      - .offset:         52
        .size:           4
        .value_kind:     by_value
      - .offset:         56
        .size:           4
        .value_kind:     hidden_block_count_x
      - .offset:         60
        .size:           4
        .value_kind:     hidden_block_count_y
      - .offset:         64
        .size:           4
        .value_kind:     hidden_block_count_z
      - .offset:         68
        .size:           2
        .value_kind:     hidden_group_size_x
      - .offset:         70
        .size:           2
        .value_kind:     hidden_group_size_y
      - .offset:         72
        .size:           2
        .value_kind:     hidden_group_size_z
      - .offset:         74
        .size:           2
        .value_kind:     hidden_remainder_x
      - .offset:         76
        .size:           2
        .value_kind:     hidden_remainder_y
      - .offset:         78
        .size:           2
        .value_kind:     hidden_remainder_z
      - .offset:         96
        .size:           8
        .value_kind:     hidden_global_offset_x
      - .offset:         104
        .size:           8
        .value_kind:     hidden_global_offset_y
      - .offset:         112
        .size:           8
        .value_kind:     hidden_global_offset_z
      - .offset:         120
        .size:           2
        .value_kind:     hidden_grid_dims
      - .offset:         176
        .size:           4
        .value_kind:     hidden_dynamic_lds_size
    .group_segment_fixed_size: 0
    .kernarg_segment_align: 8
    .kernarg_segment_size: 312
    .language:       OpenCL C
    .language_version:
      - 2
      - 0
    .max_flat_workgroup_size: 1024
    .name:           _ZN5aiter20topk_softplus_kernelI6__halfS1_Dv2_fLb0ELi2EEEvPKT_PKT0_PfPimiiif
    .private_segment_fixed_size: 0
    .sgpr_count:     30
    .sgpr_spill_count: 0
    .symbol:         _ZN5aiter20topk_softplus_kernelI6__halfS1_Dv2_fLb0ELi2EEEvPKT_PKT0_PfPimiiif.kd
    .uniform_work_group_size: 1
    .uses_dynamic_stack: false
    .vgpr_count:     16
    .vgpr_spill_count: 0
    .wavefront_size: 64
  - .agpr_count:     0
    .args:
      - .actual_access:  read_only
        .address_space:  global
        .offset:         0
        .size:           8
        .value_kind:     global_buffer
      - .actual_access:  read_only
        .address_space:  global
        .offset:         8
        .size:           8
        .value_kind:     global_buffer
      - .actual_access:  write_only
        .address_space:  global
        .offset:         16
        .size:           8
        .value_kind:     global_buffer
      - .actual_access:  write_only
        .address_space:  global
        .offset:         24
        .size:           8
        .value_kind:     global_buffer
      - .offset:         32
        .size:           8
        .value_kind:     by_value
      - .offset:         40
        .size:           4
        .value_kind:     by_value
      - .offset:         44
        .size:           4
        .value_kind:     by_value
      - .offset:         48
        .size:           4
        .value_kind:     by_value
      - .offset:         52
        .size:           4
        .value_kind:     by_value
      - .offset:         56
        .size:           4
        .value_kind:     hidden_block_count_x
      - .offset:         60
        .size:           4
        .value_kind:     hidden_block_count_y
      - .offset:         64
        .size:           4
        .value_kind:     hidden_block_count_z
      - .offset:         68
        .size:           2
        .value_kind:     hidden_group_size_x
      - .offset:         70
        .size:           2
        .value_kind:     hidden_group_size_y
      - .offset:         72
        .size:           2
        .value_kind:     hidden_group_size_z
      - .offset:         74
        .size:           2
        .value_kind:     hidden_remainder_x
      - .offset:         76
        .size:           2
        .value_kind:     hidden_remainder_y
      - .offset:         78
        .size:           2
        .value_kind:     hidden_remainder_z
      - .offset:         96
        .size:           8
        .value_kind:     hidden_global_offset_x
      - .offset:         104
        .size:           8
        .value_kind:     hidden_global_offset_y
      - .offset:         112
        .size:           8
        .value_kind:     hidden_global_offset_z
      - .offset:         120
        .size:           2
        .value_kind:     hidden_grid_dims
      - .offset:         176
        .size:           4
        .value_kind:     hidden_dynamic_lds_size
    .group_segment_fixed_size: 0
    .kernarg_segment_align: 8
    .kernarg_segment_size: 312
    .language:       OpenCL C
    .language_version:
      - 2
      - 0
    .max_flat_workgroup_size: 1024
    .name:           _ZN5aiter20topk_softplus_kernelI6__halfS1_Dv1_fLb1ELi2EEEvPKT_PKT0_PfPimiiif
    .private_segment_fixed_size: 0
    .sgpr_count:     28
    .sgpr_spill_count: 0
    .symbol:         _ZN5aiter20topk_softplus_kernelI6__halfS1_Dv1_fLb1ELi2EEEvPKT_PKT0_PfPimiiif.kd
    .uniform_work_group_size: 1
    .uses_dynamic_stack: false
    .vgpr_count:     13
    .vgpr_spill_count: 0
    .wavefront_size: 64
  - .agpr_count:     0
    .args:
      - .actual_access:  read_only
        .address_space:  global
        .offset:         0
        .size:           8
        .value_kind:     global_buffer
      - .actual_access:  read_only
        .address_space:  global
        .offset:         8
        .size:           8
        .value_kind:     global_buffer
      - .actual_access:  write_only
        .address_space:  global
        .offset:         16
        .size:           8
        .value_kind:     global_buffer
      - .actual_access:  write_only
        .address_space:  global
        .offset:         24
        .size:           8
        .value_kind:     global_buffer
      - .offset:         32
        .size:           8
        .value_kind:     by_value
      - .offset:         40
        .size:           4
        .value_kind:     by_value
      - .offset:         44
        .size:           4
        .value_kind:     by_value
      - .offset:         48
        .size:           4
        .value_kind:     by_value
      - .offset:         52
        .size:           4
        .value_kind:     by_value
      - .offset:         56
        .size:           4
        .value_kind:     hidden_block_count_x
      - .offset:         60
        .size:           4
        .value_kind:     hidden_block_count_y
      - .offset:         64
        .size:           4
        .value_kind:     hidden_block_count_z
      - .offset:         68
        .size:           2
        .value_kind:     hidden_group_size_x
      - .offset:         70
        .size:           2
        .value_kind:     hidden_group_size_y
      - .offset:         72
        .size:           2
        .value_kind:     hidden_group_size_z
      - .offset:         74
        .size:           2
        .value_kind:     hidden_remainder_x
      - .offset:         76
        .size:           2
        .value_kind:     hidden_remainder_y
      - .offset:         78
        .size:           2
        .value_kind:     hidden_remainder_z
      - .offset:         96
        .size:           8
        .value_kind:     hidden_global_offset_x
      - .offset:         104
        .size:           8
        .value_kind:     hidden_global_offset_y
      - .offset:         112
        .size:           8
        .value_kind:     hidden_global_offset_z
      - .offset:         120
        .size:           2
        .value_kind:     hidden_grid_dims
      - .offset:         176
        .size:           4
        .value_kind:     hidden_dynamic_lds_size
    .group_segment_fixed_size: 0
    .kernarg_segment_align: 8
    .kernarg_segment_size: 312
    .language:       OpenCL C
    .language_version:
      - 2
      - 0
    .max_flat_workgroup_size: 1024
    .name:           _ZN5aiter20topk_softplus_kernelI6__halfS1_Dv1_fLb0ELi2EEEvPKT_PKT0_PfPimiiif
    .private_segment_fixed_size: 0
    .sgpr_count:     28
    .sgpr_spill_count: 0
    .symbol:         _ZN5aiter20topk_softplus_kernelI6__halfS1_Dv1_fLb0ELi2EEEvPKT_PKT0_PfPimiiif.kd
    .uniform_work_group_size: 1
    .uses_dynamic_stack: false
    .vgpr_count:     12
    .vgpr_spill_count: 0
    .wavefront_size: 64
  - .agpr_count:     0
    .args:
      - .actual_access:  read_only
        .address_space:  global
        .offset:         0
        .size:           8
        .value_kind:     global_buffer
      - .actual_access:  read_only
        .address_space:  global
        .offset:         8
        .size:           8
        .value_kind:     global_buffer
      - .actual_access:  write_only
        .address_space:  global
        .offset:         16
        .size:           8
        .value_kind:     global_buffer
      - .actual_access:  write_only
        .address_space:  global
        .offset:         24
        .size:           8
        .value_kind:     global_buffer
      - .offset:         32
        .size:           8
        .value_kind:     by_value
      - .offset:         40
        .size:           4
        .value_kind:     by_value
      - .offset:         44
        .size:           4
        .value_kind:     by_value
      - .offset:         48
        .size:           4
        .value_kind:     by_value
    .group_segment_fixed_size: 0
    .kernarg_segment_align: 8
    .kernarg_segment_size: 52
    .language:       OpenCL C
    .language_version:
      - 2
      - 0
    .max_flat_workgroup_size: 1024
    .name:           _ZN5aiter24topk_softplus_kernel_optI6__halfS1_Li64ELb1ELi0EEEvPKT_PKT0_PfPimiif
    .private_segment_fixed_size: 0
    .sgpr_count:     17
    .sgpr_spill_count: 0
    .symbol:         _ZN5aiter24topk_softplus_kernel_optI6__halfS1_Li64ELb1ELi0EEEvPKT_PKT0_PfPimiif.kd
    .uniform_work_group_size: 1
    .uses_dynamic_stack: false
    .vgpr_count:     13
    .vgpr_spill_count: 0
    .wavefront_size: 64
  - .agpr_count:     0
    .args:
      - .actual_access:  read_only
        .address_space:  global
        .offset:         0
        .size:           8
        .value_kind:     global_buffer
      - .actual_access:  read_only
        .address_space:  global
        .offset:         8
        .size:           8
        .value_kind:     global_buffer
      - .actual_access:  write_only
        .address_space:  global
        .offset:         16
        .size:           8
        .value_kind:     global_buffer
      - .actual_access:  write_only
        .address_space:  global
        .offset:         24
        .size:           8
        .value_kind:     global_buffer
      - .offset:         32
        .size:           8
        .value_kind:     by_value
      - .offset:         40
        .size:           4
        .value_kind:     by_value
      - .offset:         44
        .size:           4
        .value_kind:     by_value
      - .offset:         48
        .size:           4
        .value_kind:     by_value
    .group_segment_fixed_size: 0
    .kernarg_segment_align: 8
    .kernarg_segment_size: 52
    .language:       OpenCL C
    .language_version:
      - 2
      - 0
    .max_flat_workgroup_size: 1024
    .name:           _ZN5aiter24topk_softplus_kernel_optI6__halfS1_Li64ELb0ELi0EEEvPKT_PKT0_PfPimiif
    .private_segment_fixed_size: 0
    .sgpr_count:     17
    .sgpr_spill_count: 0
    .symbol:         _ZN5aiter24topk_softplus_kernel_optI6__halfS1_Li64ELb0ELi0EEEvPKT_PKT0_PfPimiif.kd
    .uniform_work_group_size: 1
    .uses_dynamic_stack: false
    .vgpr_count:     12
    .vgpr_spill_count: 0
    .wavefront_size: 64
  - .agpr_count:     0
    .args:
      - .actual_access:  read_only
        .address_space:  global
        .offset:         0
        .size:           8
        .value_kind:     global_buffer
      - .actual_access:  read_only
        .address_space:  global
        .offset:         8
        .size:           8
        .value_kind:     global_buffer
      - .actual_access:  write_only
        .address_space:  global
        .offset:         16
        .size:           8
        .value_kind:     global_buffer
      - .actual_access:  write_only
        .address_space:  global
        .offset:         24
        .size:           8
        .value_kind:     global_buffer
      - .offset:         32
        .size:           8
        .value_kind:     by_value
      - .offset:         40
        .size:           4
        .value_kind:     by_value
      - .offset:         44
        .size:           4
        .value_kind:     by_value
      - .offset:         48
        .size:           4
        .value_kind:     by_value
    .group_segment_fixed_size: 0
    .kernarg_segment_align: 8
    .kernarg_segment_size: 52
    .language:       OpenCL C
    .language_version:
      - 2
      - 0
    .max_flat_workgroup_size: 1024
    .name:           _ZN5aiter24topk_softplus_kernel_optI6__halfS1_Li128ELb1ELi0EEEvPKT_PKT0_PfPimiif
    .private_segment_fixed_size: 0
    .sgpr_count:     20
    .sgpr_spill_count: 0
    .symbol:         _ZN5aiter24topk_softplus_kernel_optI6__halfS1_Li128ELb1ELi0EEEvPKT_PKT0_PfPimiif.kd
    .uniform_work_group_size: 1
    .uses_dynamic_stack: false
    .vgpr_count:     20
    .vgpr_spill_count: 0
    .wavefront_size: 64
  - .agpr_count:     0
    .args:
      - .actual_access:  read_only
        .address_space:  global
        .offset:         0
        .size:           8
        .value_kind:     global_buffer
      - .actual_access:  read_only
        .address_space:  global
        .offset:         8
        .size:           8
        .value_kind:     global_buffer
      - .actual_access:  write_only
        .address_space:  global
        .offset:         16
        .size:           8
        .value_kind:     global_buffer
      - .actual_access:  write_only
        .address_space:  global
        .offset:         24
        .size:           8
        .value_kind:     global_buffer
      - .offset:         32
        .size:           8
        .value_kind:     by_value
      - .offset:         40
        .size:           4
        .value_kind:     by_value
      - .offset:         44
        .size:           4
        .value_kind:     by_value
      - .offset:         48
        .size:           4
        .value_kind:     by_value
    .group_segment_fixed_size: 0
    .kernarg_segment_align: 8
    .kernarg_segment_size: 52
    .language:       OpenCL C
    .language_version:
      - 2
      - 0
    .max_flat_workgroup_size: 1024
    .name:           _ZN5aiter24topk_softplus_kernel_optI6__halfS1_Li128ELb0ELi0EEEvPKT_PKT0_PfPimiif
    .private_segment_fixed_size: 0
    .sgpr_count:     20
    .sgpr_spill_count: 0
    .symbol:         _ZN5aiter24topk_softplus_kernel_optI6__halfS1_Li128ELb0ELi0EEEvPKT_PKT0_PfPimiif.kd
    .uniform_work_group_size: 1
    .uses_dynamic_stack: false
    .vgpr_count:     19
    .vgpr_spill_count: 0
    .wavefront_size: 64
  - .agpr_count:     0
    .args:
      - .actual_access:  read_only
        .address_space:  global
        .offset:         0
        .size:           8
        .value_kind:     global_buffer
      - .actual_access:  read_only
        .address_space:  global
        .offset:         8
        .size:           8
        .value_kind:     global_buffer
      - .actual_access:  write_only
        .address_space:  global
        .offset:         16
        .size:           8
        .value_kind:     global_buffer
      - .actual_access:  write_only
        .address_space:  global
        .offset:         24
        .size:           8
        .value_kind:     global_buffer
      - .offset:         32
        .size:           8
        .value_kind:     by_value
      - .offset:         40
        .size:           4
        .value_kind:     by_value
      - .offset:         44
        .size:           4
        .value_kind:     by_value
      - .offset:         48
        .size:           4
        .value_kind:     by_value
    .group_segment_fixed_size: 0
    .kernarg_segment_align: 8
    .kernarg_segment_size: 52
    .language:       OpenCL C
    .language_version:
      - 2
      - 0
    .max_flat_workgroup_size: 1024
    .name:           _ZN5aiter24topk_softplus_kernel_optI6__halfS1_Li256ELb1ELi0EEEvPKT_PKT0_PfPimiif
    .private_segment_fixed_size: 0
    .sgpr_count:     20
    .sgpr_spill_count: 0
    .symbol:         _ZN5aiter24topk_softplus_kernel_optI6__halfS1_Li256ELb1ELi0EEEvPKT_PKT0_PfPimiif.kd
    .uniform_work_group_size: 1
    .uses_dynamic_stack: false
    .vgpr_count:     26
    .vgpr_spill_count: 0
    .wavefront_size: 64
  - .agpr_count:     0
    .args:
      - .actual_access:  read_only
        .address_space:  global
        .offset:         0
        .size:           8
        .value_kind:     global_buffer
      - .actual_access:  read_only
        .address_space:  global
        .offset:         8
        .size:           8
        .value_kind:     global_buffer
      - .actual_access:  write_only
        .address_space:  global
        .offset:         16
        .size:           8
        .value_kind:     global_buffer
      - .actual_access:  write_only
        .address_space:  global
        .offset:         24
        .size:           8
        .value_kind:     global_buffer
      - .offset:         32
        .size:           8
        .value_kind:     by_value
      - .offset:         40
        .size:           4
        .value_kind:     by_value
      - .offset:         44
        .size:           4
        .value_kind:     by_value
      - .offset:         48
        .size:           4
        .value_kind:     by_value
    .group_segment_fixed_size: 0
    .kernarg_segment_align: 8
    .kernarg_segment_size: 52
    .language:       OpenCL C
    .language_version:
      - 2
      - 0
    .max_flat_workgroup_size: 1024
    .name:           _ZN5aiter24topk_softplus_kernel_optI6__halfS1_Li256ELb0ELi0EEEvPKT_PKT0_PfPimiif
    .private_segment_fixed_size: 0
    .sgpr_count:     20
    .sgpr_spill_count: 0
    .symbol:         _ZN5aiter24topk_softplus_kernel_optI6__halfS1_Li256ELb0ELi0EEEvPKT_PKT0_PfPimiif.kd
    .uniform_work_group_size: 1
    .uses_dynamic_stack: false
    .vgpr_count:     25
    .vgpr_spill_count: 0
    .wavefront_size: 64
  - .agpr_count:     0
    .args:
      - .actual_access:  read_only
        .address_space:  global
        .offset:         0
        .size:           8
        .value_kind:     global_buffer
      - .actual_access:  read_only
        .address_space:  global
        .offset:         8
        .size:           8
        .value_kind:     global_buffer
      - .actual_access:  write_only
        .address_space:  global
        .offset:         16
        .size:           8
        .value_kind:     global_buffer
      - .actual_access:  write_only
        .address_space:  global
        .offset:         24
        .size:           8
        .value_kind:     global_buffer
      - .offset:         32
        .size:           8
        .value_kind:     by_value
      - .offset:         40
        .size:           4
        .value_kind:     by_value
      - .offset:         44
        .size:           4
        .value_kind:     by_value
      - .offset:         48
        .size:           4
        .value_kind:     by_value
    .group_segment_fixed_size: 0
    .kernarg_segment_align: 8
    .kernarg_segment_size: 52
    .language:       OpenCL C
    .language_version:
      - 2
      - 0
    .max_flat_workgroup_size: 1024
    .name:           _ZN5aiter24topk_softplus_kernel_optI6__halfS1_Li384ELb1ELi0EEEvPKT_PKT0_PfPimiif
    .private_segment_fixed_size: 0
    .sgpr_count:     26
    .sgpr_spill_count: 0
    .symbol:         _ZN5aiter24topk_softplus_kernel_optI6__halfS1_Li384ELb1ELi0EEEvPKT_PKT0_PfPimiif.kd
    .uniform_work_group_size: 1
    .uses_dynamic_stack: false
    .vgpr_count:     29
    .vgpr_spill_count: 0
    .wavefront_size: 64
  - .agpr_count:     0
    .args:
      - .actual_access:  read_only
        .address_space:  global
        .offset:         0
        .size:           8
        .value_kind:     global_buffer
      - .actual_access:  read_only
        .address_space:  global
        .offset:         8
        .size:           8
        .value_kind:     global_buffer
      - .actual_access:  write_only
        .address_space:  global
        .offset:         16
        .size:           8
        .value_kind:     global_buffer
      - .actual_access:  write_only
        .address_space:  global
        .offset:         24
        .size:           8
        .value_kind:     global_buffer
      - .offset:         32
        .size:           8
        .value_kind:     by_value
      - .offset:         40
        .size:           4
        .value_kind:     by_value
      - .offset:         44
        .size:           4
        .value_kind:     by_value
      - .offset:         48
        .size:           4
        .value_kind:     by_value
    .group_segment_fixed_size: 0
    .kernarg_segment_align: 8
    .kernarg_segment_size: 52
    .language:       OpenCL C
    .language_version:
      - 2
      - 0
    .max_flat_workgroup_size: 1024
    .name:           _ZN5aiter24topk_softplus_kernel_optI6__halfS1_Li384ELb0ELi0EEEvPKT_PKT0_PfPimiif
    .private_segment_fixed_size: 0
    .sgpr_count:     26
    .sgpr_spill_count: 0
    .symbol:         _ZN5aiter24topk_softplus_kernel_optI6__halfS1_Li384ELb0ELi0EEEvPKT_PKT0_PfPimiif.kd
    .uniform_work_group_size: 1
    .uses_dynamic_stack: false
    .vgpr_count:     28
    .vgpr_spill_count: 0
    .wavefront_size: 64
  - .agpr_count:     0
    .args:
      - .actual_access:  read_only
        .address_space:  global
        .offset:         0
        .size:           8
        .value_kind:     global_buffer
      - .actual_access:  read_only
        .address_space:  global
        .offset:         8
        .size:           8
        .value_kind:     global_buffer
      - .actual_access:  write_only
        .address_space:  global
        .offset:         16
        .size:           8
        .value_kind:     global_buffer
      - .actual_access:  write_only
        .address_space:  global
        .offset:         24
        .size:           8
        .value_kind:     global_buffer
      - .offset:         32
        .size:           8
        .value_kind:     by_value
      - .offset:         40
        .size:           4
        .value_kind:     by_value
      - .offset:         44
        .size:           4
        .value_kind:     by_value
      - .offset:         48
        .size:           4
        .value_kind:     by_value
      - .offset:         52
        .size:           4
        .value_kind:     by_value
      - .offset:         56
        .size:           4
        .value_kind:     hidden_block_count_x
      - .offset:         60
        .size:           4
        .value_kind:     hidden_block_count_y
      - .offset:         64
        .size:           4
        .value_kind:     hidden_block_count_z
      - .offset:         68
        .size:           2
        .value_kind:     hidden_group_size_x
      - .offset:         70
        .size:           2
        .value_kind:     hidden_group_size_y
      - .offset:         72
        .size:           2
        .value_kind:     hidden_group_size_z
      - .offset:         74
        .size:           2
        .value_kind:     hidden_remainder_x
      - .offset:         76
        .size:           2
        .value_kind:     hidden_remainder_y
      - .offset:         78
        .size:           2
        .value_kind:     hidden_remainder_z
      - .offset:         96
        .size:           8
        .value_kind:     hidden_global_offset_x
      - .offset:         104
        .size:           8
        .value_kind:     hidden_global_offset_y
      - .offset:         112
        .size:           8
        .value_kind:     hidden_global_offset_z
      - .offset:         120
        .size:           2
        .value_kind:     hidden_grid_dims
      - .offset:         176
        .size:           4
        .value_kind:     hidden_dynamic_lds_size
    .group_segment_fixed_size: 0
    .kernarg_segment_align: 8
    .kernarg_segment_size: 312
    .language:       OpenCL C
    .language_version:
      - 2
      - 0
    .max_flat_workgroup_size: 1024
    .name:           _ZN5aiter20topk_softplus_kernelI6__halfS1_Dv4_fLb1ELi0EEEvPKT_PKT0_PfPimiiif
    .private_segment_fixed_size: 0
    .sgpr_count:     49
    .sgpr_spill_count: 0
    .symbol:         _ZN5aiter20topk_softplus_kernelI6__halfS1_Dv4_fLb1ELi0EEEvPKT_PKT0_PfPimiiif.kd
    .uniform_work_group_size: 1
    .uses_dynamic_stack: false
    .vgpr_count:     25
    .vgpr_spill_count: 0
    .wavefront_size: 64
  - .agpr_count:     0
    .args:
      - .actual_access:  read_only
        .address_space:  global
        .offset:         0
        .size:           8
        .value_kind:     global_buffer
      - .actual_access:  read_only
        .address_space:  global
        .offset:         8
        .size:           8
        .value_kind:     global_buffer
      - .actual_access:  write_only
        .address_space:  global
        .offset:         16
        .size:           8
        .value_kind:     global_buffer
      - .actual_access:  write_only
        .address_space:  global
        .offset:         24
        .size:           8
        .value_kind:     global_buffer
      - .offset:         32
        .size:           8
        .value_kind:     by_value
      - .offset:         40
        .size:           4
        .value_kind:     by_value
      - .offset:         44
        .size:           4
        .value_kind:     by_value
      - .offset:         48
        .size:           4
        .value_kind:     by_value
      - .offset:         52
        .size:           4
        .value_kind:     by_value
      - .offset:         56
        .size:           4
        .value_kind:     hidden_block_count_x
      - .offset:         60
        .size:           4
        .value_kind:     hidden_block_count_y
      - .offset:         64
        .size:           4
        .value_kind:     hidden_block_count_z
      - .offset:         68
        .size:           2
        .value_kind:     hidden_group_size_x
      - .offset:         70
        .size:           2
        .value_kind:     hidden_group_size_y
      - .offset:         72
        .size:           2
        .value_kind:     hidden_group_size_z
      - .offset:         74
        .size:           2
        .value_kind:     hidden_remainder_x
      - .offset:         76
        .size:           2
        .value_kind:     hidden_remainder_y
      - .offset:         78
        .size:           2
        .value_kind:     hidden_remainder_z
      - .offset:         96
        .size:           8
        .value_kind:     hidden_global_offset_x
      - .offset:         104
        .size:           8
        .value_kind:     hidden_global_offset_y
      - .offset:         112
        .size:           8
        .value_kind:     hidden_global_offset_z
      - .offset:         120
        .size:           2
        .value_kind:     hidden_grid_dims
      - .offset:         176
        .size:           4
        .value_kind:     hidden_dynamic_lds_size
    .group_segment_fixed_size: 0
    .kernarg_segment_align: 8
    .kernarg_segment_size: 312
    .language:       OpenCL C
    .language_version:
      - 2
      - 0
    .max_flat_workgroup_size: 1024
    .name:           _ZN5aiter20topk_softplus_kernelI6__halfS1_Dv4_fLb0ELi0EEEvPKT_PKT0_PfPimiiif
    .private_segment_fixed_size: 0
    .sgpr_count:     49
    .sgpr_spill_count: 0
    .symbol:         _ZN5aiter20topk_softplus_kernelI6__halfS1_Dv4_fLb0ELi0EEEvPKT_PKT0_PfPimiiif.kd
    .uniform_work_group_size: 1
    .uses_dynamic_stack: false
    .vgpr_count:     25
    .vgpr_spill_count: 0
    .wavefront_size: 64
  - .agpr_count:     0
    .args:
      - .actual_access:  read_only
        .address_space:  global
        .offset:         0
        .size:           8
        .value_kind:     global_buffer
      - .actual_access:  read_only
        .address_space:  global
        .offset:         8
        .size:           8
        .value_kind:     global_buffer
      - .actual_access:  write_only
        .address_space:  global
        .offset:         16
        .size:           8
        .value_kind:     global_buffer
      - .actual_access:  write_only
        .address_space:  global
        .offset:         24
        .size:           8
        .value_kind:     global_buffer
      - .offset:         32
        .size:           8
        .value_kind:     by_value
      - .offset:         40
        .size:           4
        .value_kind:     by_value
      - .offset:         44
        .size:           4
        .value_kind:     by_value
      - .offset:         48
        .size:           4
        .value_kind:     by_value
      - .offset:         52
        .size:           4
        .value_kind:     by_value
      - .offset:         56
        .size:           4
        .value_kind:     hidden_block_count_x
      - .offset:         60
        .size:           4
        .value_kind:     hidden_block_count_y
      - .offset:         64
        .size:           4
        .value_kind:     hidden_block_count_z
      - .offset:         68
        .size:           2
        .value_kind:     hidden_group_size_x
      - .offset:         70
        .size:           2
        .value_kind:     hidden_group_size_y
      - .offset:         72
        .size:           2
        .value_kind:     hidden_group_size_z
      - .offset:         74
        .size:           2
        .value_kind:     hidden_remainder_x
      - .offset:         76
        .size:           2
        .value_kind:     hidden_remainder_y
      - .offset:         78
        .size:           2
        .value_kind:     hidden_remainder_z
      - .offset:         96
        .size:           8
        .value_kind:     hidden_global_offset_x
      - .offset:         104
        .size:           8
        .value_kind:     hidden_global_offset_y
      - .offset:         112
        .size:           8
        .value_kind:     hidden_global_offset_z
      - .offset:         120
        .size:           2
        .value_kind:     hidden_grid_dims
      - .offset:         176
        .size:           4
        .value_kind:     hidden_dynamic_lds_size
    .group_segment_fixed_size: 0
    .kernarg_segment_align: 8
    .kernarg_segment_size: 312
    .language:       OpenCL C
    .language_version:
      - 2
      - 0
    .max_flat_workgroup_size: 1024
    .name:           _ZN5aiter20topk_softplus_kernelI6__halfS1_Dv2_fLb1ELi0EEEvPKT_PKT0_PfPimiiif
    .private_segment_fixed_size: 0
    .sgpr_count:     39
    .sgpr_spill_count: 0
    .symbol:         _ZN5aiter20topk_softplus_kernelI6__halfS1_Dv2_fLb1ELi0EEEvPKT_PKT0_PfPimiiif.kd
    .uniform_work_group_size: 1
    .uses_dynamic_stack: false
    .vgpr_count:     20
    .vgpr_spill_count: 0
    .wavefront_size: 64
  - .agpr_count:     0
    .args:
      - .actual_access:  read_only
        .address_space:  global
        .offset:         0
        .size:           8
        .value_kind:     global_buffer
      - .actual_access:  read_only
        .address_space:  global
        .offset:         8
        .size:           8
        .value_kind:     global_buffer
      - .actual_access:  write_only
        .address_space:  global
        .offset:         16
        .size:           8
        .value_kind:     global_buffer
      - .actual_access:  write_only
        .address_space:  global
        .offset:         24
        .size:           8
        .value_kind:     global_buffer
      - .offset:         32
        .size:           8
        .value_kind:     by_value
      - .offset:         40
        .size:           4
        .value_kind:     by_value
      - .offset:         44
        .size:           4
        .value_kind:     by_value
      - .offset:         48
        .size:           4
        .value_kind:     by_value
      - .offset:         52
        .size:           4
        .value_kind:     by_value
      - .offset:         56
        .size:           4
        .value_kind:     hidden_block_count_x
      - .offset:         60
        .size:           4
        .value_kind:     hidden_block_count_y
      - .offset:         64
        .size:           4
        .value_kind:     hidden_block_count_z
      - .offset:         68
        .size:           2
        .value_kind:     hidden_group_size_x
      - .offset:         70
        .size:           2
        .value_kind:     hidden_group_size_y
      - .offset:         72
        .size:           2
        .value_kind:     hidden_group_size_z
      - .offset:         74
        .size:           2
        .value_kind:     hidden_remainder_x
      - .offset:         76
        .size:           2
        .value_kind:     hidden_remainder_y
      - .offset:         78
        .size:           2
        .value_kind:     hidden_remainder_z
      - .offset:         96
        .size:           8
        .value_kind:     hidden_global_offset_x
      - .offset:         104
        .size:           8
        .value_kind:     hidden_global_offset_y
      - .offset:         112
        .size:           8
        .value_kind:     hidden_global_offset_z
      - .offset:         120
        .size:           2
        .value_kind:     hidden_grid_dims
      - .offset:         176
        .size:           4
        .value_kind:     hidden_dynamic_lds_size
    .group_segment_fixed_size: 0
    .kernarg_segment_align: 8
    .kernarg_segment_size: 312
    .language:       OpenCL C
    .language_version:
      - 2
      - 0
    .max_flat_workgroup_size: 1024
    .name:           _ZN5aiter20topk_softplus_kernelI6__halfS1_Dv2_fLb0ELi0EEEvPKT_PKT0_PfPimiiif
    .private_segment_fixed_size: 0
    .sgpr_count:     39
    .sgpr_spill_count: 0
    .symbol:         _ZN5aiter20topk_softplus_kernelI6__halfS1_Dv2_fLb0ELi0EEEvPKT_PKT0_PfPimiiif.kd
    .uniform_work_group_size: 1
    .uses_dynamic_stack: false
    .vgpr_count:     20
    .vgpr_spill_count: 0
    .wavefront_size: 64
  - .agpr_count:     0
    .args:
      - .actual_access:  read_only
        .address_space:  global
        .offset:         0
        .size:           8
        .value_kind:     global_buffer
      - .actual_access:  read_only
        .address_space:  global
        .offset:         8
        .size:           8
        .value_kind:     global_buffer
      - .actual_access:  write_only
        .address_space:  global
        .offset:         16
        .size:           8
        .value_kind:     global_buffer
      - .actual_access:  write_only
        .address_space:  global
        .offset:         24
        .size:           8
        .value_kind:     global_buffer
      - .offset:         32
        .size:           8
        .value_kind:     by_value
      - .offset:         40
        .size:           4
        .value_kind:     by_value
      - .offset:         44
        .size:           4
        .value_kind:     by_value
      - .offset:         48
        .size:           4
        .value_kind:     by_value
      - .offset:         52
        .size:           4
        .value_kind:     by_value
      - .offset:         56
        .size:           4
        .value_kind:     hidden_block_count_x
      - .offset:         60
        .size:           4
        .value_kind:     hidden_block_count_y
      - .offset:         64
        .size:           4
        .value_kind:     hidden_block_count_z
      - .offset:         68
        .size:           2
        .value_kind:     hidden_group_size_x
      - .offset:         70
        .size:           2
        .value_kind:     hidden_group_size_y
      - .offset:         72
        .size:           2
        .value_kind:     hidden_group_size_z
      - .offset:         74
        .size:           2
        .value_kind:     hidden_remainder_x
      - .offset:         76
        .size:           2
        .value_kind:     hidden_remainder_y
      - .offset:         78
        .size:           2
        .value_kind:     hidden_remainder_z
      - .offset:         96
        .size:           8
        .value_kind:     hidden_global_offset_x
      - .offset:         104
        .size:           8
        .value_kind:     hidden_global_offset_y
      - .offset:         112
        .size:           8
        .value_kind:     hidden_global_offset_z
      - .offset:         120
        .size:           2
        .value_kind:     hidden_grid_dims
      - .offset:         176
        .size:           4
        .value_kind:     hidden_dynamic_lds_size
    .group_segment_fixed_size: 0
    .kernarg_segment_align: 8
    .kernarg_segment_size: 312
    .language:       OpenCL C
    .language_version:
      - 2
      - 0
    .max_flat_workgroup_size: 1024
    .name:           _ZN5aiter20topk_softplus_kernelI6__halfS1_Dv1_fLb1ELi0EEEvPKT_PKT0_PfPimiiif
    .private_segment_fixed_size: 0
    .sgpr_count:     36
    .sgpr_spill_count: 0
    .symbol:         _ZN5aiter20topk_softplus_kernelI6__halfS1_Dv1_fLb1ELi0EEEvPKT_PKT0_PfPimiiif.kd
    .uniform_work_group_size: 1
    .uses_dynamic_stack: false
    .vgpr_count:     18
    .vgpr_spill_count: 0
    .wavefront_size: 64
  - .agpr_count:     0
    .args:
      - .actual_access:  read_only
        .address_space:  global
        .offset:         0
        .size:           8
        .value_kind:     global_buffer
      - .actual_access:  read_only
        .address_space:  global
        .offset:         8
        .size:           8
        .value_kind:     global_buffer
      - .actual_access:  write_only
        .address_space:  global
        .offset:         16
        .size:           8
        .value_kind:     global_buffer
      - .actual_access:  write_only
        .address_space:  global
        .offset:         24
        .size:           8
        .value_kind:     global_buffer
      - .offset:         32
        .size:           8
        .value_kind:     by_value
      - .offset:         40
        .size:           4
        .value_kind:     by_value
      - .offset:         44
        .size:           4
        .value_kind:     by_value
      - .offset:         48
        .size:           4
        .value_kind:     by_value
      - .offset:         52
        .size:           4
        .value_kind:     by_value
      - .offset:         56
        .size:           4
        .value_kind:     hidden_block_count_x
      - .offset:         60
        .size:           4
        .value_kind:     hidden_block_count_y
      - .offset:         64
        .size:           4
        .value_kind:     hidden_block_count_z
      - .offset:         68
        .size:           2
        .value_kind:     hidden_group_size_x
      - .offset:         70
        .size:           2
        .value_kind:     hidden_group_size_y
      - .offset:         72
        .size:           2
        .value_kind:     hidden_group_size_z
      - .offset:         74
        .size:           2
        .value_kind:     hidden_remainder_x
      - .offset:         76
        .size:           2
        .value_kind:     hidden_remainder_y
      - .offset:         78
        .size:           2
        .value_kind:     hidden_remainder_z
      - .offset:         96
        .size:           8
        .value_kind:     hidden_global_offset_x
      - .offset:         104
        .size:           8
        .value_kind:     hidden_global_offset_y
      - .offset:         112
        .size:           8
        .value_kind:     hidden_global_offset_z
      - .offset:         120
        .size:           2
        .value_kind:     hidden_grid_dims
      - .offset:         176
        .size:           4
        .value_kind:     hidden_dynamic_lds_size
    .group_segment_fixed_size: 0
    .kernarg_segment_align: 8
    .kernarg_segment_size: 312
    .language:       OpenCL C
    .language_version:
      - 2
      - 0
    .max_flat_workgroup_size: 1024
    .name:           _ZN5aiter20topk_softplus_kernelI6__halfS1_Dv1_fLb0ELi0EEEvPKT_PKT0_PfPimiiif
    .private_segment_fixed_size: 0
    .sgpr_count:     36
    .sgpr_spill_count: 0
    .symbol:         _ZN5aiter20topk_softplus_kernelI6__halfS1_Dv1_fLb0ELi0EEEvPKT_PKT0_PfPimiiif.kd
    .uniform_work_group_size: 1
    .uses_dynamic_stack: false
    .vgpr_count:     18
    .vgpr_spill_count: 0
    .wavefront_size: 64
  - .agpr_count:     0
    .args:
      - .actual_access:  read_only
        .address_space:  global
        .offset:         0
        .size:           8
        .value_kind:     global_buffer
      - .actual_access:  read_only
        .address_space:  global
        .offset:         8
        .size:           8
        .value_kind:     global_buffer
      - .actual_access:  write_only
        .address_space:  global
        .offset:         16
        .size:           8
        .value_kind:     global_buffer
      - .actual_access:  write_only
        .address_space:  global
        .offset:         24
        .size:           8
        .value_kind:     global_buffer
      - .offset:         32
        .size:           8
        .value_kind:     by_value
      - .offset:         40
        .size:           4
        .value_kind:     by_value
      - .offset:         44
        .size:           4
        .value_kind:     by_value
      - .offset:         48
        .size:           4
        .value_kind:     by_value
    .group_segment_fixed_size: 0
    .kernarg_segment_align: 8
    .kernarg_segment_size: 52
    .language:       OpenCL C
    .language_version:
      - 2
      - 0
    .max_flat_workgroup_size: 1024
    .name:           _ZN5aiter24topk_softplus_kernel_optI6__half12hip_bfloat16Li64ELb1ELi1EEEvPKT_PKT0_PfPimiif
    .private_segment_fixed_size: 0
    .sgpr_count:     17
    .sgpr_spill_count: 0
    .symbol:         _ZN5aiter24topk_softplus_kernel_optI6__half12hip_bfloat16Li64ELb1ELi1EEEvPKT_PKT0_PfPimiif.kd
    .uniform_work_group_size: 1
    .uses_dynamic_stack: false
    .vgpr_count:     13
    .vgpr_spill_count: 0
    .wavefront_size: 64
  - .agpr_count:     0
    .args:
      - .actual_access:  read_only
        .address_space:  global
        .offset:         0
        .size:           8
        .value_kind:     global_buffer
      - .actual_access:  read_only
        .address_space:  global
        .offset:         8
        .size:           8
        .value_kind:     global_buffer
      - .actual_access:  write_only
        .address_space:  global
        .offset:         16
        .size:           8
        .value_kind:     global_buffer
      - .actual_access:  write_only
        .address_space:  global
        .offset:         24
        .size:           8
        .value_kind:     global_buffer
      - .offset:         32
        .size:           8
        .value_kind:     by_value
      - .offset:         40
        .size:           4
        .value_kind:     by_value
      - .offset:         44
        .size:           4
        .value_kind:     by_value
      - .offset:         48
        .size:           4
        .value_kind:     by_value
    .group_segment_fixed_size: 0
    .kernarg_segment_align: 8
    .kernarg_segment_size: 52
    .language:       OpenCL C
    .language_version:
      - 2
      - 0
    .max_flat_workgroup_size: 1024
    .name:           _ZN5aiter24topk_softplus_kernel_optI6__half12hip_bfloat16Li64ELb0ELi1EEEvPKT_PKT0_PfPimiif
    .private_segment_fixed_size: 0
    .sgpr_count:     17
    .sgpr_spill_count: 0
    .symbol:         _ZN5aiter24topk_softplus_kernel_optI6__half12hip_bfloat16Li64ELb0ELi1EEEvPKT_PKT0_PfPimiif.kd
    .uniform_work_group_size: 1
    .uses_dynamic_stack: false
    .vgpr_count:     12
    .vgpr_spill_count: 0
    .wavefront_size: 64
  - .agpr_count:     0
    .args:
      - .actual_access:  read_only
        .address_space:  global
        .offset:         0
        .size:           8
        .value_kind:     global_buffer
      - .actual_access:  read_only
        .address_space:  global
        .offset:         8
        .size:           8
        .value_kind:     global_buffer
      - .actual_access:  write_only
        .address_space:  global
        .offset:         16
        .size:           8
        .value_kind:     global_buffer
      - .actual_access:  write_only
        .address_space:  global
        .offset:         24
        .size:           8
        .value_kind:     global_buffer
      - .offset:         32
        .size:           8
        .value_kind:     by_value
      - .offset:         40
        .size:           4
        .value_kind:     by_value
      - .offset:         44
        .size:           4
        .value_kind:     by_value
      - .offset:         48
        .size:           4
        .value_kind:     by_value
    .group_segment_fixed_size: 0
    .kernarg_segment_align: 8
    .kernarg_segment_size: 52
    .language:       OpenCL C
    .language_version:
      - 2
      - 0
    .max_flat_workgroup_size: 1024
    .name:           _ZN5aiter24topk_softplus_kernel_optI6__half12hip_bfloat16Li128ELb1ELi1EEEvPKT_PKT0_PfPimiif
    .private_segment_fixed_size: 0
    .sgpr_count:     17
    .sgpr_spill_count: 0
    .symbol:         _ZN5aiter24topk_softplus_kernel_optI6__half12hip_bfloat16Li128ELb1ELi1EEEvPKT_PKT0_PfPimiif.kd
    .uniform_work_group_size: 1
    .uses_dynamic_stack: false
    .vgpr_count:     20
    .vgpr_spill_count: 0
    .wavefront_size: 64
  - .agpr_count:     0
    .args:
      - .actual_access:  read_only
        .address_space:  global
        .offset:         0
        .size:           8
        .value_kind:     global_buffer
      - .actual_access:  read_only
        .address_space:  global
        .offset:         8
        .size:           8
        .value_kind:     global_buffer
      - .actual_access:  write_only
        .address_space:  global
        .offset:         16
        .size:           8
        .value_kind:     global_buffer
      - .actual_access:  write_only
        .address_space:  global
        .offset:         24
        .size:           8
        .value_kind:     global_buffer
      - .offset:         32
        .size:           8
        .value_kind:     by_value
      - .offset:         40
        .size:           4
        .value_kind:     by_value
      - .offset:         44
        .size:           4
        .value_kind:     by_value
      - .offset:         48
        .size:           4
        .value_kind:     by_value
    .group_segment_fixed_size: 0
    .kernarg_segment_align: 8
    .kernarg_segment_size: 52
    .language:       OpenCL C
    .language_version:
      - 2
      - 0
    .max_flat_workgroup_size: 1024
    .name:           _ZN5aiter24topk_softplus_kernel_optI6__half12hip_bfloat16Li128ELb0ELi1EEEvPKT_PKT0_PfPimiif
    .private_segment_fixed_size: 0
    .sgpr_count:     17
    .sgpr_spill_count: 0
    .symbol:         _ZN5aiter24topk_softplus_kernel_optI6__half12hip_bfloat16Li128ELb0ELi1EEEvPKT_PKT0_PfPimiif.kd
    .uniform_work_group_size: 1
    .uses_dynamic_stack: false
    .vgpr_count:     19
    .vgpr_spill_count: 0
    .wavefront_size: 64
  - .agpr_count:     0
    .args:
      - .actual_access:  read_only
        .address_space:  global
        .offset:         0
        .size:           8
        .value_kind:     global_buffer
      - .actual_access:  read_only
        .address_space:  global
        .offset:         8
        .size:           8
        .value_kind:     global_buffer
      - .actual_access:  write_only
        .address_space:  global
        .offset:         16
        .size:           8
        .value_kind:     global_buffer
      - .actual_access:  write_only
        .address_space:  global
        .offset:         24
        .size:           8
        .value_kind:     global_buffer
      - .offset:         32
        .size:           8
        .value_kind:     by_value
      - .offset:         40
        .size:           4
        .value_kind:     by_value
      - .offset:         44
        .size:           4
        .value_kind:     by_value
      - .offset:         48
        .size:           4
        .value_kind:     by_value
    .group_segment_fixed_size: 0
    .kernarg_segment_align: 8
    .kernarg_segment_size: 52
    .language:       OpenCL C
    .language_version:
      - 2
      - 0
    .max_flat_workgroup_size: 1024
    .name:           _ZN5aiter24topk_softplus_kernel_optI6__half12hip_bfloat16Li256ELb1ELi1EEEvPKT_PKT0_PfPimiif
    .private_segment_fixed_size: 0
    .sgpr_count:     17
    .sgpr_spill_count: 0
    .symbol:         _ZN5aiter24topk_softplus_kernel_optI6__half12hip_bfloat16Li256ELb1ELi1EEEvPKT_PKT0_PfPimiif.kd
    .uniform_work_group_size: 1
    .uses_dynamic_stack: false
    .vgpr_count:     26
    .vgpr_spill_count: 0
    .wavefront_size: 64
  - .agpr_count:     0
    .args:
      - .actual_access:  read_only
        .address_space:  global
        .offset:         0
        .size:           8
        .value_kind:     global_buffer
      - .actual_access:  read_only
        .address_space:  global
        .offset:         8
        .size:           8
        .value_kind:     global_buffer
      - .actual_access:  write_only
        .address_space:  global
        .offset:         16
        .size:           8
        .value_kind:     global_buffer
      - .actual_access:  write_only
        .address_space:  global
        .offset:         24
        .size:           8
        .value_kind:     global_buffer
      - .offset:         32
        .size:           8
        .value_kind:     by_value
      - .offset:         40
        .size:           4
        .value_kind:     by_value
      - .offset:         44
        .size:           4
        .value_kind:     by_value
      - .offset:         48
        .size:           4
        .value_kind:     by_value
    .group_segment_fixed_size: 0
    .kernarg_segment_align: 8
    .kernarg_segment_size: 52
    .language:       OpenCL C
    .language_version:
      - 2
      - 0
    .max_flat_workgroup_size: 1024
    .name:           _ZN5aiter24topk_softplus_kernel_optI6__half12hip_bfloat16Li256ELb0ELi1EEEvPKT_PKT0_PfPimiif
    .private_segment_fixed_size: 0
    .sgpr_count:     17
    .sgpr_spill_count: 0
    .symbol:         _ZN5aiter24topk_softplus_kernel_optI6__half12hip_bfloat16Li256ELb0ELi1EEEvPKT_PKT0_PfPimiif.kd
    .uniform_work_group_size: 1
    .uses_dynamic_stack: false
    .vgpr_count:     25
    .vgpr_spill_count: 0
    .wavefront_size: 64
  - .agpr_count:     0
    .args:
      - .actual_access:  read_only
        .address_space:  global
        .offset:         0
        .size:           8
        .value_kind:     global_buffer
      - .actual_access:  read_only
        .address_space:  global
        .offset:         8
        .size:           8
        .value_kind:     global_buffer
      - .actual_access:  write_only
        .address_space:  global
        .offset:         16
        .size:           8
        .value_kind:     global_buffer
      - .actual_access:  write_only
        .address_space:  global
        .offset:         24
        .size:           8
        .value_kind:     global_buffer
      - .offset:         32
        .size:           8
        .value_kind:     by_value
      - .offset:         40
        .size:           4
        .value_kind:     by_value
      - .offset:         44
        .size:           4
        .value_kind:     by_value
      - .offset:         48
        .size:           4
        .value_kind:     by_value
    .group_segment_fixed_size: 0
    .kernarg_segment_align: 8
    .kernarg_segment_size: 52
    .language:       OpenCL C
    .language_version:
      - 2
      - 0
    .max_flat_workgroup_size: 1024
    .name:           _ZN5aiter24topk_softplus_kernel_optI6__half12hip_bfloat16Li384ELb1ELi1EEEvPKT_PKT0_PfPimiif
    .private_segment_fixed_size: 0
    .sgpr_count:     26
    .sgpr_spill_count: 0
    .symbol:         _ZN5aiter24topk_softplus_kernel_optI6__half12hip_bfloat16Li384ELb1ELi1EEEvPKT_PKT0_PfPimiif.kd
    .uniform_work_group_size: 1
    .uses_dynamic_stack: false
    .vgpr_count:     29
    .vgpr_spill_count: 0
    .wavefront_size: 64
  - .agpr_count:     0
    .args:
      - .actual_access:  read_only
        .address_space:  global
        .offset:         0
        .size:           8
        .value_kind:     global_buffer
      - .actual_access:  read_only
        .address_space:  global
        .offset:         8
        .size:           8
        .value_kind:     global_buffer
      - .actual_access:  write_only
        .address_space:  global
        .offset:         16
        .size:           8
        .value_kind:     global_buffer
      - .actual_access:  write_only
        .address_space:  global
        .offset:         24
        .size:           8
        .value_kind:     global_buffer
      - .offset:         32
        .size:           8
        .value_kind:     by_value
      - .offset:         40
        .size:           4
        .value_kind:     by_value
      - .offset:         44
        .size:           4
        .value_kind:     by_value
      - .offset:         48
        .size:           4
        .value_kind:     by_value
    .group_segment_fixed_size: 0
    .kernarg_segment_align: 8
    .kernarg_segment_size: 52
    .language:       OpenCL C
    .language_version:
      - 2
      - 0
    .max_flat_workgroup_size: 1024
    .name:           _ZN5aiter24topk_softplus_kernel_optI6__half12hip_bfloat16Li384ELb0ELi1EEEvPKT_PKT0_PfPimiif
    .private_segment_fixed_size: 0
    .sgpr_count:     26
    .sgpr_spill_count: 0
    .symbol:         _ZN5aiter24topk_softplus_kernel_optI6__half12hip_bfloat16Li384ELb0ELi1EEEvPKT_PKT0_PfPimiif.kd
    .uniform_work_group_size: 1
    .uses_dynamic_stack: false
    .vgpr_count:     28
    .vgpr_spill_count: 0
    .wavefront_size: 64
  - .agpr_count:     0
    .args:
      - .actual_access:  read_only
        .address_space:  global
        .offset:         0
        .size:           8
        .value_kind:     global_buffer
      - .actual_access:  read_only
        .address_space:  global
        .offset:         8
        .size:           8
        .value_kind:     global_buffer
      - .actual_access:  write_only
        .address_space:  global
        .offset:         16
        .size:           8
        .value_kind:     global_buffer
      - .actual_access:  write_only
        .address_space:  global
        .offset:         24
        .size:           8
        .value_kind:     global_buffer
      - .offset:         32
        .size:           8
        .value_kind:     by_value
      - .offset:         40
        .size:           4
        .value_kind:     by_value
      - .offset:         44
        .size:           4
        .value_kind:     by_value
      - .offset:         48
        .size:           4
        .value_kind:     by_value
      - .offset:         52
        .size:           4
        .value_kind:     by_value
      - .offset:         56
        .size:           4
        .value_kind:     hidden_block_count_x
      - .offset:         60
        .size:           4
        .value_kind:     hidden_block_count_y
      - .offset:         64
        .size:           4
        .value_kind:     hidden_block_count_z
      - .offset:         68
        .size:           2
        .value_kind:     hidden_group_size_x
      - .offset:         70
        .size:           2
        .value_kind:     hidden_group_size_y
      - .offset:         72
        .size:           2
        .value_kind:     hidden_group_size_z
      - .offset:         74
        .size:           2
        .value_kind:     hidden_remainder_x
      - .offset:         76
        .size:           2
        .value_kind:     hidden_remainder_y
      - .offset:         78
        .size:           2
        .value_kind:     hidden_remainder_z
      - .offset:         96
        .size:           8
        .value_kind:     hidden_global_offset_x
      - .offset:         104
        .size:           8
        .value_kind:     hidden_global_offset_y
      - .offset:         112
        .size:           8
        .value_kind:     hidden_global_offset_z
      - .offset:         120
        .size:           2
        .value_kind:     hidden_grid_dims
      - .offset:         176
        .size:           4
        .value_kind:     hidden_dynamic_lds_size
    .group_segment_fixed_size: 0
    .kernarg_segment_align: 8
    .kernarg_segment_size: 312
    .language:       OpenCL C
    .language_version:
      - 2
      - 0
    .max_flat_workgroup_size: 1024
    .name:           _ZN5aiter20topk_softplus_kernelI6__half12hip_bfloat16Dv4_fLb1ELi1EEEvPKT_PKT0_PfPimiiif
    .private_segment_fixed_size: 0
    .sgpr_count:     42
    .sgpr_spill_count: 0
    .symbol:         _ZN5aiter20topk_softplus_kernelI6__half12hip_bfloat16Dv4_fLb1ELi1EEEvPKT_PKT0_PfPimiiif.kd
    .uniform_work_group_size: 1
    .uses_dynamic_stack: false
    .vgpr_count:     21
    .vgpr_spill_count: 0
    .wavefront_size: 64
  - .agpr_count:     0
    .args:
      - .actual_access:  read_only
        .address_space:  global
        .offset:         0
        .size:           8
        .value_kind:     global_buffer
      - .actual_access:  read_only
        .address_space:  global
        .offset:         8
        .size:           8
        .value_kind:     global_buffer
      - .actual_access:  write_only
        .address_space:  global
        .offset:         16
        .size:           8
        .value_kind:     global_buffer
      - .actual_access:  write_only
        .address_space:  global
        .offset:         24
        .size:           8
        .value_kind:     global_buffer
      - .offset:         32
        .size:           8
        .value_kind:     by_value
      - .offset:         40
        .size:           4
        .value_kind:     by_value
      - .offset:         44
        .size:           4
        .value_kind:     by_value
      - .offset:         48
        .size:           4
        .value_kind:     by_value
      - .offset:         52
        .size:           4
        .value_kind:     by_value
      - .offset:         56
        .size:           4
        .value_kind:     hidden_block_count_x
      - .offset:         60
        .size:           4
        .value_kind:     hidden_block_count_y
      - .offset:         64
        .size:           4
        .value_kind:     hidden_block_count_z
      - .offset:         68
        .size:           2
        .value_kind:     hidden_group_size_x
      - .offset:         70
        .size:           2
        .value_kind:     hidden_group_size_y
      - .offset:         72
        .size:           2
        .value_kind:     hidden_group_size_z
      - .offset:         74
        .size:           2
        .value_kind:     hidden_remainder_x
      - .offset:         76
        .size:           2
        .value_kind:     hidden_remainder_y
      - .offset:         78
        .size:           2
        .value_kind:     hidden_remainder_z
      - .offset:         96
        .size:           8
        .value_kind:     hidden_global_offset_x
      - .offset:         104
        .size:           8
        .value_kind:     hidden_global_offset_y
      - .offset:         112
        .size:           8
        .value_kind:     hidden_global_offset_z
      - .offset:         120
        .size:           2
        .value_kind:     hidden_grid_dims
      - .offset:         176
        .size:           4
        .value_kind:     hidden_dynamic_lds_size
    .group_segment_fixed_size: 0
    .kernarg_segment_align: 8
    .kernarg_segment_size: 312
    .language:       OpenCL C
    .language_version:
      - 2
      - 0
    .max_flat_workgroup_size: 1024
    .name:           _ZN5aiter20topk_softplus_kernelI6__half12hip_bfloat16Dv4_fLb0ELi1EEEvPKT_PKT0_PfPimiiif
    .private_segment_fixed_size: 0
    .sgpr_count:     42
    .sgpr_spill_count: 0
    .symbol:         _ZN5aiter20topk_softplus_kernelI6__half12hip_bfloat16Dv4_fLb0ELi1EEEvPKT_PKT0_PfPimiiif.kd
    .uniform_work_group_size: 1
    .uses_dynamic_stack: false
    .vgpr_count:     20
    .vgpr_spill_count: 0
    .wavefront_size: 64
  - .agpr_count:     0
    .args:
      - .actual_access:  read_only
        .address_space:  global
        .offset:         0
        .size:           8
        .value_kind:     global_buffer
      - .actual_access:  read_only
        .address_space:  global
        .offset:         8
        .size:           8
        .value_kind:     global_buffer
      - .actual_access:  write_only
        .address_space:  global
        .offset:         16
        .size:           8
        .value_kind:     global_buffer
      - .actual_access:  write_only
        .address_space:  global
        .offset:         24
        .size:           8
        .value_kind:     global_buffer
      - .offset:         32
        .size:           8
        .value_kind:     by_value
      - .offset:         40
        .size:           4
        .value_kind:     by_value
      - .offset:         44
        .size:           4
        .value_kind:     by_value
      - .offset:         48
        .size:           4
        .value_kind:     by_value
      - .offset:         52
        .size:           4
        .value_kind:     by_value
      - .offset:         56
        .size:           4
        .value_kind:     hidden_block_count_x
      - .offset:         60
        .size:           4
        .value_kind:     hidden_block_count_y
      - .offset:         64
        .size:           4
        .value_kind:     hidden_block_count_z
      - .offset:         68
        .size:           2
        .value_kind:     hidden_group_size_x
      - .offset:         70
        .size:           2
        .value_kind:     hidden_group_size_y
      - .offset:         72
        .size:           2
        .value_kind:     hidden_group_size_z
      - .offset:         74
        .size:           2
        .value_kind:     hidden_remainder_x
      - .offset:         76
        .size:           2
        .value_kind:     hidden_remainder_y
      - .offset:         78
        .size:           2
        .value_kind:     hidden_remainder_z
      - .offset:         96
        .size:           8
        .value_kind:     hidden_global_offset_x
      - .offset:         104
        .size:           8
        .value_kind:     hidden_global_offset_y
      - .offset:         112
        .size:           8
        .value_kind:     hidden_global_offset_z
      - .offset:         120
        .size:           2
        .value_kind:     hidden_grid_dims
      - .offset:         176
        .size:           4
        .value_kind:     hidden_dynamic_lds_size
    .group_segment_fixed_size: 0
    .kernarg_segment_align: 8
    .kernarg_segment_size: 312
    .language:       OpenCL C
    .language_version:
      - 2
      - 0
    .max_flat_workgroup_size: 1024
    .name:           _ZN5aiter20topk_softplus_kernelI6__half12hip_bfloat16Dv2_fLb1ELi1EEEvPKT_PKT0_PfPimiiif
    .private_segment_fixed_size: 0
    .sgpr_count:     32
    .sgpr_spill_count: 0
    .symbol:         _ZN5aiter20topk_softplus_kernelI6__half12hip_bfloat16Dv2_fLb1ELi1EEEvPKT_PKT0_PfPimiiif.kd
    .uniform_work_group_size: 1
    .uses_dynamic_stack: false
    .vgpr_count:     17
    .vgpr_spill_count: 0
    .wavefront_size: 64
  - .agpr_count:     0
    .args:
      - .actual_access:  read_only
        .address_space:  global
        .offset:         0
        .size:           8
        .value_kind:     global_buffer
      - .actual_access:  read_only
        .address_space:  global
        .offset:         8
        .size:           8
        .value_kind:     global_buffer
      - .actual_access:  write_only
        .address_space:  global
        .offset:         16
        .size:           8
        .value_kind:     global_buffer
      - .actual_access:  write_only
        .address_space:  global
        .offset:         24
        .size:           8
        .value_kind:     global_buffer
      - .offset:         32
        .size:           8
        .value_kind:     by_value
      - .offset:         40
        .size:           4
        .value_kind:     by_value
      - .offset:         44
        .size:           4
        .value_kind:     by_value
      - .offset:         48
        .size:           4
        .value_kind:     by_value
      - .offset:         52
        .size:           4
        .value_kind:     by_value
      - .offset:         56
        .size:           4
        .value_kind:     hidden_block_count_x
      - .offset:         60
        .size:           4
        .value_kind:     hidden_block_count_y
      - .offset:         64
        .size:           4
        .value_kind:     hidden_block_count_z
      - .offset:         68
        .size:           2
        .value_kind:     hidden_group_size_x
      - .offset:         70
        .size:           2
        .value_kind:     hidden_group_size_y
      - .offset:         72
        .size:           2
        .value_kind:     hidden_group_size_z
      - .offset:         74
        .size:           2
        .value_kind:     hidden_remainder_x
      - .offset:         76
        .size:           2
        .value_kind:     hidden_remainder_y
      - .offset:         78
        .size:           2
        .value_kind:     hidden_remainder_z
      - .offset:         96
        .size:           8
        .value_kind:     hidden_global_offset_x
      - .offset:         104
        .size:           8
        .value_kind:     hidden_global_offset_y
      - .offset:         112
        .size:           8
        .value_kind:     hidden_global_offset_z
      - .offset:         120
        .size:           2
        .value_kind:     hidden_grid_dims
      - .offset:         176
        .size:           4
        .value_kind:     hidden_dynamic_lds_size
    .group_segment_fixed_size: 0
    .kernarg_segment_align: 8
    .kernarg_segment_size: 312
    .language:       OpenCL C
    .language_version:
      - 2
      - 0
    .max_flat_workgroup_size: 1024
    .name:           _ZN5aiter20topk_softplus_kernelI6__half12hip_bfloat16Dv2_fLb0ELi1EEEvPKT_PKT0_PfPimiiif
    .private_segment_fixed_size: 0
    .sgpr_count:     32
    .sgpr_spill_count: 0
    .symbol:         _ZN5aiter20topk_softplus_kernelI6__half12hip_bfloat16Dv2_fLb0ELi1EEEvPKT_PKT0_PfPimiiif.kd
    .uniform_work_group_size: 1
    .uses_dynamic_stack: false
    .vgpr_count:     16
    .vgpr_spill_count: 0
    .wavefront_size: 64
  - .agpr_count:     0
    .args:
      - .actual_access:  read_only
        .address_space:  global
        .offset:         0
        .size:           8
        .value_kind:     global_buffer
      - .actual_access:  read_only
        .address_space:  global
        .offset:         8
        .size:           8
        .value_kind:     global_buffer
      - .actual_access:  write_only
        .address_space:  global
        .offset:         16
        .size:           8
        .value_kind:     global_buffer
      - .actual_access:  write_only
        .address_space:  global
        .offset:         24
        .size:           8
        .value_kind:     global_buffer
      - .offset:         32
        .size:           8
        .value_kind:     by_value
      - .offset:         40
        .size:           4
        .value_kind:     by_value
      - .offset:         44
        .size:           4
        .value_kind:     by_value
      - .offset:         48
        .size:           4
        .value_kind:     by_value
      - .offset:         52
        .size:           4
        .value_kind:     by_value
      - .offset:         56
        .size:           4
        .value_kind:     hidden_block_count_x
      - .offset:         60
        .size:           4
        .value_kind:     hidden_block_count_y
      - .offset:         64
        .size:           4
        .value_kind:     hidden_block_count_z
      - .offset:         68
        .size:           2
        .value_kind:     hidden_group_size_x
      - .offset:         70
        .size:           2
        .value_kind:     hidden_group_size_y
      - .offset:         72
        .size:           2
        .value_kind:     hidden_group_size_z
      - .offset:         74
        .size:           2
        .value_kind:     hidden_remainder_x
      - .offset:         76
        .size:           2
        .value_kind:     hidden_remainder_y
      - .offset:         78
        .size:           2
        .value_kind:     hidden_remainder_z
      - .offset:         96
        .size:           8
        .value_kind:     hidden_global_offset_x
      - .offset:         104
        .size:           8
        .value_kind:     hidden_global_offset_y
      - .offset:         112
        .size:           8
        .value_kind:     hidden_global_offset_z
      - .offset:         120
        .size:           2
        .value_kind:     hidden_grid_dims
      - .offset:         176
        .size:           4
        .value_kind:     hidden_dynamic_lds_size
    .group_segment_fixed_size: 0
    .kernarg_segment_align: 8
    .kernarg_segment_size: 312
    .language:       OpenCL C
    .language_version:
      - 2
      - 0
    .max_flat_workgroup_size: 1024
    .name:           _ZN5aiter20topk_softplus_kernelI6__half12hip_bfloat16Dv1_fLb1ELi1EEEvPKT_PKT0_PfPimiiif
    .private_segment_fixed_size: 0
    .sgpr_count:     29
    .sgpr_spill_count: 0
    .symbol:         _ZN5aiter20topk_softplus_kernelI6__half12hip_bfloat16Dv1_fLb1ELi1EEEvPKT_PKT0_PfPimiiif.kd
    .uniform_work_group_size: 1
    .uses_dynamic_stack: false
    .vgpr_count:     13
    .vgpr_spill_count: 0
    .wavefront_size: 64
  - .agpr_count:     0
    .args:
      - .actual_access:  read_only
        .address_space:  global
        .offset:         0
        .size:           8
        .value_kind:     global_buffer
      - .actual_access:  read_only
        .address_space:  global
        .offset:         8
        .size:           8
        .value_kind:     global_buffer
      - .actual_access:  write_only
        .address_space:  global
        .offset:         16
        .size:           8
        .value_kind:     global_buffer
      - .actual_access:  write_only
        .address_space:  global
        .offset:         24
        .size:           8
        .value_kind:     global_buffer
      - .offset:         32
        .size:           8
        .value_kind:     by_value
      - .offset:         40
        .size:           4
        .value_kind:     by_value
      - .offset:         44
        .size:           4
        .value_kind:     by_value
      - .offset:         48
        .size:           4
        .value_kind:     by_value
      - .offset:         52
        .size:           4
        .value_kind:     by_value
      - .offset:         56
        .size:           4
        .value_kind:     hidden_block_count_x
      - .offset:         60
        .size:           4
        .value_kind:     hidden_block_count_y
      - .offset:         64
        .size:           4
        .value_kind:     hidden_block_count_z
      - .offset:         68
        .size:           2
        .value_kind:     hidden_group_size_x
      - .offset:         70
        .size:           2
        .value_kind:     hidden_group_size_y
      - .offset:         72
        .size:           2
        .value_kind:     hidden_group_size_z
      - .offset:         74
        .size:           2
        .value_kind:     hidden_remainder_x
      - .offset:         76
        .size:           2
        .value_kind:     hidden_remainder_y
      - .offset:         78
        .size:           2
        .value_kind:     hidden_remainder_z
      - .offset:         96
        .size:           8
        .value_kind:     hidden_global_offset_x
      - .offset:         104
        .size:           8
        .value_kind:     hidden_global_offset_y
      - .offset:         112
        .size:           8
        .value_kind:     hidden_global_offset_z
      - .offset:         120
        .size:           2
        .value_kind:     hidden_grid_dims
      - .offset:         176
        .size:           4
        .value_kind:     hidden_dynamic_lds_size
    .group_segment_fixed_size: 0
    .kernarg_segment_align: 8
    .kernarg_segment_size: 312
    .language:       OpenCL C
    .language_version:
      - 2
      - 0
    .max_flat_workgroup_size: 1024
    .name:           _ZN5aiter20topk_softplus_kernelI6__half12hip_bfloat16Dv1_fLb0ELi1EEEvPKT_PKT0_PfPimiiif
    .private_segment_fixed_size: 0
    .sgpr_count:     29
    .sgpr_spill_count: 0
    .symbol:         _ZN5aiter20topk_softplus_kernelI6__half12hip_bfloat16Dv1_fLb0ELi1EEEvPKT_PKT0_PfPimiiif.kd
    .uniform_work_group_size: 1
    .uses_dynamic_stack: false
    .vgpr_count:     12
    .vgpr_spill_count: 0
    .wavefront_size: 64
  - .agpr_count:     0
    .args:
      - .actual_access:  read_only
        .address_space:  global
        .offset:         0
        .size:           8
        .value_kind:     global_buffer
      - .actual_access:  read_only
        .address_space:  global
        .offset:         8
        .size:           8
        .value_kind:     global_buffer
      - .actual_access:  write_only
        .address_space:  global
        .offset:         16
        .size:           8
        .value_kind:     global_buffer
      - .actual_access:  write_only
        .address_space:  global
        .offset:         24
        .size:           8
        .value_kind:     global_buffer
      - .offset:         32
        .size:           8
        .value_kind:     by_value
      - .offset:         40
        .size:           4
        .value_kind:     by_value
      - .offset:         44
        .size:           4
        .value_kind:     by_value
      - .offset:         48
        .size:           4
        .value_kind:     by_value
      - .offset:         52
        .size:           4
        .value_kind:     by_value
      - .offset:         56
        .size:           4
        .value_kind:     hidden_block_count_x
      - .offset:         60
        .size:           4
        .value_kind:     hidden_block_count_y
      - .offset:         64
        .size:           4
        .value_kind:     hidden_block_count_z
      - .offset:         68
        .size:           2
        .value_kind:     hidden_group_size_x
      - .offset:         70
        .size:           2
        .value_kind:     hidden_group_size_y
      - .offset:         72
        .size:           2
        .value_kind:     hidden_group_size_z
      - .offset:         74
        .size:           2
        .value_kind:     hidden_remainder_x
      - .offset:         76
        .size:           2
        .value_kind:     hidden_remainder_y
      - .offset:         78
        .size:           2
        .value_kind:     hidden_remainder_z
      - .offset:         96
        .size:           8
        .value_kind:     hidden_global_offset_x
      - .offset:         104
        .size:           8
        .value_kind:     hidden_global_offset_y
      - .offset:         112
        .size:           8
        .value_kind:     hidden_global_offset_z
      - .offset:         120
        .size:           2
        .value_kind:     hidden_grid_dims
      - .offset:         176
        .size:           4
        .value_kind:     hidden_dynamic_lds_size
    .group_segment_fixed_size: 0
    .kernarg_segment_align: 8
    .kernarg_segment_size: 312
    .language:       OpenCL C
    .language_version:
      - 2
      - 0
    .max_flat_workgroup_size: 1024
    .name:           _ZN5aiter20topk_softplus_kernelI6__half12hip_bfloat16Dv4_fLb1ELi2EEEvPKT_PKT0_PfPimiiif
    .private_segment_fixed_size: 0
    .sgpr_count:     30
    .sgpr_spill_count: 0
    .symbol:         _ZN5aiter20topk_softplus_kernelI6__half12hip_bfloat16Dv4_fLb1ELi2EEEvPKT_PKT0_PfPimiiif.kd
    .uniform_work_group_size: 1
    .uses_dynamic_stack: false
    .vgpr_count:     21
    .vgpr_spill_count: 0
    .wavefront_size: 64
  - .agpr_count:     0
    .args:
      - .actual_access:  read_only
        .address_space:  global
        .offset:         0
        .size:           8
        .value_kind:     global_buffer
      - .actual_access:  read_only
        .address_space:  global
        .offset:         8
        .size:           8
        .value_kind:     global_buffer
      - .actual_access:  write_only
        .address_space:  global
        .offset:         16
        .size:           8
        .value_kind:     global_buffer
      - .actual_access:  write_only
        .address_space:  global
        .offset:         24
        .size:           8
        .value_kind:     global_buffer
      - .offset:         32
        .size:           8
        .value_kind:     by_value
      - .offset:         40
        .size:           4
        .value_kind:     by_value
      - .offset:         44
        .size:           4
        .value_kind:     by_value
      - .offset:         48
        .size:           4
        .value_kind:     by_value
      - .offset:         52
        .size:           4
        .value_kind:     by_value
      - .offset:         56
        .size:           4
        .value_kind:     hidden_block_count_x
      - .offset:         60
        .size:           4
        .value_kind:     hidden_block_count_y
      - .offset:         64
        .size:           4
        .value_kind:     hidden_block_count_z
      - .offset:         68
        .size:           2
        .value_kind:     hidden_group_size_x
      - .offset:         70
        .size:           2
        .value_kind:     hidden_group_size_y
      - .offset:         72
        .size:           2
        .value_kind:     hidden_group_size_z
      - .offset:         74
        .size:           2
        .value_kind:     hidden_remainder_x
      - .offset:         76
        .size:           2
        .value_kind:     hidden_remainder_y
      - .offset:         78
        .size:           2
        .value_kind:     hidden_remainder_z
      - .offset:         96
        .size:           8
        .value_kind:     hidden_global_offset_x
      - .offset:         104
        .size:           8
        .value_kind:     hidden_global_offset_y
      - .offset:         112
        .size:           8
        .value_kind:     hidden_global_offset_z
      - .offset:         120
        .size:           2
        .value_kind:     hidden_grid_dims
      - .offset:         176
        .size:           4
        .value_kind:     hidden_dynamic_lds_size
    .group_segment_fixed_size: 0
    .kernarg_segment_align: 8
    .kernarg_segment_size: 312
    .language:       OpenCL C
    .language_version:
      - 2
      - 0
    .max_flat_workgroup_size: 1024
    .name:           _ZN5aiter20topk_softplus_kernelI6__half12hip_bfloat16Dv4_fLb0ELi2EEEvPKT_PKT0_PfPimiiif
    .private_segment_fixed_size: 0
    .sgpr_count:     30
    .sgpr_spill_count: 0
    .symbol:         _ZN5aiter20topk_softplus_kernelI6__half12hip_bfloat16Dv4_fLb0ELi2EEEvPKT_PKT0_PfPimiiif.kd
    .uniform_work_group_size: 1
    .uses_dynamic_stack: false
    .vgpr_count:     20
    .vgpr_spill_count: 0
    .wavefront_size: 64
  - .agpr_count:     0
    .args:
      - .actual_access:  read_only
        .address_space:  global
        .offset:         0
        .size:           8
        .value_kind:     global_buffer
      - .actual_access:  read_only
        .address_space:  global
        .offset:         8
        .size:           8
        .value_kind:     global_buffer
      - .actual_access:  write_only
        .address_space:  global
        .offset:         16
        .size:           8
        .value_kind:     global_buffer
      - .actual_access:  write_only
        .address_space:  global
        .offset:         24
        .size:           8
        .value_kind:     global_buffer
      - .offset:         32
        .size:           8
        .value_kind:     by_value
      - .offset:         40
        .size:           4
        .value_kind:     by_value
      - .offset:         44
        .size:           4
        .value_kind:     by_value
      - .offset:         48
        .size:           4
        .value_kind:     by_value
      - .offset:         52
        .size:           4
        .value_kind:     by_value
      - .offset:         56
        .size:           4
        .value_kind:     hidden_block_count_x
      - .offset:         60
        .size:           4
        .value_kind:     hidden_block_count_y
      - .offset:         64
        .size:           4
        .value_kind:     hidden_block_count_z
      - .offset:         68
        .size:           2
        .value_kind:     hidden_group_size_x
      - .offset:         70
        .size:           2
        .value_kind:     hidden_group_size_y
      - .offset:         72
        .size:           2
        .value_kind:     hidden_group_size_z
      - .offset:         74
        .size:           2
        .value_kind:     hidden_remainder_x
      - .offset:         76
        .size:           2
        .value_kind:     hidden_remainder_y
      - .offset:         78
        .size:           2
        .value_kind:     hidden_remainder_z
      - .offset:         96
        .size:           8
        .value_kind:     hidden_global_offset_x
      - .offset:         104
        .size:           8
        .value_kind:     hidden_global_offset_y
      - .offset:         112
        .size:           8
        .value_kind:     hidden_global_offset_z
      - .offset:         120
        .size:           2
        .value_kind:     hidden_grid_dims
      - .offset:         176
        .size:           4
        .value_kind:     hidden_dynamic_lds_size
    .group_segment_fixed_size: 0
    .kernarg_segment_align: 8
    .kernarg_segment_size: 312
    .language:       OpenCL C
    .language_version:
      - 2
      - 0
    .max_flat_workgroup_size: 1024
    .name:           _ZN5aiter20topk_softplus_kernelI6__half12hip_bfloat16Dv2_fLb1ELi2EEEvPKT_PKT0_PfPimiiif
    .private_segment_fixed_size: 0
    .sgpr_count:     30
    .sgpr_spill_count: 0
    .symbol:         _ZN5aiter20topk_softplus_kernelI6__half12hip_bfloat16Dv2_fLb1ELi2EEEvPKT_PKT0_PfPimiiif.kd
    .uniform_work_group_size: 1
    .uses_dynamic_stack: false
    .vgpr_count:     17
    .vgpr_spill_count: 0
    .wavefront_size: 64
  - .agpr_count:     0
    .args:
      - .actual_access:  read_only
        .address_space:  global
        .offset:         0
        .size:           8
        .value_kind:     global_buffer
      - .actual_access:  read_only
        .address_space:  global
        .offset:         8
        .size:           8
        .value_kind:     global_buffer
      - .actual_access:  write_only
        .address_space:  global
        .offset:         16
        .size:           8
        .value_kind:     global_buffer
      - .actual_access:  write_only
        .address_space:  global
        .offset:         24
        .size:           8
        .value_kind:     global_buffer
      - .offset:         32
        .size:           8
        .value_kind:     by_value
      - .offset:         40
        .size:           4
        .value_kind:     by_value
      - .offset:         44
        .size:           4
        .value_kind:     by_value
      - .offset:         48
        .size:           4
        .value_kind:     by_value
      - .offset:         52
        .size:           4
        .value_kind:     by_value
      - .offset:         56
        .size:           4
        .value_kind:     hidden_block_count_x
      - .offset:         60
        .size:           4
        .value_kind:     hidden_block_count_y
      - .offset:         64
        .size:           4
        .value_kind:     hidden_block_count_z
      - .offset:         68
        .size:           2
        .value_kind:     hidden_group_size_x
      - .offset:         70
        .size:           2
        .value_kind:     hidden_group_size_y
      - .offset:         72
        .size:           2
        .value_kind:     hidden_group_size_z
      - .offset:         74
        .size:           2
        .value_kind:     hidden_remainder_x
      - .offset:         76
        .size:           2
        .value_kind:     hidden_remainder_y
      - .offset:         78
        .size:           2
        .value_kind:     hidden_remainder_z
      - .offset:         96
        .size:           8
        .value_kind:     hidden_global_offset_x
      - .offset:         104
        .size:           8
        .value_kind:     hidden_global_offset_y
      - .offset:         112
        .size:           8
        .value_kind:     hidden_global_offset_z
      - .offset:         120
        .size:           2
        .value_kind:     hidden_grid_dims
      - .offset:         176
        .size:           4
        .value_kind:     hidden_dynamic_lds_size
    .group_segment_fixed_size: 0
    .kernarg_segment_align: 8
    .kernarg_segment_size: 312
    .language:       OpenCL C
    .language_version:
      - 2
      - 0
    .max_flat_workgroup_size: 1024
    .name:           _ZN5aiter20topk_softplus_kernelI6__half12hip_bfloat16Dv2_fLb0ELi2EEEvPKT_PKT0_PfPimiiif
    .private_segment_fixed_size: 0
    .sgpr_count:     30
    .sgpr_spill_count: 0
    .symbol:         _ZN5aiter20topk_softplus_kernelI6__half12hip_bfloat16Dv2_fLb0ELi2EEEvPKT_PKT0_PfPimiiif.kd
    .uniform_work_group_size: 1
    .uses_dynamic_stack: false
    .vgpr_count:     16
    .vgpr_spill_count: 0
    .wavefront_size: 64
  - .agpr_count:     0
    .args:
      - .actual_access:  read_only
        .address_space:  global
        .offset:         0
        .size:           8
        .value_kind:     global_buffer
      - .actual_access:  read_only
        .address_space:  global
        .offset:         8
        .size:           8
        .value_kind:     global_buffer
      - .actual_access:  write_only
        .address_space:  global
        .offset:         16
        .size:           8
        .value_kind:     global_buffer
      - .actual_access:  write_only
        .address_space:  global
        .offset:         24
        .size:           8
        .value_kind:     global_buffer
      - .offset:         32
        .size:           8
        .value_kind:     by_value
      - .offset:         40
        .size:           4
        .value_kind:     by_value
      - .offset:         44
        .size:           4
        .value_kind:     by_value
      - .offset:         48
        .size:           4
        .value_kind:     by_value
      - .offset:         52
        .size:           4
        .value_kind:     by_value
      - .offset:         56
        .size:           4
        .value_kind:     hidden_block_count_x
      - .offset:         60
        .size:           4
        .value_kind:     hidden_block_count_y
      - .offset:         64
        .size:           4
        .value_kind:     hidden_block_count_z
      - .offset:         68
        .size:           2
        .value_kind:     hidden_group_size_x
      - .offset:         70
        .size:           2
        .value_kind:     hidden_group_size_y
      - .offset:         72
        .size:           2
        .value_kind:     hidden_group_size_z
      - .offset:         74
        .size:           2
        .value_kind:     hidden_remainder_x
      - .offset:         76
        .size:           2
        .value_kind:     hidden_remainder_y
      - .offset:         78
        .size:           2
        .value_kind:     hidden_remainder_z
      - .offset:         96
        .size:           8
        .value_kind:     hidden_global_offset_x
      - .offset:         104
        .size:           8
        .value_kind:     hidden_global_offset_y
      - .offset:         112
        .size:           8
        .value_kind:     hidden_global_offset_z
      - .offset:         120
        .size:           2
        .value_kind:     hidden_grid_dims
      - .offset:         176
        .size:           4
        .value_kind:     hidden_dynamic_lds_size
    .group_segment_fixed_size: 0
    .kernarg_segment_align: 8
    .kernarg_segment_size: 312
    .language:       OpenCL C
    .language_version:
      - 2
      - 0
    .max_flat_workgroup_size: 1024
    .name:           _ZN5aiter20topk_softplus_kernelI6__half12hip_bfloat16Dv1_fLb1ELi2EEEvPKT_PKT0_PfPimiiif
    .private_segment_fixed_size: 0
    .sgpr_count:     28
    .sgpr_spill_count: 0
    .symbol:         _ZN5aiter20topk_softplus_kernelI6__half12hip_bfloat16Dv1_fLb1ELi2EEEvPKT_PKT0_PfPimiiif.kd
    .uniform_work_group_size: 1
    .uses_dynamic_stack: false
    .vgpr_count:     13
    .vgpr_spill_count: 0
    .wavefront_size: 64
  - .agpr_count:     0
    .args:
      - .actual_access:  read_only
        .address_space:  global
        .offset:         0
        .size:           8
        .value_kind:     global_buffer
      - .actual_access:  read_only
        .address_space:  global
        .offset:         8
        .size:           8
        .value_kind:     global_buffer
      - .actual_access:  write_only
        .address_space:  global
        .offset:         16
        .size:           8
        .value_kind:     global_buffer
      - .actual_access:  write_only
        .address_space:  global
        .offset:         24
        .size:           8
        .value_kind:     global_buffer
      - .offset:         32
        .size:           8
        .value_kind:     by_value
      - .offset:         40
        .size:           4
        .value_kind:     by_value
      - .offset:         44
        .size:           4
        .value_kind:     by_value
      - .offset:         48
        .size:           4
        .value_kind:     by_value
      - .offset:         52
        .size:           4
        .value_kind:     by_value
      - .offset:         56
        .size:           4
        .value_kind:     hidden_block_count_x
      - .offset:         60
        .size:           4
        .value_kind:     hidden_block_count_y
      - .offset:         64
        .size:           4
        .value_kind:     hidden_block_count_z
      - .offset:         68
        .size:           2
        .value_kind:     hidden_group_size_x
      - .offset:         70
        .size:           2
        .value_kind:     hidden_group_size_y
      - .offset:         72
        .size:           2
        .value_kind:     hidden_group_size_z
      - .offset:         74
        .size:           2
        .value_kind:     hidden_remainder_x
      - .offset:         76
        .size:           2
        .value_kind:     hidden_remainder_y
      - .offset:         78
        .size:           2
        .value_kind:     hidden_remainder_z
      - .offset:         96
        .size:           8
        .value_kind:     hidden_global_offset_x
      - .offset:         104
        .size:           8
        .value_kind:     hidden_global_offset_y
      - .offset:         112
        .size:           8
        .value_kind:     hidden_global_offset_z
      - .offset:         120
        .size:           2
        .value_kind:     hidden_grid_dims
      - .offset:         176
        .size:           4
        .value_kind:     hidden_dynamic_lds_size
    .group_segment_fixed_size: 0
    .kernarg_segment_align: 8
    .kernarg_segment_size: 312
    .language:       OpenCL C
    .language_version:
      - 2
      - 0
    .max_flat_workgroup_size: 1024
    .name:           _ZN5aiter20topk_softplus_kernelI6__half12hip_bfloat16Dv1_fLb0ELi2EEEvPKT_PKT0_PfPimiiif
    .private_segment_fixed_size: 0
    .sgpr_count:     28
    .sgpr_spill_count: 0
    .symbol:         _ZN5aiter20topk_softplus_kernelI6__half12hip_bfloat16Dv1_fLb0ELi2EEEvPKT_PKT0_PfPimiiif.kd
    .uniform_work_group_size: 1
    .uses_dynamic_stack: false
    .vgpr_count:     12
    .vgpr_spill_count: 0
    .wavefront_size: 64
  - .agpr_count:     0
    .args:
      - .actual_access:  read_only
        .address_space:  global
        .offset:         0
        .size:           8
        .value_kind:     global_buffer
      - .actual_access:  read_only
        .address_space:  global
        .offset:         8
        .size:           8
        .value_kind:     global_buffer
      - .actual_access:  write_only
        .address_space:  global
        .offset:         16
        .size:           8
        .value_kind:     global_buffer
      - .actual_access:  write_only
        .address_space:  global
        .offset:         24
        .size:           8
        .value_kind:     global_buffer
      - .offset:         32
        .size:           8
        .value_kind:     by_value
      - .offset:         40
        .size:           4
        .value_kind:     by_value
      - .offset:         44
        .size:           4
        .value_kind:     by_value
      - .offset:         48
        .size:           4
        .value_kind:     by_value
    .group_segment_fixed_size: 0
    .kernarg_segment_align: 8
    .kernarg_segment_size: 52
    .language:       OpenCL C
    .language_version:
      - 2
      - 0
    .max_flat_workgroup_size: 1024
    .name:           _ZN5aiter24topk_softplus_kernel_optI6__half12hip_bfloat16Li64ELb1ELi0EEEvPKT_PKT0_PfPimiif
    .private_segment_fixed_size: 0
    .sgpr_count:     17
    .sgpr_spill_count: 0
    .symbol:         _ZN5aiter24topk_softplus_kernel_optI6__half12hip_bfloat16Li64ELb1ELi0EEEvPKT_PKT0_PfPimiif.kd
    .uniform_work_group_size: 1
    .uses_dynamic_stack: false
    .vgpr_count:     13
    .vgpr_spill_count: 0
    .wavefront_size: 64
  - .agpr_count:     0
    .args:
      - .actual_access:  read_only
        .address_space:  global
        .offset:         0
        .size:           8
        .value_kind:     global_buffer
      - .actual_access:  read_only
        .address_space:  global
        .offset:         8
        .size:           8
        .value_kind:     global_buffer
      - .actual_access:  write_only
        .address_space:  global
        .offset:         16
        .size:           8
        .value_kind:     global_buffer
      - .actual_access:  write_only
        .address_space:  global
        .offset:         24
        .size:           8
        .value_kind:     global_buffer
      - .offset:         32
        .size:           8
        .value_kind:     by_value
      - .offset:         40
        .size:           4
        .value_kind:     by_value
      - .offset:         44
        .size:           4
        .value_kind:     by_value
      - .offset:         48
        .size:           4
        .value_kind:     by_value
    .group_segment_fixed_size: 0
    .kernarg_segment_align: 8
    .kernarg_segment_size: 52
    .language:       OpenCL C
    .language_version:
      - 2
      - 0
    .max_flat_workgroup_size: 1024
    .name:           _ZN5aiter24topk_softplus_kernel_optI6__half12hip_bfloat16Li64ELb0ELi0EEEvPKT_PKT0_PfPimiif
    .private_segment_fixed_size: 0
    .sgpr_count:     17
    .sgpr_spill_count: 0
    .symbol:         _ZN5aiter24topk_softplus_kernel_optI6__half12hip_bfloat16Li64ELb0ELi0EEEvPKT_PKT0_PfPimiif.kd
    .uniform_work_group_size: 1
    .uses_dynamic_stack: false
    .vgpr_count:     12
    .vgpr_spill_count: 0
    .wavefront_size: 64
  - .agpr_count:     0
    .args:
      - .actual_access:  read_only
        .address_space:  global
        .offset:         0
        .size:           8
        .value_kind:     global_buffer
      - .actual_access:  read_only
        .address_space:  global
        .offset:         8
        .size:           8
        .value_kind:     global_buffer
      - .actual_access:  write_only
        .address_space:  global
        .offset:         16
        .size:           8
        .value_kind:     global_buffer
      - .actual_access:  write_only
        .address_space:  global
        .offset:         24
        .size:           8
        .value_kind:     global_buffer
      - .offset:         32
        .size:           8
        .value_kind:     by_value
      - .offset:         40
        .size:           4
        .value_kind:     by_value
      - .offset:         44
        .size:           4
        .value_kind:     by_value
      - .offset:         48
        .size:           4
        .value_kind:     by_value
    .group_segment_fixed_size: 0
    .kernarg_segment_align: 8
    .kernarg_segment_size: 52
    .language:       OpenCL C
    .language_version:
      - 2
      - 0
    .max_flat_workgroup_size: 1024
    .name:           _ZN5aiter24topk_softplus_kernel_optI6__half12hip_bfloat16Li128ELb1ELi0EEEvPKT_PKT0_PfPimiif
    .private_segment_fixed_size: 0
    .sgpr_count:     20
    .sgpr_spill_count: 0
    .symbol:         _ZN5aiter24topk_softplus_kernel_optI6__half12hip_bfloat16Li128ELb1ELi0EEEvPKT_PKT0_PfPimiif.kd
    .uniform_work_group_size: 1
    .uses_dynamic_stack: false
    .vgpr_count:     20
    .vgpr_spill_count: 0
    .wavefront_size: 64
  - .agpr_count:     0
    .args:
      - .actual_access:  read_only
        .address_space:  global
        .offset:         0
        .size:           8
        .value_kind:     global_buffer
      - .actual_access:  read_only
        .address_space:  global
        .offset:         8
        .size:           8
        .value_kind:     global_buffer
      - .actual_access:  write_only
        .address_space:  global
        .offset:         16
        .size:           8
        .value_kind:     global_buffer
      - .actual_access:  write_only
        .address_space:  global
        .offset:         24
        .size:           8
        .value_kind:     global_buffer
      - .offset:         32
        .size:           8
        .value_kind:     by_value
      - .offset:         40
        .size:           4
        .value_kind:     by_value
      - .offset:         44
        .size:           4
        .value_kind:     by_value
      - .offset:         48
        .size:           4
        .value_kind:     by_value
    .group_segment_fixed_size: 0
    .kernarg_segment_align: 8
    .kernarg_segment_size: 52
    .language:       OpenCL C
    .language_version:
      - 2
      - 0
    .max_flat_workgroup_size: 1024
    .name:           _ZN5aiter24topk_softplus_kernel_optI6__half12hip_bfloat16Li128ELb0ELi0EEEvPKT_PKT0_PfPimiif
    .private_segment_fixed_size: 0
    .sgpr_count:     20
    .sgpr_spill_count: 0
    .symbol:         _ZN5aiter24topk_softplus_kernel_optI6__half12hip_bfloat16Li128ELb0ELi0EEEvPKT_PKT0_PfPimiif.kd
    .uniform_work_group_size: 1
    .uses_dynamic_stack: false
    .vgpr_count:     19
    .vgpr_spill_count: 0
    .wavefront_size: 64
  - .agpr_count:     0
    .args:
      - .actual_access:  read_only
        .address_space:  global
        .offset:         0
        .size:           8
        .value_kind:     global_buffer
      - .actual_access:  read_only
        .address_space:  global
        .offset:         8
        .size:           8
        .value_kind:     global_buffer
      - .actual_access:  write_only
        .address_space:  global
        .offset:         16
        .size:           8
        .value_kind:     global_buffer
      - .actual_access:  write_only
        .address_space:  global
        .offset:         24
        .size:           8
        .value_kind:     global_buffer
      - .offset:         32
        .size:           8
        .value_kind:     by_value
      - .offset:         40
        .size:           4
        .value_kind:     by_value
      - .offset:         44
        .size:           4
        .value_kind:     by_value
      - .offset:         48
        .size:           4
        .value_kind:     by_value
    .group_segment_fixed_size: 0
    .kernarg_segment_align: 8
    .kernarg_segment_size: 52
    .language:       OpenCL C
    .language_version:
      - 2
      - 0
    .max_flat_workgroup_size: 1024
    .name:           _ZN5aiter24topk_softplus_kernel_optI6__half12hip_bfloat16Li256ELb1ELi0EEEvPKT_PKT0_PfPimiif
    .private_segment_fixed_size: 0
    .sgpr_count:     20
    .sgpr_spill_count: 0
    .symbol:         _ZN5aiter24topk_softplus_kernel_optI6__half12hip_bfloat16Li256ELb1ELi0EEEvPKT_PKT0_PfPimiif.kd
    .uniform_work_group_size: 1
    .uses_dynamic_stack: false
    .vgpr_count:     26
    .vgpr_spill_count: 0
    .wavefront_size: 64
  - .agpr_count:     0
    .args:
      - .actual_access:  read_only
        .address_space:  global
        .offset:         0
        .size:           8
        .value_kind:     global_buffer
      - .actual_access:  read_only
        .address_space:  global
        .offset:         8
        .size:           8
        .value_kind:     global_buffer
      - .actual_access:  write_only
        .address_space:  global
        .offset:         16
        .size:           8
        .value_kind:     global_buffer
      - .actual_access:  write_only
        .address_space:  global
        .offset:         24
        .size:           8
        .value_kind:     global_buffer
      - .offset:         32
        .size:           8
        .value_kind:     by_value
      - .offset:         40
        .size:           4
        .value_kind:     by_value
      - .offset:         44
        .size:           4
        .value_kind:     by_value
      - .offset:         48
        .size:           4
        .value_kind:     by_value
    .group_segment_fixed_size: 0
    .kernarg_segment_align: 8
    .kernarg_segment_size: 52
    .language:       OpenCL C
    .language_version:
      - 2
      - 0
    .max_flat_workgroup_size: 1024
    .name:           _ZN5aiter24topk_softplus_kernel_optI6__half12hip_bfloat16Li256ELb0ELi0EEEvPKT_PKT0_PfPimiif
    .private_segment_fixed_size: 0
    .sgpr_count:     20
    .sgpr_spill_count: 0
    .symbol:         _ZN5aiter24topk_softplus_kernel_optI6__half12hip_bfloat16Li256ELb0ELi0EEEvPKT_PKT0_PfPimiif.kd
    .uniform_work_group_size: 1
    .uses_dynamic_stack: false
    .vgpr_count:     25
    .vgpr_spill_count: 0
    .wavefront_size: 64
  - .agpr_count:     0
    .args:
      - .actual_access:  read_only
        .address_space:  global
        .offset:         0
        .size:           8
        .value_kind:     global_buffer
      - .actual_access:  read_only
        .address_space:  global
        .offset:         8
        .size:           8
        .value_kind:     global_buffer
      - .actual_access:  write_only
        .address_space:  global
        .offset:         16
        .size:           8
        .value_kind:     global_buffer
      - .actual_access:  write_only
        .address_space:  global
        .offset:         24
        .size:           8
        .value_kind:     global_buffer
      - .offset:         32
        .size:           8
        .value_kind:     by_value
      - .offset:         40
        .size:           4
        .value_kind:     by_value
      - .offset:         44
        .size:           4
        .value_kind:     by_value
      - .offset:         48
        .size:           4
        .value_kind:     by_value
    .group_segment_fixed_size: 0
    .kernarg_segment_align: 8
    .kernarg_segment_size: 52
    .language:       OpenCL C
    .language_version:
      - 2
      - 0
    .max_flat_workgroup_size: 1024
    .name:           _ZN5aiter24topk_softplus_kernel_optI6__half12hip_bfloat16Li384ELb1ELi0EEEvPKT_PKT0_PfPimiif
    .private_segment_fixed_size: 0
    .sgpr_count:     26
    .sgpr_spill_count: 0
    .symbol:         _ZN5aiter24topk_softplus_kernel_optI6__half12hip_bfloat16Li384ELb1ELi0EEEvPKT_PKT0_PfPimiif.kd
    .uniform_work_group_size: 1
    .uses_dynamic_stack: false
    .vgpr_count:     29
    .vgpr_spill_count: 0
    .wavefront_size: 64
  - .agpr_count:     0
    .args:
      - .actual_access:  read_only
        .address_space:  global
        .offset:         0
        .size:           8
        .value_kind:     global_buffer
      - .actual_access:  read_only
        .address_space:  global
        .offset:         8
        .size:           8
        .value_kind:     global_buffer
      - .actual_access:  write_only
        .address_space:  global
        .offset:         16
        .size:           8
        .value_kind:     global_buffer
      - .actual_access:  write_only
        .address_space:  global
        .offset:         24
        .size:           8
        .value_kind:     global_buffer
      - .offset:         32
        .size:           8
        .value_kind:     by_value
      - .offset:         40
        .size:           4
        .value_kind:     by_value
      - .offset:         44
        .size:           4
        .value_kind:     by_value
      - .offset:         48
        .size:           4
        .value_kind:     by_value
    .group_segment_fixed_size: 0
    .kernarg_segment_align: 8
    .kernarg_segment_size: 52
    .language:       OpenCL C
    .language_version:
      - 2
      - 0
    .max_flat_workgroup_size: 1024
    .name:           _ZN5aiter24topk_softplus_kernel_optI6__half12hip_bfloat16Li384ELb0ELi0EEEvPKT_PKT0_PfPimiif
    .private_segment_fixed_size: 0
    .sgpr_count:     26
    .sgpr_spill_count: 0
    .symbol:         _ZN5aiter24topk_softplus_kernel_optI6__half12hip_bfloat16Li384ELb0ELi0EEEvPKT_PKT0_PfPimiif.kd
    .uniform_work_group_size: 1
    .uses_dynamic_stack: false
    .vgpr_count:     28
    .vgpr_spill_count: 0
    .wavefront_size: 64
  - .agpr_count:     0
    .args:
      - .actual_access:  read_only
        .address_space:  global
        .offset:         0
        .size:           8
        .value_kind:     global_buffer
      - .actual_access:  read_only
        .address_space:  global
        .offset:         8
        .size:           8
        .value_kind:     global_buffer
      - .actual_access:  write_only
        .address_space:  global
        .offset:         16
        .size:           8
        .value_kind:     global_buffer
      - .actual_access:  write_only
        .address_space:  global
        .offset:         24
        .size:           8
        .value_kind:     global_buffer
      - .offset:         32
        .size:           8
        .value_kind:     by_value
      - .offset:         40
        .size:           4
        .value_kind:     by_value
      - .offset:         44
        .size:           4
        .value_kind:     by_value
      - .offset:         48
        .size:           4
        .value_kind:     by_value
      - .offset:         52
        .size:           4
        .value_kind:     by_value
      - .offset:         56
        .size:           4
        .value_kind:     hidden_block_count_x
      - .offset:         60
        .size:           4
        .value_kind:     hidden_block_count_y
      - .offset:         64
        .size:           4
        .value_kind:     hidden_block_count_z
      - .offset:         68
        .size:           2
        .value_kind:     hidden_group_size_x
      - .offset:         70
        .size:           2
        .value_kind:     hidden_group_size_y
      - .offset:         72
        .size:           2
        .value_kind:     hidden_group_size_z
      - .offset:         74
        .size:           2
        .value_kind:     hidden_remainder_x
      - .offset:         76
        .size:           2
        .value_kind:     hidden_remainder_y
      - .offset:         78
        .size:           2
        .value_kind:     hidden_remainder_z
      - .offset:         96
        .size:           8
        .value_kind:     hidden_global_offset_x
      - .offset:         104
        .size:           8
        .value_kind:     hidden_global_offset_y
      - .offset:         112
        .size:           8
        .value_kind:     hidden_global_offset_z
      - .offset:         120
        .size:           2
        .value_kind:     hidden_grid_dims
      - .offset:         176
        .size:           4
        .value_kind:     hidden_dynamic_lds_size
    .group_segment_fixed_size: 0
    .kernarg_segment_align: 8
    .kernarg_segment_size: 312
    .language:       OpenCL C
    .language_version:
      - 2
      - 0
    .max_flat_workgroup_size: 1024
    .name:           _ZN5aiter20topk_softplus_kernelI6__half12hip_bfloat16Dv4_fLb1ELi0EEEvPKT_PKT0_PfPimiiif
    .private_segment_fixed_size: 0
    .sgpr_count:     49
    .sgpr_spill_count: 0
    .symbol:         _ZN5aiter20topk_softplus_kernelI6__half12hip_bfloat16Dv4_fLb1ELi0EEEvPKT_PKT0_PfPimiiif.kd
    .uniform_work_group_size: 1
    .uses_dynamic_stack: false
    .vgpr_count:     25
    .vgpr_spill_count: 0
    .wavefront_size: 64
  - .agpr_count:     0
    .args:
      - .actual_access:  read_only
        .address_space:  global
        .offset:         0
        .size:           8
        .value_kind:     global_buffer
      - .actual_access:  read_only
        .address_space:  global
        .offset:         8
        .size:           8
        .value_kind:     global_buffer
      - .actual_access:  write_only
        .address_space:  global
        .offset:         16
        .size:           8
        .value_kind:     global_buffer
      - .actual_access:  write_only
        .address_space:  global
        .offset:         24
        .size:           8
        .value_kind:     global_buffer
      - .offset:         32
        .size:           8
        .value_kind:     by_value
      - .offset:         40
        .size:           4
        .value_kind:     by_value
      - .offset:         44
        .size:           4
        .value_kind:     by_value
      - .offset:         48
        .size:           4
        .value_kind:     by_value
      - .offset:         52
        .size:           4
        .value_kind:     by_value
      - .offset:         56
        .size:           4
        .value_kind:     hidden_block_count_x
      - .offset:         60
        .size:           4
        .value_kind:     hidden_block_count_y
      - .offset:         64
        .size:           4
        .value_kind:     hidden_block_count_z
      - .offset:         68
        .size:           2
        .value_kind:     hidden_group_size_x
      - .offset:         70
        .size:           2
        .value_kind:     hidden_group_size_y
      - .offset:         72
        .size:           2
        .value_kind:     hidden_group_size_z
      - .offset:         74
        .size:           2
        .value_kind:     hidden_remainder_x
      - .offset:         76
        .size:           2
        .value_kind:     hidden_remainder_y
      - .offset:         78
        .size:           2
        .value_kind:     hidden_remainder_z
      - .offset:         96
        .size:           8
        .value_kind:     hidden_global_offset_x
      - .offset:         104
        .size:           8
        .value_kind:     hidden_global_offset_y
      - .offset:         112
        .size:           8
        .value_kind:     hidden_global_offset_z
      - .offset:         120
        .size:           2
        .value_kind:     hidden_grid_dims
      - .offset:         176
        .size:           4
        .value_kind:     hidden_dynamic_lds_size
    .group_segment_fixed_size: 0
    .kernarg_segment_align: 8
    .kernarg_segment_size: 312
    .language:       OpenCL C
    .language_version:
      - 2
      - 0
    .max_flat_workgroup_size: 1024
    .name:           _ZN5aiter20topk_softplus_kernelI6__half12hip_bfloat16Dv4_fLb0ELi0EEEvPKT_PKT0_PfPimiiif
    .private_segment_fixed_size: 0
    .sgpr_count:     49
    .sgpr_spill_count: 0
    .symbol:         _ZN5aiter20topk_softplus_kernelI6__half12hip_bfloat16Dv4_fLb0ELi0EEEvPKT_PKT0_PfPimiiif.kd
    .uniform_work_group_size: 1
    .uses_dynamic_stack: false
    .vgpr_count:     25
    .vgpr_spill_count: 0
    .wavefront_size: 64
  - .agpr_count:     0
    .args:
      - .actual_access:  read_only
        .address_space:  global
        .offset:         0
        .size:           8
        .value_kind:     global_buffer
      - .actual_access:  read_only
        .address_space:  global
        .offset:         8
        .size:           8
        .value_kind:     global_buffer
      - .actual_access:  write_only
        .address_space:  global
        .offset:         16
        .size:           8
        .value_kind:     global_buffer
      - .actual_access:  write_only
        .address_space:  global
        .offset:         24
        .size:           8
        .value_kind:     global_buffer
      - .offset:         32
        .size:           8
        .value_kind:     by_value
      - .offset:         40
        .size:           4
        .value_kind:     by_value
      - .offset:         44
        .size:           4
        .value_kind:     by_value
      - .offset:         48
        .size:           4
        .value_kind:     by_value
      - .offset:         52
        .size:           4
        .value_kind:     by_value
      - .offset:         56
        .size:           4
        .value_kind:     hidden_block_count_x
      - .offset:         60
        .size:           4
        .value_kind:     hidden_block_count_y
      - .offset:         64
        .size:           4
        .value_kind:     hidden_block_count_z
      - .offset:         68
        .size:           2
        .value_kind:     hidden_group_size_x
      - .offset:         70
        .size:           2
        .value_kind:     hidden_group_size_y
      - .offset:         72
        .size:           2
        .value_kind:     hidden_group_size_z
      - .offset:         74
        .size:           2
        .value_kind:     hidden_remainder_x
      - .offset:         76
        .size:           2
        .value_kind:     hidden_remainder_y
      - .offset:         78
        .size:           2
        .value_kind:     hidden_remainder_z
      - .offset:         96
        .size:           8
        .value_kind:     hidden_global_offset_x
      - .offset:         104
        .size:           8
        .value_kind:     hidden_global_offset_y
      - .offset:         112
        .size:           8
        .value_kind:     hidden_global_offset_z
      - .offset:         120
        .size:           2
        .value_kind:     hidden_grid_dims
      - .offset:         176
        .size:           4
        .value_kind:     hidden_dynamic_lds_size
    .group_segment_fixed_size: 0
    .kernarg_segment_align: 8
    .kernarg_segment_size: 312
    .language:       OpenCL C
    .language_version:
      - 2
      - 0
    .max_flat_workgroup_size: 1024
    .name:           _ZN5aiter20topk_softplus_kernelI6__half12hip_bfloat16Dv2_fLb1ELi0EEEvPKT_PKT0_PfPimiiif
    .private_segment_fixed_size: 0
    .sgpr_count:     39
    .sgpr_spill_count: 0
    .symbol:         _ZN5aiter20topk_softplus_kernelI6__half12hip_bfloat16Dv2_fLb1ELi0EEEvPKT_PKT0_PfPimiiif.kd
    .uniform_work_group_size: 1
    .uses_dynamic_stack: false
    .vgpr_count:     20
    .vgpr_spill_count: 0
    .wavefront_size: 64
  - .agpr_count:     0
    .args:
      - .actual_access:  read_only
        .address_space:  global
        .offset:         0
        .size:           8
        .value_kind:     global_buffer
      - .actual_access:  read_only
        .address_space:  global
        .offset:         8
        .size:           8
        .value_kind:     global_buffer
      - .actual_access:  write_only
        .address_space:  global
        .offset:         16
        .size:           8
        .value_kind:     global_buffer
      - .actual_access:  write_only
        .address_space:  global
        .offset:         24
        .size:           8
        .value_kind:     global_buffer
      - .offset:         32
        .size:           8
        .value_kind:     by_value
      - .offset:         40
        .size:           4
        .value_kind:     by_value
      - .offset:         44
        .size:           4
        .value_kind:     by_value
      - .offset:         48
        .size:           4
        .value_kind:     by_value
      - .offset:         52
        .size:           4
        .value_kind:     by_value
      - .offset:         56
        .size:           4
        .value_kind:     hidden_block_count_x
      - .offset:         60
        .size:           4
        .value_kind:     hidden_block_count_y
      - .offset:         64
        .size:           4
        .value_kind:     hidden_block_count_z
      - .offset:         68
        .size:           2
        .value_kind:     hidden_group_size_x
      - .offset:         70
        .size:           2
        .value_kind:     hidden_group_size_y
      - .offset:         72
        .size:           2
        .value_kind:     hidden_group_size_z
      - .offset:         74
        .size:           2
        .value_kind:     hidden_remainder_x
      - .offset:         76
        .size:           2
        .value_kind:     hidden_remainder_y
      - .offset:         78
        .size:           2
        .value_kind:     hidden_remainder_z
      - .offset:         96
        .size:           8
        .value_kind:     hidden_global_offset_x
      - .offset:         104
        .size:           8
        .value_kind:     hidden_global_offset_y
      - .offset:         112
        .size:           8
        .value_kind:     hidden_global_offset_z
      - .offset:         120
        .size:           2
        .value_kind:     hidden_grid_dims
      - .offset:         176
        .size:           4
        .value_kind:     hidden_dynamic_lds_size
    .group_segment_fixed_size: 0
    .kernarg_segment_align: 8
    .kernarg_segment_size: 312
    .language:       OpenCL C
    .language_version:
      - 2
      - 0
    .max_flat_workgroup_size: 1024
    .name:           _ZN5aiter20topk_softplus_kernelI6__half12hip_bfloat16Dv2_fLb0ELi0EEEvPKT_PKT0_PfPimiiif
    .private_segment_fixed_size: 0
    .sgpr_count:     39
    .sgpr_spill_count: 0
    .symbol:         _ZN5aiter20topk_softplus_kernelI6__half12hip_bfloat16Dv2_fLb0ELi0EEEvPKT_PKT0_PfPimiiif.kd
    .uniform_work_group_size: 1
    .uses_dynamic_stack: false
    .vgpr_count:     20
    .vgpr_spill_count: 0
    .wavefront_size: 64
  - .agpr_count:     0
    .args:
      - .actual_access:  read_only
        .address_space:  global
        .offset:         0
        .size:           8
        .value_kind:     global_buffer
      - .actual_access:  read_only
        .address_space:  global
        .offset:         8
        .size:           8
        .value_kind:     global_buffer
      - .actual_access:  write_only
        .address_space:  global
        .offset:         16
        .size:           8
        .value_kind:     global_buffer
      - .actual_access:  write_only
        .address_space:  global
        .offset:         24
        .size:           8
        .value_kind:     global_buffer
      - .offset:         32
        .size:           8
        .value_kind:     by_value
      - .offset:         40
        .size:           4
        .value_kind:     by_value
      - .offset:         44
        .size:           4
        .value_kind:     by_value
      - .offset:         48
        .size:           4
        .value_kind:     by_value
      - .offset:         52
        .size:           4
        .value_kind:     by_value
      - .offset:         56
        .size:           4
        .value_kind:     hidden_block_count_x
      - .offset:         60
        .size:           4
        .value_kind:     hidden_block_count_y
      - .offset:         64
        .size:           4
        .value_kind:     hidden_block_count_z
      - .offset:         68
        .size:           2
        .value_kind:     hidden_group_size_x
      - .offset:         70
        .size:           2
        .value_kind:     hidden_group_size_y
      - .offset:         72
        .size:           2
        .value_kind:     hidden_group_size_z
      - .offset:         74
        .size:           2
        .value_kind:     hidden_remainder_x
      - .offset:         76
        .size:           2
        .value_kind:     hidden_remainder_y
      - .offset:         78
        .size:           2
        .value_kind:     hidden_remainder_z
      - .offset:         96
        .size:           8
        .value_kind:     hidden_global_offset_x
      - .offset:         104
        .size:           8
        .value_kind:     hidden_global_offset_y
      - .offset:         112
        .size:           8
        .value_kind:     hidden_global_offset_z
      - .offset:         120
        .size:           2
        .value_kind:     hidden_grid_dims
      - .offset:         176
        .size:           4
        .value_kind:     hidden_dynamic_lds_size
    .group_segment_fixed_size: 0
    .kernarg_segment_align: 8
    .kernarg_segment_size: 312
    .language:       OpenCL C
    .language_version:
      - 2
      - 0
    .max_flat_workgroup_size: 1024
    .name:           _ZN5aiter20topk_softplus_kernelI6__half12hip_bfloat16Dv1_fLb1ELi0EEEvPKT_PKT0_PfPimiiif
    .private_segment_fixed_size: 0
    .sgpr_count:     36
    .sgpr_spill_count: 0
    .symbol:         _ZN5aiter20topk_softplus_kernelI6__half12hip_bfloat16Dv1_fLb1ELi0EEEvPKT_PKT0_PfPimiiif.kd
    .uniform_work_group_size: 1
    .uses_dynamic_stack: false
    .vgpr_count:     18
    .vgpr_spill_count: 0
    .wavefront_size: 64
  - .agpr_count:     0
    .args:
      - .actual_access:  read_only
        .address_space:  global
        .offset:         0
        .size:           8
        .value_kind:     global_buffer
      - .actual_access:  read_only
        .address_space:  global
        .offset:         8
        .size:           8
        .value_kind:     global_buffer
      - .actual_access:  write_only
        .address_space:  global
        .offset:         16
        .size:           8
        .value_kind:     global_buffer
      - .actual_access:  write_only
        .address_space:  global
        .offset:         24
        .size:           8
        .value_kind:     global_buffer
      - .offset:         32
        .size:           8
        .value_kind:     by_value
      - .offset:         40
        .size:           4
        .value_kind:     by_value
      - .offset:         44
        .size:           4
        .value_kind:     by_value
      - .offset:         48
        .size:           4
        .value_kind:     by_value
      - .offset:         52
        .size:           4
        .value_kind:     by_value
      - .offset:         56
        .size:           4
        .value_kind:     hidden_block_count_x
      - .offset:         60
        .size:           4
        .value_kind:     hidden_block_count_y
      - .offset:         64
        .size:           4
        .value_kind:     hidden_block_count_z
      - .offset:         68
        .size:           2
        .value_kind:     hidden_group_size_x
      - .offset:         70
        .size:           2
        .value_kind:     hidden_group_size_y
      - .offset:         72
        .size:           2
        .value_kind:     hidden_group_size_z
      - .offset:         74
        .size:           2
        .value_kind:     hidden_remainder_x
      - .offset:         76
        .size:           2
        .value_kind:     hidden_remainder_y
      - .offset:         78
        .size:           2
        .value_kind:     hidden_remainder_z
      - .offset:         96
        .size:           8
        .value_kind:     hidden_global_offset_x
      - .offset:         104
        .size:           8
        .value_kind:     hidden_global_offset_y
      - .offset:         112
        .size:           8
        .value_kind:     hidden_global_offset_z
      - .offset:         120
        .size:           2
        .value_kind:     hidden_grid_dims
      - .offset:         176
        .size:           4
        .value_kind:     hidden_dynamic_lds_size
    .group_segment_fixed_size: 0
    .kernarg_segment_align: 8
    .kernarg_segment_size: 312
    .language:       OpenCL C
    .language_version:
      - 2
      - 0
    .max_flat_workgroup_size: 1024
    .name:           _ZN5aiter20topk_softplus_kernelI6__half12hip_bfloat16Dv1_fLb0ELi0EEEvPKT_PKT0_PfPimiiif
    .private_segment_fixed_size: 0
    .sgpr_count:     36
    .sgpr_spill_count: 0
    .symbol:         _ZN5aiter20topk_softplus_kernelI6__half12hip_bfloat16Dv1_fLb0ELi0EEEvPKT_PKT0_PfPimiiif.kd
    .uniform_work_group_size: 1
    .uses_dynamic_stack: false
    .vgpr_count:     18
    .vgpr_spill_count: 0
    .wavefront_size: 64
  - .agpr_count:     0
    .args:
      - .actual_access:  read_only
        .address_space:  global
        .offset:         0
        .size:           8
        .value_kind:     global_buffer
      - .actual_access:  read_only
        .address_space:  global
        .offset:         8
        .size:           8
        .value_kind:     global_buffer
      - .actual_access:  write_only
        .address_space:  global
        .offset:         16
        .size:           8
        .value_kind:     global_buffer
      - .actual_access:  write_only
        .address_space:  global
        .offset:         24
        .size:           8
        .value_kind:     global_buffer
      - .offset:         32
        .size:           8
        .value_kind:     by_value
      - .offset:         40
        .size:           4
        .value_kind:     by_value
      - .offset:         44
        .size:           4
        .value_kind:     by_value
      - .offset:         48
        .size:           4
        .value_kind:     by_value
    .group_segment_fixed_size: 0
    .kernarg_segment_align: 8
    .kernarg_segment_size: 52
    .language:       OpenCL C
    .language_version:
      - 2
      - 0
    .max_flat_workgroup_size: 1024
    .name:           _ZN5aiter24topk_softplus_kernel_optI12hip_bfloat16fLi64ELb1ELi1EEEvPKT_PKT0_PfPimiif
    .private_segment_fixed_size: 0
    .sgpr_count:     17
    .sgpr_spill_count: 0
    .symbol:         _ZN5aiter24topk_softplus_kernel_optI12hip_bfloat16fLi64ELb1ELi1EEEvPKT_PKT0_PfPimiif.kd
    .uniform_work_group_size: 1
    .uses_dynamic_stack: false
    .vgpr_count:     14
    .vgpr_spill_count: 0
    .wavefront_size: 64
  - .agpr_count:     0
    .args:
      - .actual_access:  read_only
        .address_space:  global
        .offset:         0
        .size:           8
        .value_kind:     global_buffer
      - .actual_access:  read_only
        .address_space:  global
        .offset:         8
        .size:           8
        .value_kind:     global_buffer
      - .actual_access:  write_only
        .address_space:  global
        .offset:         16
        .size:           8
        .value_kind:     global_buffer
      - .actual_access:  write_only
        .address_space:  global
        .offset:         24
        .size:           8
        .value_kind:     global_buffer
      - .offset:         32
        .size:           8
        .value_kind:     by_value
      - .offset:         40
        .size:           4
        .value_kind:     by_value
      - .offset:         44
        .size:           4
        .value_kind:     by_value
      - .offset:         48
        .size:           4
        .value_kind:     by_value
    .group_segment_fixed_size: 0
    .kernarg_segment_align: 8
    .kernarg_segment_size: 52
    .language:       OpenCL C
    .language_version:
      - 2
      - 0
    .max_flat_workgroup_size: 1024
    .name:           _ZN5aiter24topk_softplus_kernel_optI12hip_bfloat16fLi64ELb0ELi1EEEvPKT_PKT0_PfPimiif
    .private_segment_fixed_size: 0
    .sgpr_count:     17
    .sgpr_spill_count: 0
    .symbol:         _ZN5aiter24topk_softplus_kernel_optI12hip_bfloat16fLi64ELb0ELi1EEEvPKT_PKT0_PfPimiif.kd
    .uniform_work_group_size: 1
    .uses_dynamic_stack: false
    .vgpr_count:     13
    .vgpr_spill_count: 0
    .wavefront_size: 64
  - .agpr_count:     0
    .args:
      - .actual_access:  read_only
        .address_space:  global
        .offset:         0
        .size:           8
        .value_kind:     global_buffer
      - .actual_access:  read_only
        .address_space:  global
        .offset:         8
        .size:           8
        .value_kind:     global_buffer
      - .actual_access:  write_only
        .address_space:  global
        .offset:         16
        .size:           8
        .value_kind:     global_buffer
      - .actual_access:  write_only
        .address_space:  global
        .offset:         24
        .size:           8
        .value_kind:     global_buffer
      - .offset:         32
        .size:           8
        .value_kind:     by_value
      - .offset:         40
        .size:           4
        .value_kind:     by_value
      - .offset:         44
        .size:           4
        .value_kind:     by_value
      - .offset:         48
        .size:           4
        .value_kind:     by_value
    .group_segment_fixed_size: 0
    .kernarg_segment_align: 8
    .kernarg_segment_size: 52
    .language:       OpenCL C
    .language_version:
      - 2
      - 0
    .max_flat_workgroup_size: 1024
    .name:           _ZN5aiter24topk_softplus_kernel_optI12hip_bfloat16fLi128ELb1ELi1EEEvPKT_PKT0_PfPimiif
    .private_segment_fixed_size: 0
    .sgpr_count:     17
    .sgpr_spill_count: 0
    .symbol:         _ZN5aiter24topk_softplus_kernel_optI12hip_bfloat16fLi128ELb1ELi1EEEvPKT_PKT0_PfPimiif.kd
    .uniform_work_group_size: 1
    .uses_dynamic_stack: false
    .vgpr_count:     21
    .vgpr_spill_count: 0
    .wavefront_size: 64
  - .agpr_count:     0
    .args:
      - .actual_access:  read_only
        .address_space:  global
        .offset:         0
        .size:           8
        .value_kind:     global_buffer
      - .actual_access:  read_only
        .address_space:  global
        .offset:         8
        .size:           8
        .value_kind:     global_buffer
      - .actual_access:  write_only
        .address_space:  global
        .offset:         16
        .size:           8
        .value_kind:     global_buffer
      - .actual_access:  write_only
        .address_space:  global
        .offset:         24
        .size:           8
        .value_kind:     global_buffer
      - .offset:         32
        .size:           8
        .value_kind:     by_value
      - .offset:         40
        .size:           4
        .value_kind:     by_value
      - .offset:         44
        .size:           4
        .value_kind:     by_value
      - .offset:         48
        .size:           4
        .value_kind:     by_value
    .group_segment_fixed_size: 0
    .kernarg_segment_align: 8
    .kernarg_segment_size: 52
    .language:       OpenCL C
    .language_version:
      - 2
      - 0
    .max_flat_workgroup_size: 1024
    .name:           _ZN5aiter24topk_softplus_kernel_optI12hip_bfloat16fLi128ELb0ELi1EEEvPKT_PKT0_PfPimiif
    .private_segment_fixed_size: 0
    .sgpr_count:     17
    .sgpr_spill_count: 0
    .symbol:         _ZN5aiter24topk_softplus_kernel_optI12hip_bfloat16fLi128ELb0ELi1EEEvPKT_PKT0_PfPimiif.kd
    .uniform_work_group_size: 1
    .uses_dynamic_stack: false
    .vgpr_count:     20
    .vgpr_spill_count: 0
    .wavefront_size: 64
  - .agpr_count:     0
    .args:
      - .actual_access:  read_only
        .address_space:  global
        .offset:         0
        .size:           8
        .value_kind:     global_buffer
      - .actual_access:  read_only
        .address_space:  global
        .offset:         8
        .size:           8
        .value_kind:     global_buffer
      - .actual_access:  write_only
        .address_space:  global
        .offset:         16
        .size:           8
        .value_kind:     global_buffer
      - .actual_access:  write_only
        .address_space:  global
        .offset:         24
        .size:           8
        .value_kind:     global_buffer
      - .offset:         32
        .size:           8
        .value_kind:     by_value
      - .offset:         40
        .size:           4
        .value_kind:     by_value
      - .offset:         44
        .size:           4
        .value_kind:     by_value
      - .offset:         48
        .size:           4
        .value_kind:     by_value
    .group_segment_fixed_size: 0
    .kernarg_segment_align: 8
    .kernarg_segment_size: 52
    .language:       OpenCL C
    .language_version:
      - 2
      - 0
    .max_flat_workgroup_size: 1024
    .name:           _ZN5aiter24topk_softplus_kernel_optI12hip_bfloat16fLi256ELb1ELi1EEEvPKT_PKT0_PfPimiif
    .private_segment_fixed_size: 0
    .sgpr_count:     17
    .sgpr_spill_count: 0
    .symbol:         _ZN5aiter24topk_softplus_kernel_optI12hip_bfloat16fLi256ELb1ELi1EEEvPKT_PKT0_PfPimiif.kd
    .uniform_work_group_size: 1
    .uses_dynamic_stack: false
    .vgpr_count:     27
    .vgpr_spill_count: 0
    .wavefront_size: 64
  - .agpr_count:     0
    .args:
      - .actual_access:  read_only
        .address_space:  global
        .offset:         0
        .size:           8
        .value_kind:     global_buffer
      - .actual_access:  read_only
        .address_space:  global
        .offset:         8
        .size:           8
        .value_kind:     global_buffer
      - .actual_access:  write_only
        .address_space:  global
        .offset:         16
        .size:           8
        .value_kind:     global_buffer
      - .actual_access:  write_only
        .address_space:  global
        .offset:         24
        .size:           8
        .value_kind:     global_buffer
      - .offset:         32
        .size:           8
        .value_kind:     by_value
      - .offset:         40
        .size:           4
        .value_kind:     by_value
      - .offset:         44
        .size:           4
        .value_kind:     by_value
      - .offset:         48
        .size:           4
        .value_kind:     by_value
    .group_segment_fixed_size: 0
    .kernarg_segment_align: 8
    .kernarg_segment_size: 52
    .language:       OpenCL C
    .language_version:
      - 2
      - 0
    .max_flat_workgroup_size: 1024
    .name:           _ZN5aiter24topk_softplus_kernel_optI12hip_bfloat16fLi256ELb0ELi1EEEvPKT_PKT0_PfPimiif
    .private_segment_fixed_size: 0
    .sgpr_count:     17
    .sgpr_spill_count: 0
    .symbol:         _ZN5aiter24topk_softplus_kernel_optI12hip_bfloat16fLi256ELb0ELi1EEEvPKT_PKT0_PfPimiif.kd
    .uniform_work_group_size: 1
    .uses_dynamic_stack: false
    .vgpr_count:     26
    .vgpr_spill_count: 0
    .wavefront_size: 64
  - .agpr_count:     0
    .args:
      - .actual_access:  read_only
        .address_space:  global
        .offset:         0
        .size:           8
        .value_kind:     global_buffer
      - .actual_access:  read_only
        .address_space:  global
        .offset:         8
        .size:           8
        .value_kind:     global_buffer
      - .actual_access:  write_only
        .address_space:  global
        .offset:         16
        .size:           8
        .value_kind:     global_buffer
      - .actual_access:  write_only
        .address_space:  global
        .offset:         24
        .size:           8
        .value_kind:     global_buffer
      - .offset:         32
        .size:           8
        .value_kind:     by_value
      - .offset:         40
        .size:           4
        .value_kind:     by_value
      - .offset:         44
        .size:           4
        .value_kind:     by_value
      - .offset:         48
        .size:           4
        .value_kind:     by_value
    .group_segment_fixed_size: 0
    .kernarg_segment_align: 8
    .kernarg_segment_size: 52
    .language:       OpenCL C
    .language_version:
      - 2
      - 0
    .max_flat_workgroup_size: 1024
    .name:           _ZN5aiter24topk_softplus_kernel_optI12hip_bfloat16fLi384ELb1ELi1EEEvPKT_PKT0_PfPimiif
    .private_segment_fixed_size: 0
    .sgpr_count:     26
    .sgpr_spill_count: 0
    .symbol:         _ZN5aiter24topk_softplus_kernel_optI12hip_bfloat16fLi384ELb1ELi1EEEvPKT_PKT0_PfPimiif.kd
    .uniform_work_group_size: 1
    .uses_dynamic_stack: false
    .vgpr_count:     30
    .vgpr_spill_count: 0
    .wavefront_size: 64
  - .agpr_count:     0
    .args:
      - .actual_access:  read_only
        .address_space:  global
        .offset:         0
        .size:           8
        .value_kind:     global_buffer
      - .actual_access:  read_only
        .address_space:  global
        .offset:         8
        .size:           8
        .value_kind:     global_buffer
      - .actual_access:  write_only
        .address_space:  global
        .offset:         16
        .size:           8
        .value_kind:     global_buffer
      - .actual_access:  write_only
        .address_space:  global
        .offset:         24
        .size:           8
        .value_kind:     global_buffer
      - .offset:         32
        .size:           8
        .value_kind:     by_value
      - .offset:         40
        .size:           4
        .value_kind:     by_value
      - .offset:         44
        .size:           4
        .value_kind:     by_value
      - .offset:         48
        .size:           4
        .value_kind:     by_value
    .group_segment_fixed_size: 0
    .kernarg_segment_align: 8
    .kernarg_segment_size: 52
    .language:       OpenCL C
    .language_version:
      - 2
      - 0
    .max_flat_workgroup_size: 1024
    .name:           _ZN5aiter24topk_softplus_kernel_optI12hip_bfloat16fLi384ELb0ELi1EEEvPKT_PKT0_PfPimiif
    .private_segment_fixed_size: 0
    .sgpr_count:     26
    .sgpr_spill_count: 0
    .symbol:         _ZN5aiter24topk_softplus_kernel_optI12hip_bfloat16fLi384ELb0ELi1EEEvPKT_PKT0_PfPimiif.kd
    .uniform_work_group_size: 1
    .uses_dynamic_stack: false
    .vgpr_count:     29
    .vgpr_spill_count: 0
    .wavefront_size: 64
  - .agpr_count:     0
    .args:
      - .actual_access:  read_only
        .address_space:  global
        .offset:         0
        .size:           8
        .value_kind:     global_buffer
      - .actual_access:  read_only
        .address_space:  global
        .offset:         8
        .size:           8
        .value_kind:     global_buffer
      - .actual_access:  write_only
        .address_space:  global
        .offset:         16
        .size:           8
        .value_kind:     global_buffer
      - .actual_access:  write_only
        .address_space:  global
        .offset:         24
        .size:           8
        .value_kind:     global_buffer
      - .offset:         32
        .size:           8
        .value_kind:     by_value
      - .offset:         40
        .size:           4
        .value_kind:     by_value
      - .offset:         44
        .size:           4
        .value_kind:     by_value
      - .offset:         48
        .size:           4
        .value_kind:     by_value
      - .offset:         52
        .size:           4
        .value_kind:     by_value
      - .offset:         56
        .size:           4
        .value_kind:     hidden_block_count_x
      - .offset:         60
        .size:           4
        .value_kind:     hidden_block_count_y
      - .offset:         64
        .size:           4
        .value_kind:     hidden_block_count_z
      - .offset:         68
        .size:           2
        .value_kind:     hidden_group_size_x
      - .offset:         70
        .size:           2
        .value_kind:     hidden_group_size_y
      - .offset:         72
        .size:           2
        .value_kind:     hidden_group_size_z
      - .offset:         74
        .size:           2
        .value_kind:     hidden_remainder_x
      - .offset:         76
        .size:           2
        .value_kind:     hidden_remainder_y
      - .offset:         78
        .size:           2
        .value_kind:     hidden_remainder_z
      - .offset:         96
        .size:           8
        .value_kind:     hidden_global_offset_x
      - .offset:         104
        .size:           8
        .value_kind:     hidden_global_offset_y
      - .offset:         112
        .size:           8
        .value_kind:     hidden_global_offset_z
      - .offset:         120
        .size:           2
        .value_kind:     hidden_grid_dims
      - .offset:         176
        .size:           4
        .value_kind:     hidden_dynamic_lds_size
    .group_segment_fixed_size: 0
    .kernarg_segment_align: 8
    .kernarg_segment_size: 312
    .language:       OpenCL C
    .language_version:
      - 2
      - 0
    .max_flat_workgroup_size: 1024
    .name:           _ZN5aiter20topk_softplus_kernelI12hip_bfloat16fDv4_fLb1ELi1EEEvPKT_PKT0_PfPimiiif
    .private_segment_fixed_size: 0
    .sgpr_count:     41
    .sgpr_spill_count: 0
    .symbol:         _ZN5aiter20topk_softplus_kernelI12hip_bfloat16fDv4_fLb1ELi1EEEvPKT_PKT0_PfPimiiif.kd
    .uniform_work_group_size: 1
    .uses_dynamic_stack: false
    .vgpr_count:     20
    .vgpr_spill_count: 0
    .wavefront_size: 64
  - .agpr_count:     0
    .args:
      - .actual_access:  read_only
        .address_space:  global
        .offset:         0
        .size:           8
        .value_kind:     global_buffer
      - .actual_access:  read_only
        .address_space:  global
        .offset:         8
        .size:           8
        .value_kind:     global_buffer
      - .actual_access:  write_only
        .address_space:  global
        .offset:         16
        .size:           8
        .value_kind:     global_buffer
      - .actual_access:  write_only
        .address_space:  global
        .offset:         24
        .size:           8
        .value_kind:     global_buffer
      - .offset:         32
        .size:           8
        .value_kind:     by_value
      - .offset:         40
        .size:           4
        .value_kind:     by_value
      - .offset:         44
        .size:           4
        .value_kind:     by_value
      - .offset:         48
        .size:           4
        .value_kind:     by_value
      - .offset:         52
        .size:           4
        .value_kind:     by_value
      - .offset:         56
        .size:           4
        .value_kind:     hidden_block_count_x
      - .offset:         60
        .size:           4
        .value_kind:     hidden_block_count_y
      - .offset:         64
        .size:           4
        .value_kind:     hidden_block_count_z
      - .offset:         68
        .size:           2
        .value_kind:     hidden_group_size_x
      - .offset:         70
        .size:           2
        .value_kind:     hidden_group_size_y
      - .offset:         72
        .size:           2
        .value_kind:     hidden_group_size_z
      - .offset:         74
        .size:           2
        .value_kind:     hidden_remainder_x
      - .offset:         76
        .size:           2
        .value_kind:     hidden_remainder_y
      - .offset:         78
        .size:           2
        .value_kind:     hidden_remainder_z
      - .offset:         96
        .size:           8
        .value_kind:     hidden_global_offset_x
      - .offset:         104
        .size:           8
        .value_kind:     hidden_global_offset_y
      - .offset:         112
        .size:           8
        .value_kind:     hidden_global_offset_z
      - .offset:         120
        .size:           2
        .value_kind:     hidden_grid_dims
      - .offset:         176
        .size:           4
        .value_kind:     hidden_dynamic_lds_size
    .group_segment_fixed_size: 0
    .kernarg_segment_align: 8
    .kernarg_segment_size: 312
    .language:       OpenCL C
    .language_version:
      - 2
      - 0
    .max_flat_workgroup_size: 1024
    .name:           _ZN5aiter20topk_softplus_kernelI12hip_bfloat16fDv4_fLb0ELi1EEEvPKT_PKT0_PfPimiiif
    .private_segment_fixed_size: 0
    .sgpr_count:     41
    .sgpr_spill_count: 0
    .symbol:         _ZN5aiter20topk_softplus_kernelI12hip_bfloat16fDv4_fLb0ELi1EEEvPKT_PKT0_PfPimiiif.kd
    .uniform_work_group_size: 1
    .uses_dynamic_stack: false
    .vgpr_count:     20
    .vgpr_spill_count: 0
    .wavefront_size: 64
  - .agpr_count:     0
    .args:
      - .actual_access:  read_only
        .address_space:  global
        .offset:         0
        .size:           8
        .value_kind:     global_buffer
      - .actual_access:  read_only
        .address_space:  global
        .offset:         8
        .size:           8
        .value_kind:     global_buffer
      - .actual_access:  write_only
        .address_space:  global
        .offset:         16
        .size:           8
        .value_kind:     global_buffer
      - .actual_access:  write_only
        .address_space:  global
        .offset:         24
        .size:           8
        .value_kind:     global_buffer
      - .offset:         32
        .size:           8
        .value_kind:     by_value
      - .offset:         40
        .size:           4
        .value_kind:     by_value
      - .offset:         44
        .size:           4
        .value_kind:     by_value
      - .offset:         48
        .size:           4
        .value_kind:     by_value
      - .offset:         52
        .size:           4
        .value_kind:     by_value
      - .offset:         56
        .size:           4
        .value_kind:     hidden_block_count_x
      - .offset:         60
        .size:           4
        .value_kind:     hidden_block_count_y
      - .offset:         64
        .size:           4
        .value_kind:     hidden_block_count_z
      - .offset:         68
        .size:           2
        .value_kind:     hidden_group_size_x
      - .offset:         70
        .size:           2
        .value_kind:     hidden_group_size_y
      - .offset:         72
        .size:           2
        .value_kind:     hidden_group_size_z
      - .offset:         74
        .size:           2
        .value_kind:     hidden_remainder_x
      - .offset:         76
        .size:           2
        .value_kind:     hidden_remainder_y
      - .offset:         78
        .size:           2
        .value_kind:     hidden_remainder_z
      - .offset:         96
        .size:           8
        .value_kind:     hidden_global_offset_x
      - .offset:         104
        .size:           8
        .value_kind:     hidden_global_offset_y
      - .offset:         112
        .size:           8
        .value_kind:     hidden_global_offset_z
      - .offset:         120
        .size:           2
        .value_kind:     hidden_grid_dims
      - .offset:         176
        .size:           4
        .value_kind:     hidden_dynamic_lds_size
    .group_segment_fixed_size: 0
    .kernarg_segment_align: 8
    .kernarg_segment_size: 312
    .language:       OpenCL C
    .language_version:
      - 2
      - 0
    .max_flat_workgroup_size: 1024
    .name:           _ZN5aiter20topk_softplus_kernelI12hip_bfloat16fDv2_fLb1ELi1EEEvPKT_PKT0_PfPimiiif
    .private_segment_fixed_size: 0
    .sgpr_count:     33
    .sgpr_spill_count: 0
    .symbol:         _ZN5aiter20topk_softplus_kernelI12hip_bfloat16fDv2_fLb1ELi1EEEvPKT_PKT0_PfPimiiif.kd
    .uniform_work_group_size: 1
    .uses_dynamic_stack: false
    .vgpr_count:     16
    .vgpr_spill_count: 0
    .wavefront_size: 64
  - .agpr_count:     0
    .args:
      - .actual_access:  read_only
        .address_space:  global
        .offset:         0
        .size:           8
        .value_kind:     global_buffer
      - .actual_access:  read_only
        .address_space:  global
        .offset:         8
        .size:           8
        .value_kind:     global_buffer
      - .actual_access:  write_only
        .address_space:  global
        .offset:         16
        .size:           8
        .value_kind:     global_buffer
      - .actual_access:  write_only
        .address_space:  global
        .offset:         24
        .size:           8
        .value_kind:     global_buffer
      - .offset:         32
        .size:           8
        .value_kind:     by_value
      - .offset:         40
        .size:           4
        .value_kind:     by_value
      - .offset:         44
        .size:           4
        .value_kind:     by_value
      - .offset:         48
        .size:           4
        .value_kind:     by_value
      - .offset:         52
        .size:           4
        .value_kind:     by_value
      - .offset:         56
        .size:           4
        .value_kind:     hidden_block_count_x
      - .offset:         60
        .size:           4
        .value_kind:     hidden_block_count_y
      - .offset:         64
        .size:           4
        .value_kind:     hidden_block_count_z
      - .offset:         68
        .size:           2
        .value_kind:     hidden_group_size_x
      - .offset:         70
        .size:           2
        .value_kind:     hidden_group_size_y
      - .offset:         72
        .size:           2
        .value_kind:     hidden_group_size_z
      - .offset:         74
        .size:           2
        .value_kind:     hidden_remainder_x
      - .offset:         76
        .size:           2
        .value_kind:     hidden_remainder_y
      - .offset:         78
        .size:           2
        .value_kind:     hidden_remainder_z
      - .offset:         96
        .size:           8
        .value_kind:     hidden_global_offset_x
      - .offset:         104
        .size:           8
        .value_kind:     hidden_global_offset_y
      - .offset:         112
        .size:           8
        .value_kind:     hidden_global_offset_z
      - .offset:         120
        .size:           2
        .value_kind:     hidden_grid_dims
      - .offset:         176
        .size:           4
        .value_kind:     hidden_dynamic_lds_size
    .group_segment_fixed_size: 0
    .kernarg_segment_align: 8
    .kernarg_segment_size: 312
    .language:       OpenCL C
    .language_version:
      - 2
      - 0
    .max_flat_workgroup_size: 1024
    .name:           _ZN5aiter20topk_softplus_kernelI12hip_bfloat16fDv2_fLb0ELi1EEEvPKT_PKT0_PfPimiiif
    .private_segment_fixed_size: 0
    .sgpr_count:     33
    .sgpr_spill_count: 0
    .symbol:         _ZN5aiter20topk_softplus_kernelI12hip_bfloat16fDv2_fLb0ELi1EEEvPKT_PKT0_PfPimiiif.kd
    .uniform_work_group_size: 1
    .uses_dynamic_stack: false
    .vgpr_count:     15
    .vgpr_spill_count: 0
    .wavefront_size: 64
  - .agpr_count:     0
    .args:
      - .actual_access:  read_only
        .address_space:  global
        .offset:         0
        .size:           8
        .value_kind:     global_buffer
      - .actual_access:  read_only
        .address_space:  global
        .offset:         8
        .size:           8
        .value_kind:     global_buffer
      - .actual_access:  write_only
        .address_space:  global
        .offset:         16
        .size:           8
        .value_kind:     global_buffer
      - .actual_access:  write_only
        .address_space:  global
        .offset:         24
        .size:           8
        .value_kind:     global_buffer
      - .offset:         32
        .size:           8
        .value_kind:     by_value
      - .offset:         40
        .size:           4
        .value_kind:     by_value
      - .offset:         44
        .size:           4
        .value_kind:     by_value
      - .offset:         48
        .size:           4
        .value_kind:     by_value
      - .offset:         52
        .size:           4
        .value_kind:     by_value
      - .offset:         56
        .size:           4
        .value_kind:     hidden_block_count_x
      - .offset:         60
        .size:           4
        .value_kind:     hidden_block_count_y
      - .offset:         64
        .size:           4
        .value_kind:     hidden_block_count_z
      - .offset:         68
        .size:           2
        .value_kind:     hidden_group_size_x
      - .offset:         70
        .size:           2
        .value_kind:     hidden_group_size_y
      - .offset:         72
        .size:           2
        .value_kind:     hidden_group_size_z
      - .offset:         74
        .size:           2
        .value_kind:     hidden_remainder_x
      - .offset:         76
        .size:           2
        .value_kind:     hidden_remainder_y
      - .offset:         78
        .size:           2
        .value_kind:     hidden_remainder_z
      - .offset:         96
        .size:           8
        .value_kind:     hidden_global_offset_x
      - .offset:         104
        .size:           8
        .value_kind:     hidden_global_offset_y
      - .offset:         112
        .size:           8
        .value_kind:     hidden_global_offset_z
      - .offset:         120
        .size:           2
        .value_kind:     hidden_grid_dims
      - .offset:         176
        .size:           4
        .value_kind:     hidden_dynamic_lds_size
    .group_segment_fixed_size: 0
    .kernarg_segment_align: 8
    .kernarg_segment_size: 312
    .language:       OpenCL C
    .language_version:
      - 2
      - 0
    .max_flat_workgroup_size: 1024
    .name:           _ZN5aiter20topk_softplus_kernelI12hip_bfloat16fDv1_fLb1ELi1EEEvPKT_PKT0_PfPimiiif
    .private_segment_fixed_size: 0
    .sgpr_count:     28
    .sgpr_spill_count: 0
    .symbol:         _ZN5aiter20topk_softplus_kernelI12hip_bfloat16fDv1_fLb1ELi1EEEvPKT_PKT0_PfPimiiif.kd
    .uniform_work_group_size: 1
    .uses_dynamic_stack: false
    .vgpr_count:     12
    .vgpr_spill_count: 0
    .wavefront_size: 64
  - .agpr_count:     0
    .args:
      - .actual_access:  read_only
        .address_space:  global
        .offset:         0
        .size:           8
        .value_kind:     global_buffer
      - .actual_access:  read_only
        .address_space:  global
        .offset:         8
        .size:           8
        .value_kind:     global_buffer
      - .actual_access:  write_only
        .address_space:  global
        .offset:         16
        .size:           8
        .value_kind:     global_buffer
      - .actual_access:  write_only
        .address_space:  global
        .offset:         24
        .size:           8
        .value_kind:     global_buffer
      - .offset:         32
        .size:           8
        .value_kind:     by_value
      - .offset:         40
        .size:           4
        .value_kind:     by_value
      - .offset:         44
        .size:           4
        .value_kind:     by_value
      - .offset:         48
        .size:           4
        .value_kind:     by_value
      - .offset:         52
        .size:           4
        .value_kind:     by_value
      - .offset:         56
        .size:           4
        .value_kind:     hidden_block_count_x
      - .offset:         60
        .size:           4
        .value_kind:     hidden_block_count_y
      - .offset:         64
        .size:           4
        .value_kind:     hidden_block_count_z
      - .offset:         68
        .size:           2
        .value_kind:     hidden_group_size_x
      - .offset:         70
        .size:           2
        .value_kind:     hidden_group_size_y
      - .offset:         72
        .size:           2
        .value_kind:     hidden_group_size_z
      - .offset:         74
        .size:           2
        .value_kind:     hidden_remainder_x
      - .offset:         76
        .size:           2
        .value_kind:     hidden_remainder_y
      - .offset:         78
        .size:           2
        .value_kind:     hidden_remainder_z
      - .offset:         96
        .size:           8
        .value_kind:     hidden_global_offset_x
      - .offset:         104
        .size:           8
        .value_kind:     hidden_global_offset_y
      - .offset:         112
        .size:           8
        .value_kind:     hidden_global_offset_z
      - .offset:         120
        .size:           2
        .value_kind:     hidden_grid_dims
      - .offset:         176
        .size:           4
        .value_kind:     hidden_dynamic_lds_size
    .group_segment_fixed_size: 0
    .kernarg_segment_align: 8
    .kernarg_segment_size: 312
    .language:       OpenCL C
    .language_version:
      - 2
      - 0
    .max_flat_workgroup_size: 1024
    .name:           _ZN5aiter20topk_softplus_kernelI12hip_bfloat16fDv1_fLb0ELi1EEEvPKT_PKT0_PfPimiiif
    .private_segment_fixed_size: 0
    .sgpr_count:     28
    .sgpr_spill_count: 0
    .symbol:         _ZN5aiter20topk_softplus_kernelI12hip_bfloat16fDv1_fLb0ELi1EEEvPKT_PKT0_PfPimiiif.kd
    .uniform_work_group_size: 1
    .uses_dynamic_stack: false
    .vgpr_count:     12
    .vgpr_spill_count: 0
    .wavefront_size: 64
  - .agpr_count:     0
    .args:
      - .actual_access:  read_only
        .address_space:  global
        .offset:         0
        .size:           8
        .value_kind:     global_buffer
      - .actual_access:  read_only
        .address_space:  global
        .offset:         8
        .size:           8
        .value_kind:     global_buffer
      - .actual_access:  write_only
        .address_space:  global
        .offset:         16
        .size:           8
        .value_kind:     global_buffer
      - .actual_access:  write_only
        .address_space:  global
        .offset:         24
        .size:           8
        .value_kind:     global_buffer
      - .offset:         32
        .size:           8
        .value_kind:     by_value
      - .offset:         40
        .size:           4
        .value_kind:     by_value
      - .offset:         44
        .size:           4
        .value_kind:     by_value
      - .offset:         48
        .size:           4
        .value_kind:     by_value
      - .offset:         52
        .size:           4
        .value_kind:     by_value
      - .offset:         56
        .size:           4
        .value_kind:     hidden_block_count_x
      - .offset:         60
        .size:           4
        .value_kind:     hidden_block_count_y
      - .offset:         64
        .size:           4
        .value_kind:     hidden_block_count_z
      - .offset:         68
        .size:           2
        .value_kind:     hidden_group_size_x
      - .offset:         70
        .size:           2
        .value_kind:     hidden_group_size_y
      - .offset:         72
        .size:           2
        .value_kind:     hidden_group_size_z
      - .offset:         74
        .size:           2
        .value_kind:     hidden_remainder_x
      - .offset:         76
        .size:           2
        .value_kind:     hidden_remainder_y
      - .offset:         78
        .size:           2
        .value_kind:     hidden_remainder_z
      - .offset:         96
        .size:           8
        .value_kind:     hidden_global_offset_x
      - .offset:         104
        .size:           8
        .value_kind:     hidden_global_offset_y
      - .offset:         112
        .size:           8
        .value_kind:     hidden_global_offset_z
      - .offset:         120
        .size:           2
        .value_kind:     hidden_grid_dims
      - .offset:         176
        .size:           4
        .value_kind:     hidden_dynamic_lds_size
    .group_segment_fixed_size: 0
    .kernarg_segment_align: 8
    .kernarg_segment_size: 312
    .language:       OpenCL C
    .language_version:
      - 2
      - 0
    .max_flat_workgroup_size: 1024
    .name:           _ZN5aiter20topk_softplus_kernelI12hip_bfloat16fDv4_fLb1ELi2EEEvPKT_PKT0_PfPimiiif
    .private_segment_fixed_size: 0
    .sgpr_count:     30
    .sgpr_spill_count: 0
    .symbol:         _ZN5aiter20topk_softplus_kernelI12hip_bfloat16fDv4_fLb1ELi2EEEvPKT_PKT0_PfPimiiif.kd
    .uniform_work_group_size: 1
    .uses_dynamic_stack: false
    .vgpr_count:     20
    .vgpr_spill_count: 0
    .wavefront_size: 64
  - .agpr_count:     0
    .args:
      - .actual_access:  read_only
        .address_space:  global
        .offset:         0
        .size:           8
        .value_kind:     global_buffer
      - .actual_access:  read_only
        .address_space:  global
        .offset:         8
        .size:           8
        .value_kind:     global_buffer
      - .actual_access:  write_only
        .address_space:  global
        .offset:         16
        .size:           8
        .value_kind:     global_buffer
      - .actual_access:  write_only
        .address_space:  global
        .offset:         24
        .size:           8
        .value_kind:     global_buffer
      - .offset:         32
        .size:           8
        .value_kind:     by_value
      - .offset:         40
        .size:           4
        .value_kind:     by_value
      - .offset:         44
        .size:           4
        .value_kind:     by_value
      - .offset:         48
        .size:           4
        .value_kind:     by_value
      - .offset:         52
        .size:           4
        .value_kind:     by_value
      - .offset:         56
        .size:           4
        .value_kind:     hidden_block_count_x
      - .offset:         60
        .size:           4
        .value_kind:     hidden_block_count_y
      - .offset:         64
        .size:           4
        .value_kind:     hidden_block_count_z
      - .offset:         68
        .size:           2
        .value_kind:     hidden_group_size_x
      - .offset:         70
        .size:           2
        .value_kind:     hidden_group_size_y
      - .offset:         72
        .size:           2
        .value_kind:     hidden_group_size_z
      - .offset:         74
        .size:           2
        .value_kind:     hidden_remainder_x
      - .offset:         76
        .size:           2
        .value_kind:     hidden_remainder_y
      - .offset:         78
        .size:           2
        .value_kind:     hidden_remainder_z
      - .offset:         96
        .size:           8
        .value_kind:     hidden_global_offset_x
      - .offset:         104
        .size:           8
        .value_kind:     hidden_global_offset_y
      - .offset:         112
        .size:           8
        .value_kind:     hidden_global_offset_z
      - .offset:         120
        .size:           2
        .value_kind:     hidden_grid_dims
      - .offset:         176
        .size:           4
        .value_kind:     hidden_dynamic_lds_size
    .group_segment_fixed_size: 0
    .kernarg_segment_align: 8
    .kernarg_segment_size: 312
    .language:       OpenCL C
    .language_version:
      - 2
      - 0
    .max_flat_workgroup_size: 1024
    .name:           _ZN5aiter20topk_softplus_kernelI12hip_bfloat16fDv4_fLb0ELi2EEEvPKT_PKT0_PfPimiiif
    .private_segment_fixed_size: 0
    .sgpr_count:     30
    .sgpr_spill_count: 0
    .symbol:         _ZN5aiter20topk_softplus_kernelI12hip_bfloat16fDv4_fLb0ELi2EEEvPKT_PKT0_PfPimiiif.kd
    .uniform_work_group_size: 1
    .uses_dynamic_stack: false
    .vgpr_count:     19
    .vgpr_spill_count: 0
    .wavefront_size: 64
  - .agpr_count:     0
    .args:
      - .actual_access:  read_only
        .address_space:  global
        .offset:         0
        .size:           8
        .value_kind:     global_buffer
      - .actual_access:  read_only
        .address_space:  global
        .offset:         8
        .size:           8
        .value_kind:     global_buffer
      - .actual_access:  write_only
        .address_space:  global
        .offset:         16
        .size:           8
        .value_kind:     global_buffer
      - .actual_access:  write_only
        .address_space:  global
        .offset:         24
        .size:           8
        .value_kind:     global_buffer
      - .offset:         32
        .size:           8
        .value_kind:     by_value
      - .offset:         40
        .size:           4
        .value_kind:     by_value
      - .offset:         44
        .size:           4
        .value_kind:     by_value
      - .offset:         48
        .size:           4
        .value_kind:     by_value
      - .offset:         52
        .size:           4
        .value_kind:     by_value
      - .offset:         56
        .size:           4
        .value_kind:     hidden_block_count_x
      - .offset:         60
        .size:           4
        .value_kind:     hidden_block_count_y
      - .offset:         64
        .size:           4
        .value_kind:     hidden_block_count_z
      - .offset:         68
        .size:           2
        .value_kind:     hidden_group_size_x
      - .offset:         70
        .size:           2
        .value_kind:     hidden_group_size_y
      - .offset:         72
        .size:           2
        .value_kind:     hidden_group_size_z
      - .offset:         74
        .size:           2
        .value_kind:     hidden_remainder_x
      - .offset:         76
        .size:           2
        .value_kind:     hidden_remainder_y
      - .offset:         78
        .size:           2
        .value_kind:     hidden_remainder_z
      - .offset:         96
        .size:           8
        .value_kind:     hidden_global_offset_x
      - .offset:         104
        .size:           8
        .value_kind:     hidden_global_offset_y
      - .offset:         112
        .size:           8
        .value_kind:     hidden_global_offset_z
      - .offset:         120
        .size:           2
        .value_kind:     hidden_grid_dims
      - .offset:         176
        .size:           4
        .value_kind:     hidden_dynamic_lds_size
    .group_segment_fixed_size: 0
    .kernarg_segment_align: 8
    .kernarg_segment_size: 312
    .language:       OpenCL C
    .language_version:
      - 2
      - 0
    .max_flat_workgroup_size: 1024
    .name:           _ZN5aiter20topk_softplus_kernelI12hip_bfloat16fDv2_fLb1ELi2EEEvPKT_PKT0_PfPimiiif
    .private_segment_fixed_size: 0
    .sgpr_count:     30
    .sgpr_spill_count: 0
    .symbol:         _ZN5aiter20topk_softplus_kernelI12hip_bfloat16fDv2_fLb1ELi2EEEvPKT_PKT0_PfPimiiif.kd
    .uniform_work_group_size: 1
    .uses_dynamic_stack: false
    .vgpr_count:     16
    .vgpr_spill_count: 0
    .wavefront_size: 64
  - .agpr_count:     0
    .args:
      - .actual_access:  read_only
        .address_space:  global
        .offset:         0
        .size:           8
        .value_kind:     global_buffer
      - .actual_access:  read_only
        .address_space:  global
        .offset:         8
        .size:           8
        .value_kind:     global_buffer
      - .actual_access:  write_only
        .address_space:  global
        .offset:         16
        .size:           8
        .value_kind:     global_buffer
      - .actual_access:  write_only
        .address_space:  global
        .offset:         24
        .size:           8
        .value_kind:     global_buffer
      - .offset:         32
        .size:           8
        .value_kind:     by_value
      - .offset:         40
        .size:           4
        .value_kind:     by_value
      - .offset:         44
        .size:           4
        .value_kind:     by_value
      - .offset:         48
        .size:           4
        .value_kind:     by_value
      - .offset:         52
        .size:           4
        .value_kind:     by_value
      - .offset:         56
        .size:           4
        .value_kind:     hidden_block_count_x
      - .offset:         60
        .size:           4
        .value_kind:     hidden_block_count_y
      - .offset:         64
        .size:           4
        .value_kind:     hidden_block_count_z
      - .offset:         68
        .size:           2
        .value_kind:     hidden_group_size_x
      - .offset:         70
        .size:           2
        .value_kind:     hidden_group_size_y
      - .offset:         72
        .size:           2
        .value_kind:     hidden_group_size_z
      - .offset:         74
        .size:           2
        .value_kind:     hidden_remainder_x
      - .offset:         76
        .size:           2
        .value_kind:     hidden_remainder_y
      - .offset:         78
        .size:           2
        .value_kind:     hidden_remainder_z
      - .offset:         96
        .size:           8
        .value_kind:     hidden_global_offset_x
      - .offset:         104
        .size:           8
        .value_kind:     hidden_global_offset_y
      - .offset:         112
        .size:           8
        .value_kind:     hidden_global_offset_z
      - .offset:         120
        .size:           2
        .value_kind:     hidden_grid_dims
      - .offset:         176
        .size:           4
        .value_kind:     hidden_dynamic_lds_size
    .group_segment_fixed_size: 0
    .kernarg_segment_align: 8
    .kernarg_segment_size: 312
    .language:       OpenCL C
    .language_version:
      - 2
      - 0
    .max_flat_workgroup_size: 1024
    .name:           _ZN5aiter20topk_softplus_kernelI12hip_bfloat16fDv2_fLb0ELi2EEEvPKT_PKT0_PfPimiiif
    .private_segment_fixed_size: 0
    .sgpr_count:     30
    .sgpr_spill_count: 0
    .symbol:         _ZN5aiter20topk_softplus_kernelI12hip_bfloat16fDv2_fLb0ELi2EEEvPKT_PKT0_PfPimiiif.kd
    .uniform_work_group_size: 1
    .uses_dynamic_stack: false
    .vgpr_count:     15
    .vgpr_spill_count: 0
    .wavefront_size: 64
  - .agpr_count:     0
    .args:
      - .actual_access:  read_only
        .address_space:  global
        .offset:         0
        .size:           8
        .value_kind:     global_buffer
      - .actual_access:  read_only
        .address_space:  global
        .offset:         8
        .size:           8
        .value_kind:     global_buffer
      - .actual_access:  write_only
        .address_space:  global
        .offset:         16
        .size:           8
        .value_kind:     global_buffer
      - .actual_access:  write_only
        .address_space:  global
        .offset:         24
        .size:           8
        .value_kind:     global_buffer
      - .offset:         32
        .size:           8
        .value_kind:     by_value
      - .offset:         40
        .size:           4
        .value_kind:     by_value
      - .offset:         44
        .size:           4
        .value_kind:     by_value
      - .offset:         48
        .size:           4
        .value_kind:     by_value
      - .offset:         52
        .size:           4
        .value_kind:     by_value
      - .offset:         56
        .size:           4
        .value_kind:     hidden_block_count_x
      - .offset:         60
        .size:           4
        .value_kind:     hidden_block_count_y
      - .offset:         64
        .size:           4
        .value_kind:     hidden_block_count_z
      - .offset:         68
        .size:           2
        .value_kind:     hidden_group_size_x
      - .offset:         70
        .size:           2
        .value_kind:     hidden_group_size_y
      - .offset:         72
        .size:           2
        .value_kind:     hidden_group_size_z
      - .offset:         74
        .size:           2
        .value_kind:     hidden_remainder_x
      - .offset:         76
        .size:           2
        .value_kind:     hidden_remainder_y
      - .offset:         78
        .size:           2
        .value_kind:     hidden_remainder_z
      - .offset:         96
        .size:           8
        .value_kind:     hidden_global_offset_x
      - .offset:         104
        .size:           8
        .value_kind:     hidden_global_offset_y
      - .offset:         112
        .size:           8
        .value_kind:     hidden_global_offset_z
      - .offset:         120
        .size:           2
        .value_kind:     hidden_grid_dims
      - .offset:         176
        .size:           4
        .value_kind:     hidden_dynamic_lds_size
    .group_segment_fixed_size: 0
    .kernarg_segment_align: 8
    .kernarg_segment_size: 312
    .language:       OpenCL C
    .language_version:
      - 2
      - 0
    .max_flat_workgroup_size: 1024
    .name:           _ZN5aiter20topk_softplus_kernelI12hip_bfloat16fDv1_fLb1ELi2EEEvPKT_PKT0_PfPimiiif
    .private_segment_fixed_size: 0
    .sgpr_count:     28
    .sgpr_spill_count: 0
    .symbol:         _ZN5aiter20topk_softplus_kernelI12hip_bfloat16fDv1_fLb1ELi2EEEvPKT_PKT0_PfPimiiif.kd
    .uniform_work_group_size: 1
    .uses_dynamic_stack: false
    .vgpr_count:     12
    .vgpr_spill_count: 0
    .wavefront_size: 64
  - .agpr_count:     0
    .args:
      - .actual_access:  read_only
        .address_space:  global
        .offset:         0
        .size:           8
        .value_kind:     global_buffer
      - .actual_access:  read_only
        .address_space:  global
        .offset:         8
        .size:           8
        .value_kind:     global_buffer
      - .actual_access:  write_only
        .address_space:  global
        .offset:         16
        .size:           8
        .value_kind:     global_buffer
      - .actual_access:  write_only
        .address_space:  global
        .offset:         24
        .size:           8
        .value_kind:     global_buffer
      - .offset:         32
        .size:           8
        .value_kind:     by_value
      - .offset:         40
        .size:           4
        .value_kind:     by_value
      - .offset:         44
        .size:           4
        .value_kind:     by_value
      - .offset:         48
        .size:           4
        .value_kind:     by_value
      - .offset:         52
        .size:           4
        .value_kind:     by_value
      - .offset:         56
        .size:           4
        .value_kind:     hidden_block_count_x
      - .offset:         60
        .size:           4
        .value_kind:     hidden_block_count_y
      - .offset:         64
        .size:           4
        .value_kind:     hidden_block_count_z
      - .offset:         68
        .size:           2
        .value_kind:     hidden_group_size_x
      - .offset:         70
        .size:           2
        .value_kind:     hidden_group_size_y
      - .offset:         72
        .size:           2
        .value_kind:     hidden_group_size_z
      - .offset:         74
        .size:           2
        .value_kind:     hidden_remainder_x
      - .offset:         76
        .size:           2
        .value_kind:     hidden_remainder_y
      - .offset:         78
        .size:           2
        .value_kind:     hidden_remainder_z
      - .offset:         96
        .size:           8
        .value_kind:     hidden_global_offset_x
      - .offset:         104
        .size:           8
        .value_kind:     hidden_global_offset_y
      - .offset:         112
        .size:           8
        .value_kind:     hidden_global_offset_z
      - .offset:         120
        .size:           2
        .value_kind:     hidden_grid_dims
      - .offset:         176
        .size:           4
        .value_kind:     hidden_dynamic_lds_size
    .group_segment_fixed_size: 0
    .kernarg_segment_align: 8
    .kernarg_segment_size: 312
    .language:       OpenCL C
    .language_version:
      - 2
      - 0
    .max_flat_workgroup_size: 1024
    .name:           _ZN5aiter20topk_softplus_kernelI12hip_bfloat16fDv1_fLb0ELi2EEEvPKT_PKT0_PfPimiiif
    .private_segment_fixed_size: 0
    .sgpr_count:     28
    .sgpr_spill_count: 0
    .symbol:         _ZN5aiter20topk_softplus_kernelI12hip_bfloat16fDv1_fLb0ELi2EEEvPKT_PKT0_PfPimiiif.kd
    .uniform_work_group_size: 1
    .uses_dynamic_stack: false
    .vgpr_count:     12
    .vgpr_spill_count: 0
    .wavefront_size: 64
  - .agpr_count:     0
    .args:
      - .actual_access:  read_only
        .address_space:  global
        .offset:         0
        .size:           8
        .value_kind:     global_buffer
      - .actual_access:  read_only
        .address_space:  global
        .offset:         8
        .size:           8
        .value_kind:     global_buffer
      - .actual_access:  write_only
        .address_space:  global
        .offset:         16
        .size:           8
        .value_kind:     global_buffer
      - .actual_access:  write_only
        .address_space:  global
        .offset:         24
        .size:           8
        .value_kind:     global_buffer
      - .offset:         32
        .size:           8
        .value_kind:     by_value
      - .offset:         40
        .size:           4
        .value_kind:     by_value
      - .offset:         44
        .size:           4
        .value_kind:     by_value
      - .offset:         48
        .size:           4
        .value_kind:     by_value
    .group_segment_fixed_size: 0
    .kernarg_segment_align: 8
    .kernarg_segment_size: 52
    .language:       OpenCL C
    .language_version:
      - 2
      - 0
    .max_flat_workgroup_size: 1024
    .name:           _ZN5aiter24topk_softplus_kernel_optI12hip_bfloat16fLi64ELb1ELi0EEEvPKT_PKT0_PfPimiif
    .private_segment_fixed_size: 0
    .sgpr_count:     17
    .sgpr_spill_count: 0
    .symbol:         _ZN5aiter24topk_softplus_kernel_optI12hip_bfloat16fLi64ELb1ELi0EEEvPKT_PKT0_PfPimiif.kd
    .uniform_work_group_size: 1
    .uses_dynamic_stack: false
    .vgpr_count:     14
    .vgpr_spill_count: 0
    .wavefront_size: 64
  - .agpr_count:     0
    .args:
      - .actual_access:  read_only
        .address_space:  global
        .offset:         0
        .size:           8
        .value_kind:     global_buffer
      - .actual_access:  read_only
        .address_space:  global
        .offset:         8
        .size:           8
        .value_kind:     global_buffer
      - .actual_access:  write_only
        .address_space:  global
        .offset:         16
        .size:           8
        .value_kind:     global_buffer
      - .actual_access:  write_only
        .address_space:  global
        .offset:         24
        .size:           8
        .value_kind:     global_buffer
      - .offset:         32
        .size:           8
        .value_kind:     by_value
      - .offset:         40
        .size:           4
        .value_kind:     by_value
      - .offset:         44
        .size:           4
        .value_kind:     by_value
      - .offset:         48
        .size:           4
        .value_kind:     by_value
    .group_segment_fixed_size: 0
    .kernarg_segment_align: 8
    .kernarg_segment_size: 52
    .language:       OpenCL C
    .language_version:
      - 2
      - 0
    .max_flat_workgroup_size: 1024
    .name:           _ZN5aiter24topk_softplus_kernel_optI12hip_bfloat16fLi64ELb0ELi0EEEvPKT_PKT0_PfPimiif
    .private_segment_fixed_size: 0
    .sgpr_count:     17
    .sgpr_spill_count: 0
    .symbol:         _ZN5aiter24topk_softplus_kernel_optI12hip_bfloat16fLi64ELb0ELi0EEEvPKT_PKT0_PfPimiif.kd
    .uniform_work_group_size: 1
    .uses_dynamic_stack: false
    .vgpr_count:     13
    .vgpr_spill_count: 0
    .wavefront_size: 64
  - .agpr_count:     0
    .args:
      - .actual_access:  read_only
        .address_space:  global
        .offset:         0
        .size:           8
        .value_kind:     global_buffer
      - .actual_access:  read_only
        .address_space:  global
        .offset:         8
        .size:           8
        .value_kind:     global_buffer
      - .actual_access:  write_only
        .address_space:  global
        .offset:         16
        .size:           8
        .value_kind:     global_buffer
      - .actual_access:  write_only
        .address_space:  global
        .offset:         24
        .size:           8
        .value_kind:     global_buffer
      - .offset:         32
        .size:           8
        .value_kind:     by_value
      - .offset:         40
        .size:           4
        .value_kind:     by_value
      - .offset:         44
        .size:           4
        .value_kind:     by_value
      - .offset:         48
        .size:           4
        .value_kind:     by_value
    .group_segment_fixed_size: 0
    .kernarg_segment_align: 8
    .kernarg_segment_size: 52
    .language:       OpenCL C
    .language_version:
      - 2
      - 0
    .max_flat_workgroup_size: 1024
    .name:           _ZN5aiter24topk_softplus_kernel_optI12hip_bfloat16fLi128ELb1ELi0EEEvPKT_PKT0_PfPimiif
    .private_segment_fixed_size: 0
    .sgpr_count:     19
    .sgpr_spill_count: 0
    .symbol:         _ZN5aiter24topk_softplus_kernel_optI12hip_bfloat16fLi128ELb1ELi0EEEvPKT_PKT0_PfPimiif.kd
    .uniform_work_group_size: 1
    .uses_dynamic_stack: false
    .vgpr_count:     21
    .vgpr_spill_count: 0
    .wavefront_size: 64
  - .agpr_count:     0
    .args:
      - .actual_access:  read_only
        .address_space:  global
        .offset:         0
        .size:           8
        .value_kind:     global_buffer
      - .actual_access:  read_only
        .address_space:  global
        .offset:         8
        .size:           8
        .value_kind:     global_buffer
      - .actual_access:  write_only
        .address_space:  global
        .offset:         16
        .size:           8
        .value_kind:     global_buffer
      - .actual_access:  write_only
        .address_space:  global
        .offset:         24
        .size:           8
        .value_kind:     global_buffer
      - .offset:         32
        .size:           8
        .value_kind:     by_value
      - .offset:         40
        .size:           4
        .value_kind:     by_value
      - .offset:         44
        .size:           4
        .value_kind:     by_value
      - .offset:         48
        .size:           4
        .value_kind:     by_value
    .group_segment_fixed_size: 0
    .kernarg_segment_align: 8
    .kernarg_segment_size: 52
    .language:       OpenCL C
    .language_version:
      - 2
      - 0
    .max_flat_workgroup_size: 1024
    .name:           _ZN5aiter24topk_softplus_kernel_optI12hip_bfloat16fLi128ELb0ELi0EEEvPKT_PKT0_PfPimiif
    .private_segment_fixed_size: 0
    .sgpr_count:     19
    .sgpr_spill_count: 0
    .symbol:         _ZN5aiter24topk_softplus_kernel_optI12hip_bfloat16fLi128ELb0ELi0EEEvPKT_PKT0_PfPimiif.kd
    .uniform_work_group_size: 1
    .uses_dynamic_stack: false
    .vgpr_count:     20
    .vgpr_spill_count: 0
    .wavefront_size: 64
  - .agpr_count:     0
    .args:
      - .actual_access:  read_only
        .address_space:  global
        .offset:         0
        .size:           8
        .value_kind:     global_buffer
      - .actual_access:  read_only
        .address_space:  global
        .offset:         8
        .size:           8
        .value_kind:     global_buffer
      - .actual_access:  write_only
        .address_space:  global
        .offset:         16
        .size:           8
        .value_kind:     global_buffer
      - .actual_access:  write_only
        .address_space:  global
        .offset:         24
        .size:           8
        .value_kind:     global_buffer
      - .offset:         32
        .size:           8
        .value_kind:     by_value
      - .offset:         40
        .size:           4
        .value_kind:     by_value
      - .offset:         44
        .size:           4
        .value_kind:     by_value
      - .offset:         48
        .size:           4
        .value_kind:     by_value
    .group_segment_fixed_size: 0
    .kernarg_segment_align: 8
    .kernarg_segment_size: 52
    .language:       OpenCL C
    .language_version:
      - 2
      - 0
    .max_flat_workgroup_size: 1024
    .name:           _ZN5aiter24topk_softplus_kernel_optI12hip_bfloat16fLi256ELb1ELi0EEEvPKT_PKT0_PfPimiif
    .private_segment_fixed_size: 0
    .sgpr_count:     19
    .sgpr_spill_count: 0
    .symbol:         _ZN5aiter24topk_softplus_kernel_optI12hip_bfloat16fLi256ELb1ELi0EEEvPKT_PKT0_PfPimiif.kd
    .uniform_work_group_size: 1
    .uses_dynamic_stack: false
    .vgpr_count:     27
    .vgpr_spill_count: 0
    .wavefront_size: 64
  - .agpr_count:     0
    .args:
      - .actual_access:  read_only
        .address_space:  global
        .offset:         0
        .size:           8
        .value_kind:     global_buffer
      - .actual_access:  read_only
        .address_space:  global
        .offset:         8
        .size:           8
        .value_kind:     global_buffer
      - .actual_access:  write_only
        .address_space:  global
        .offset:         16
        .size:           8
        .value_kind:     global_buffer
      - .actual_access:  write_only
        .address_space:  global
        .offset:         24
        .size:           8
        .value_kind:     global_buffer
      - .offset:         32
        .size:           8
        .value_kind:     by_value
      - .offset:         40
        .size:           4
        .value_kind:     by_value
      - .offset:         44
        .size:           4
        .value_kind:     by_value
      - .offset:         48
        .size:           4
        .value_kind:     by_value
    .group_segment_fixed_size: 0
    .kernarg_segment_align: 8
    .kernarg_segment_size: 52
    .language:       OpenCL C
    .language_version:
      - 2
      - 0
    .max_flat_workgroup_size: 1024
    .name:           _ZN5aiter24topk_softplus_kernel_optI12hip_bfloat16fLi256ELb0ELi0EEEvPKT_PKT0_PfPimiif
    .private_segment_fixed_size: 0
    .sgpr_count:     19
    .sgpr_spill_count: 0
    .symbol:         _ZN5aiter24topk_softplus_kernel_optI12hip_bfloat16fLi256ELb0ELi0EEEvPKT_PKT0_PfPimiif.kd
    .uniform_work_group_size: 1
    .uses_dynamic_stack: false
    .vgpr_count:     26
    .vgpr_spill_count: 0
    .wavefront_size: 64
  - .agpr_count:     0
    .args:
      - .actual_access:  read_only
        .address_space:  global
        .offset:         0
        .size:           8
        .value_kind:     global_buffer
      - .actual_access:  read_only
        .address_space:  global
        .offset:         8
        .size:           8
        .value_kind:     global_buffer
      - .actual_access:  write_only
        .address_space:  global
        .offset:         16
        .size:           8
        .value_kind:     global_buffer
      - .actual_access:  write_only
        .address_space:  global
        .offset:         24
        .size:           8
        .value_kind:     global_buffer
      - .offset:         32
        .size:           8
        .value_kind:     by_value
      - .offset:         40
        .size:           4
        .value_kind:     by_value
      - .offset:         44
        .size:           4
        .value_kind:     by_value
      - .offset:         48
        .size:           4
        .value_kind:     by_value
    .group_segment_fixed_size: 0
    .kernarg_segment_align: 8
    .kernarg_segment_size: 52
    .language:       OpenCL C
    .language_version:
      - 2
      - 0
    .max_flat_workgroup_size: 1024
    .name:           _ZN5aiter24topk_softplus_kernel_optI12hip_bfloat16fLi384ELb1ELi0EEEvPKT_PKT0_PfPimiif
    .private_segment_fixed_size: 0
    .sgpr_count:     26
    .sgpr_spill_count: 0
    .symbol:         _ZN5aiter24topk_softplus_kernel_optI12hip_bfloat16fLi384ELb1ELi0EEEvPKT_PKT0_PfPimiif.kd
    .uniform_work_group_size: 1
    .uses_dynamic_stack: false
    .vgpr_count:     30
    .vgpr_spill_count: 0
    .wavefront_size: 64
  - .agpr_count:     0
    .args:
      - .actual_access:  read_only
        .address_space:  global
        .offset:         0
        .size:           8
        .value_kind:     global_buffer
      - .actual_access:  read_only
        .address_space:  global
        .offset:         8
        .size:           8
        .value_kind:     global_buffer
      - .actual_access:  write_only
        .address_space:  global
        .offset:         16
        .size:           8
        .value_kind:     global_buffer
      - .actual_access:  write_only
        .address_space:  global
        .offset:         24
        .size:           8
        .value_kind:     global_buffer
      - .offset:         32
        .size:           8
        .value_kind:     by_value
      - .offset:         40
        .size:           4
        .value_kind:     by_value
      - .offset:         44
        .size:           4
        .value_kind:     by_value
      - .offset:         48
        .size:           4
        .value_kind:     by_value
    .group_segment_fixed_size: 0
    .kernarg_segment_align: 8
    .kernarg_segment_size: 52
    .language:       OpenCL C
    .language_version:
      - 2
      - 0
    .max_flat_workgroup_size: 1024
    .name:           _ZN5aiter24topk_softplus_kernel_optI12hip_bfloat16fLi384ELb0ELi0EEEvPKT_PKT0_PfPimiif
    .private_segment_fixed_size: 0
    .sgpr_count:     26
    .sgpr_spill_count: 0
    .symbol:         _ZN5aiter24topk_softplus_kernel_optI12hip_bfloat16fLi384ELb0ELi0EEEvPKT_PKT0_PfPimiif.kd
    .uniform_work_group_size: 1
    .uses_dynamic_stack: false
    .vgpr_count:     29
    .vgpr_spill_count: 0
    .wavefront_size: 64
  - .agpr_count:     0
    .args:
      - .actual_access:  read_only
        .address_space:  global
        .offset:         0
        .size:           8
        .value_kind:     global_buffer
      - .actual_access:  read_only
        .address_space:  global
        .offset:         8
        .size:           8
        .value_kind:     global_buffer
      - .actual_access:  write_only
        .address_space:  global
        .offset:         16
        .size:           8
        .value_kind:     global_buffer
      - .actual_access:  write_only
        .address_space:  global
        .offset:         24
        .size:           8
        .value_kind:     global_buffer
      - .offset:         32
        .size:           8
        .value_kind:     by_value
      - .offset:         40
        .size:           4
        .value_kind:     by_value
      - .offset:         44
        .size:           4
        .value_kind:     by_value
      - .offset:         48
        .size:           4
        .value_kind:     by_value
      - .offset:         52
        .size:           4
        .value_kind:     by_value
      - .offset:         56
        .size:           4
        .value_kind:     hidden_block_count_x
      - .offset:         60
        .size:           4
        .value_kind:     hidden_block_count_y
      - .offset:         64
        .size:           4
        .value_kind:     hidden_block_count_z
      - .offset:         68
        .size:           2
        .value_kind:     hidden_group_size_x
      - .offset:         70
        .size:           2
        .value_kind:     hidden_group_size_y
      - .offset:         72
        .size:           2
        .value_kind:     hidden_group_size_z
      - .offset:         74
        .size:           2
        .value_kind:     hidden_remainder_x
      - .offset:         76
        .size:           2
        .value_kind:     hidden_remainder_y
      - .offset:         78
        .size:           2
        .value_kind:     hidden_remainder_z
      - .offset:         96
        .size:           8
        .value_kind:     hidden_global_offset_x
      - .offset:         104
        .size:           8
        .value_kind:     hidden_global_offset_y
      - .offset:         112
        .size:           8
        .value_kind:     hidden_global_offset_z
      - .offset:         120
        .size:           2
        .value_kind:     hidden_grid_dims
      - .offset:         176
        .size:           4
        .value_kind:     hidden_dynamic_lds_size
    .group_segment_fixed_size: 0
    .kernarg_segment_align: 8
    .kernarg_segment_size: 312
    .language:       OpenCL C
    .language_version:
      - 2
      - 0
    .max_flat_workgroup_size: 1024
    .name:           _ZN5aiter20topk_softplus_kernelI12hip_bfloat16fDv4_fLb1ELi0EEEvPKT_PKT0_PfPimiiif
    .private_segment_fixed_size: 0
    .sgpr_count:     47
    .sgpr_spill_count: 0
    .symbol:         _ZN5aiter20topk_softplus_kernelI12hip_bfloat16fDv4_fLb1ELi0EEEvPKT_PKT0_PfPimiiif.kd
    .uniform_work_group_size: 1
    .uses_dynamic_stack: false
    .vgpr_count:     26
    .vgpr_spill_count: 0
    .wavefront_size: 64
  - .agpr_count:     0
    .args:
      - .actual_access:  read_only
        .address_space:  global
        .offset:         0
        .size:           8
        .value_kind:     global_buffer
      - .actual_access:  read_only
        .address_space:  global
        .offset:         8
        .size:           8
        .value_kind:     global_buffer
      - .actual_access:  write_only
        .address_space:  global
        .offset:         16
        .size:           8
        .value_kind:     global_buffer
      - .actual_access:  write_only
        .address_space:  global
        .offset:         24
        .size:           8
        .value_kind:     global_buffer
      - .offset:         32
        .size:           8
        .value_kind:     by_value
      - .offset:         40
        .size:           4
        .value_kind:     by_value
      - .offset:         44
        .size:           4
        .value_kind:     by_value
      - .offset:         48
        .size:           4
        .value_kind:     by_value
      - .offset:         52
        .size:           4
        .value_kind:     by_value
      - .offset:         56
        .size:           4
        .value_kind:     hidden_block_count_x
      - .offset:         60
        .size:           4
        .value_kind:     hidden_block_count_y
      - .offset:         64
        .size:           4
        .value_kind:     hidden_block_count_z
      - .offset:         68
        .size:           2
        .value_kind:     hidden_group_size_x
      - .offset:         70
        .size:           2
        .value_kind:     hidden_group_size_y
      - .offset:         72
        .size:           2
        .value_kind:     hidden_group_size_z
      - .offset:         74
        .size:           2
        .value_kind:     hidden_remainder_x
      - .offset:         76
        .size:           2
        .value_kind:     hidden_remainder_y
      - .offset:         78
        .size:           2
        .value_kind:     hidden_remainder_z
      - .offset:         96
        .size:           8
        .value_kind:     hidden_global_offset_x
      - .offset:         104
        .size:           8
        .value_kind:     hidden_global_offset_y
      - .offset:         112
        .size:           8
        .value_kind:     hidden_global_offset_z
      - .offset:         120
        .size:           2
        .value_kind:     hidden_grid_dims
      - .offset:         176
        .size:           4
        .value_kind:     hidden_dynamic_lds_size
    .group_segment_fixed_size: 0
    .kernarg_segment_align: 8
    .kernarg_segment_size: 312
    .language:       OpenCL C
    .language_version:
      - 2
      - 0
    .max_flat_workgroup_size: 1024
    .name:           _ZN5aiter20topk_softplus_kernelI12hip_bfloat16fDv4_fLb0ELi0EEEvPKT_PKT0_PfPimiiif
    .private_segment_fixed_size: 0
    .sgpr_count:     47
    .sgpr_spill_count: 0
    .symbol:         _ZN5aiter20topk_softplus_kernelI12hip_bfloat16fDv4_fLb0ELi0EEEvPKT_PKT0_PfPimiiif.kd
    .uniform_work_group_size: 1
    .uses_dynamic_stack: false
    .vgpr_count:     26
    .vgpr_spill_count: 0
    .wavefront_size: 64
  - .agpr_count:     0
    .args:
      - .actual_access:  read_only
        .address_space:  global
        .offset:         0
        .size:           8
        .value_kind:     global_buffer
      - .actual_access:  read_only
        .address_space:  global
        .offset:         8
        .size:           8
        .value_kind:     global_buffer
      - .actual_access:  write_only
        .address_space:  global
        .offset:         16
        .size:           8
        .value_kind:     global_buffer
      - .actual_access:  write_only
        .address_space:  global
        .offset:         24
        .size:           8
        .value_kind:     global_buffer
      - .offset:         32
        .size:           8
        .value_kind:     by_value
      - .offset:         40
        .size:           4
        .value_kind:     by_value
      - .offset:         44
        .size:           4
        .value_kind:     by_value
      - .offset:         48
        .size:           4
        .value_kind:     by_value
      - .offset:         52
        .size:           4
        .value_kind:     by_value
      - .offset:         56
        .size:           4
        .value_kind:     hidden_block_count_x
      - .offset:         60
        .size:           4
        .value_kind:     hidden_block_count_y
      - .offset:         64
        .size:           4
        .value_kind:     hidden_block_count_z
      - .offset:         68
        .size:           2
        .value_kind:     hidden_group_size_x
      - .offset:         70
        .size:           2
        .value_kind:     hidden_group_size_y
      - .offset:         72
        .size:           2
        .value_kind:     hidden_group_size_z
      - .offset:         74
        .size:           2
        .value_kind:     hidden_remainder_x
      - .offset:         76
        .size:           2
        .value_kind:     hidden_remainder_y
      - .offset:         78
        .size:           2
        .value_kind:     hidden_remainder_z
      - .offset:         96
        .size:           8
        .value_kind:     hidden_global_offset_x
      - .offset:         104
        .size:           8
        .value_kind:     hidden_global_offset_y
      - .offset:         112
        .size:           8
        .value_kind:     hidden_global_offset_z
      - .offset:         120
        .size:           2
        .value_kind:     hidden_grid_dims
      - .offset:         176
        .size:           4
        .value_kind:     hidden_dynamic_lds_size
    .group_segment_fixed_size: 0
    .kernarg_segment_align: 8
    .kernarg_segment_size: 312
    .language:       OpenCL C
    .language_version:
      - 2
      - 0
    .max_flat_workgroup_size: 1024
    .name:           _ZN5aiter20topk_softplus_kernelI12hip_bfloat16fDv2_fLb1ELi0EEEvPKT_PKT0_PfPimiiif
    .private_segment_fixed_size: 0
    .sgpr_count:     39
    .sgpr_spill_count: 0
    .symbol:         _ZN5aiter20topk_softplus_kernelI12hip_bfloat16fDv2_fLb1ELi0EEEvPKT_PKT0_PfPimiiif.kd
    .uniform_work_group_size: 1
    .uses_dynamic_stack: false
    .vgpr_count:     22
    .vgpr_spill_count: 0
    .wavefront_size: 64
  - .agpr_count:     0
    .args:
      - .actual_access:  read_only
        .address_space:  global
        .offset:         0
        .size:           8
        .value_kind:     global_buffer
      - .actual_access:  read_only
        .address_space:  global
        .offset:         8
        .size:           8
        .value_kind:     global_buffer
      - .actual_access:  write_only
        .address_space:  global
        .offset:         16
        .size:           8
        .value_kind:     global_buffer
      - .actual_access:  write_only
        .address_space:  global
        .offset:         24
        .size:           8
        .value_kind:     global_buffer
      - .offset:         32
        .size:           8
        .value_kind:     by_value
      - .offset:         40
        .size:           4
        .value_kind:     by_value
      - .offset:         44
        .size:           4
        .value_kind:     by_value
      - .offset:         48
        .size:           4
        .value_kind:     by_value
      - .offset:         52
        .size:           4
        .value_kind:     by_value
      - .offset:         56
        .size:           4
        .value_kind:     hidden_block_count_x
      - .offset:         60
        .size:           4
        .value_kind:     hidden_block_count_y
      - .offset:         64
        .size:           4
        .value_kind:     hidden_block_count_z
      - .offset:         68
        .size:           2
        .value_kind:     hidden_group_size_x
      - .offset:         70
        .size:           2
        .value_kind:     hidden_group_size_y
      - .offset:         72
        .size:           2
        .value_kind:     hidden_group_size_z
      - .offset:         74
        .size:           2
        .value_kind:     hidden_remainder_x
      - .offset:         76
        .size:           2
        .value_kind:     hidden_remainder_y
      - .offset:         78
        .size:           2
        .value_kind:     hidden_remainder_z
      - .offset:         96
        .size:           8
        .value_kind:     hidden_global_offset_x
      - .offset:         104
        .size:           8
        .value_kind:     hidden_global_offset_y
      - .offset:         112
        .size:           8
        .value_kind:     hidden_global_offset_z
      - .offset:         120
        .size:           2
        .value_kind:     hidden_grid_dims
      - .offset:         176
        .size:           4
        .value_kind:     hidden_dynamic_lds_size
    .group_segment_fixed_size: 0
    .kernarg_segment_align: 8
    .kernarg_segment_size: 312
    .language:       OpenCL C
    .language_version:
      - 2
      - 0
    .max_flat_workgroup_size: 1024
    .name:           _ZN5aiter20topk_softplus_kernelI12hip_bfloat16fDv2_fLb0ELi0EEEvPKT_PKT0_PfPimiiif
    .private_segment_fixed_size: 0
    .sgpr_count:     39
    .sgpr_spill_count: 0
    .symbol:         _ZN5aiter20topk_softplus_kernelI12hip_bfloat16fDv2_fLb0ELi0EEEvPKT_PKT0_PfPimiiif.kd
    .uniform_work_group_size: 1
    .uses_dynamic_stack: false
    .vgpr_count:     22
    .vgpr_spill_count: 0
    .wavefront_size: 64
  - .agpr_count:     0
    .args:
      - .actual_access:  read_only
        .address_space:  global
        .offset:         0
        .size:           8
        .value_kind:     global_buffer
      - .actual_access:  read_only
        .address_space:  global
        .offset:         8
        .size:           8
        .value_kind:     global_buffer
      - .actual_access:  write_only
        .address_space:  global
        .offset:         16
        .size:           8
        .value_kind:     global_buffer
      - .actual_access:  write_only
        .address_space:  global
        .offset:         24
        .size:           8
        .value_kind:     global_buffer
      - .offset:         32
        .size:           8
        .value_kind:     by_value
      - .offset:         40
        .size:           4
        .value_kind:     by_value
      - .offset:         44
        .size:           4
        .value_kind:     by_value
      - .offset:         48
        .size:           4
        .value_kind:     by_value
      - .offset:         52
        .size:           4
        .value_kind:     by_value
      - .offset:         56
        .size:           4
        .value_kind:     hidden_block_count_x
      - .offset:         60
        .size:           4
        .value_kind:     hidden_block_count_y
      - .offset:         64
        .size:           4
        .value_kind:     hidden_block_count_z
      - .offset:         68
        .size:           2
        .value_kind:     hidden_group_size_x
      - .offset:         70
        .size:           2
        .value_kind:     hidden_group_size_y
      - .offset:         72
        .size:           2
        .value_kind:     hidden_group_size_z
      - .offset:         74
        .size:           2
        .value_kind:     hidden_remainder_x
      - .offset:         76
        .size:           2
        .value_kind:     hidden_remainder_y
      - .offset:         78
        .size:           2
        .value_kind:     hidden_remainder_z
      - .offset:         96
        .size:           8
        .value_kind:     hidden_global_offset_x
      - .offset:         104
        .size:           8
        .value_kind:     hidden_global_offset_y
      - .offset:         112
        .size:           8
        .value_kind:     hidden_global_offset_z
      - .offset:         120
        .size:           2
        .value_kind:     hidden_grid_dims
      - .offset:         176
        .size:           4
        .value_kind:     hidden_dynamic_lds_size
    .group_segment_fixed_size: 0
    .kernarg_segment_align: 8
    .kernarg_segment_size: 312
    .language:       OpenCL C
    .language_version:
      - 2
      - 0
    .max_flat_workgroup_size: 1024
    .name:           _ZN5aiter20topk_softplus_kernelI12hip_bfloat16fDv1_fLb1ELi0EEEvPKT_PKT0_PfPimiiif
    .private_segment_fixed_size: 0
    .sgpr_count:     34
    .sgpr_spill_count: 0
    .symbol:         _ZN5aiter20topk_softplus_kernelI12hip_bfloat16fDv1_fLb1ELi0EEEvPKT_PKT0_PfPimiiif.kd
    .uniform_work_group_size: 1
    .uses_dynamic_stack: false
    .vgpr_count:     17
    .vgpr_spill_count: 0
    .wavefront_size: 64
  - .agpr_count:     0
    .args:
      - .actual_access:  read_only
        .address_space:  global
        .offset:         0
        .size:           8
        .value_kind:     global_buffer
      - .actual_access:  read_only
        .address_space:  global
        .offset:         8
        .size:           8
        .value_kind:     global_buffer
      - .actual_access:  write_only
        .address_space:  global
        .offset:         16
        .size:           8
        .value_kind:     global_buffer
      - .actual_access:  write_only
        .address_space:  global
        .offset:         24
        .size:           8
        .value_kind:     global_buffer
      - .offset:         32
        .size:           8
        .value_kind:     by_value
      - .offset:         40
        .size:           4
        .value_kind:     by_value
      - .offset:         44
        .size:           4
        .value_kind:     by_value
      - .offset:         48
        .size:           4
        .value_kind:     by_value
      - .offset:         52
        .size:           4
        .value_kind:     by_value
      - .offset:         56
        .size:           4
        .value_kind:     hidden_block_count_x
      - .offset:         60
        .size:           4
        .value_kind:     hidden_block_count_y
      - .offset:         64
        .size:           4
        .value_kind:     hidden_block_count_z
      - .offset:         68
        .size:           2
        .value_kind:     hidden_group_size_x
      - .offset:         70
        .size:           2
        .value_kind:     hidden_group_size_y
      - .offset:         72
        .size:           2
        .value_kind:     hidden_group_size_z
      - .offset:         74
        .size:           2
        .value_kind:     hidden_remainder_x
      - .offset:         76
        .size:           2
        .value_kind:     hidden_remainder_y
      - .offset:         78
        .size:           2
        .value_kind:     hidden_remainder_z
      - .offset:         96
        .size:           8
        .value_kind:     hidden_global_offset_x
      - .offset:         104
        .size:           8
        .value_kind:     hidden_global_offset_y
      - .offset:         112
        .size:           8
        .value_kind:     hidden_global_offset_z
      - .offset:         120
        .size:           2
        .value_kind:     hidden_grid_dims
      - .offset:         176
        .size:           4
        .value_kind:     hidden_dynamic_lds_size
    .group_segment_fixed_size: 0
    .kernarg_segment_align: 8
    .kernarg_segment_size: 312
    .language:       OpenCL C
    .language_version:
      - 2
      - 0
    .max_flat_workgroup_size: 1024
    .name:           _ZN5aiter20topk_softplus_kernelI12hip_bfloat16fDv1_fLb0ELi0EEEvPKT_PKT0_PfPimiiif
    .private_segment_fixed_size: 0
    .sgpr_count:     34
    .sgpr_spill_count: 0
    .symbol:         _ZN5aiter20topk_softplus_kernelI12hip_bfloat16fDv1_fLb0ELi0EEEvPKT_PKT0_PfPimiiif.kd
    .uniform_work_group_size: 1
    .uses_dynamic_stack: false
    .vgpr_count:     17
    .vgpr_spill_count: 0
    .wavefront_size: 64
  - .agpr_count:     0
    .args:
      - .actual_access:  read_only
        .address_space:  global
        .offset:         0
        .size:           8
        .value_kind:     global_buffer
      - .actual_access:  read_only
        .address_space:  global
        .offset:         8
        .size:           8
        .value_kind:     global_buffer
      - .actual_access:  write_only
        .address_space:  global
        .offset:         16
        .size:           8
        .value_kind:     global_buffer
      - .actual_access:  write_only
        .address_space:  global
        .offset:         24
        .size:           8
        .value_kind:     global_buffer
      - .offset:         32
        .size:           8
        .value_kind:     by_value
      - .offset:         40
        .size:           4
        .value_kind:     by_value
      - .offset:         44
        .size:           4
        .value_kind:     by_value
      - .offset:         48
        .size:           4
        .value_kind:     by_value
    .group_segment_fixed_size: 0
    .kernarg_segment_align: 8
    .kernarg_segment_size: 52
    .language:       OpenCL C
    .language_version:
      - 2
      - 0
    .max_flat_workgroup_size: 1024
    .name:           _ZN5aiter24topk_softplus_kernel_optI12hip_bfloat166__halfLi64ELb1ELi1EEEvPKT_PKT0_PfPimiif
    .private_segment_fixed_size: 0
    .sgpr_count:     17
    .sgpr_spill_count: 0
    .symbol:         _ZN5aiter24topk_softplus_kernel_optI12hip_bfloat166__halfLi64ELb1ELi1EEEvPKT_PKT0_PfPimiif.kd
    .uniform_work_group_size: 1
    .uses_dynamic_stack: false
    .vgpr_count:     13
    .vgpr_spill_count: 0
    .wavefront_size: 64
  - .agpr_count:     0
    .args:
      - .actual_access:  read_only
        .address_space:  global
        .offset:         0
        .size:           8
        .value_kind:     global_buffer
      - .actual_access:  read_only
        .address_space:  global
        .offset:         8
        .size:           8
        .value_kind:     global_buffer
      - .actual_access:  write_only
        .address_space:  global
        .offset:         16
        .size:           8
        .value_kind:     global_buffer
      - .actual_access:  write_only
        .address_space:  global
        .offset:         24
        .size:           8
        .value_kind:     global_buffer
      - .offset:         32
        .size:           8
        .value_kind:     by_value
      - .offset:         40
        .size:           4
        .value_kind:     by_value
      - .offset:         44
        .size:           4
        .value_kind:     by_value
      - .offset:         48
        .size:           4
        .value_kind:     by_value
    .group_segment_fixed_size: 0
    .kernarg_segment_align: 8
    .kernarg_segment_size: 52
    .language:       OpenCL C
    .language_version:
      - 2
      - 0
    .max_flat_workgroup_size: 1024
    .name:           _ZN5aiter24topk_softplus_kernel_optI12hip_bfloat166__halfLi64ELb0ELi1EEEvPKT_PKT0_PfPimiif
    .private_segment_fixed_size: 0
    .sgpr_count:     17
    .sgpr_spill_count: 0
    .symbol:         _ZN5aiter24topk_softplus_kernel_optI12hip_bfloat166__halfLi64ELb0ELi1EEEvPKT_PKT0_PfPimiif.kd
    .uniform_work_group_size: 1
    .uses_dynamic_stack: false
    .vgpr_count:     12
    .vgpr_spill_count: 0
    .wavefront_size: 64
  - .agpr_count:     0
    .args:
      - .actual_access:  read_only
        .address_space:  global
        .offset:         0
        .size:           8
        .value_kind:     global_buffer
      - .actual_access:  read_only
        .address_space:  global
        .offset:         8
        .size:           8
        .value_kind:     global_buffer
      - .actual_access:  write_only
        .address_space:  global
        .offset:         16
        .size:           8
        .value_kind:     global_buffer
      - .actual_access:  write_only
        .address_space:  global
        .offset:         24
        .size:           8
        .value_kind:     global_buffer
      - .offset:         32
        .size:           8
        .value_kind:     by_value
      - .offset:         40
        .size:           4
        .value_kind:     by_value
      - .offset:         44
        .size:           4
        .value_kind:     by_value
      - .offset:         48
        .size:           4
        .value_kind:     by_value
    .group_segment_fixed_size: 0
    .kernarg_segment_align: 8
    .kernarg_segment_size: 52
    .language:       OpenCL C
    .language_version:
      - 2
      - 0
    .max_flat_workgroup_size: 1024
    .name:           _ZN5aiter24topk_softplus_kernel_optI12hip_bfloat166__halfLi128ELb1ELi1EEEvPKT_PKT0_PfPimiif
    .private_segment_fixed_size: 0
    .sgpr_count:     17
    .sgpr_spill_count: 0
    .symbol:         _ZN5aiter24topk_softplus_kernel_optI12hip_bfloat166__halfLi128ELb1ELi1EEEvPKT_PKT0_PfPimiif.kd
    .uniform_work_group_size: 1
    .uses_dynamic_stack: false
    .vgpr_count:     20
    .vgpr_spill_count: 0
    .wavefront_size: 64
  - .agpr_count:     0
    .args:
      - .actual_access:  read_only
        .address_space:  global
        .offset:         0
        .size:           8
        .value_kind:     global_buffer
      - .actual_access:  read_only
        .address_space:  global
        .offset:         8
        .size:           8
        .value_kind:     global_buffer
      - .actual_access:  write_only
        .address_space:  global
        .offset:         16
        .size:           8
        .value_kind:     global_buffer
      - .actual_access:  write_only
        .address_space:  global
        .offset:         24
        .size:           8
        .value_kind:     global_buffer
      - .offset:         32
        .size:           8
        .value_kind:     by_value
      - .offset:         40
        .size:           4
        .value_kind:     by_value
      - .offset:         44
        .size:           4
        .value_kind:     by_value
      - .offset:         48
        .size:           4
        .value_kind:     by_value
    .group_segment_fixed_size: 0
    .kernarg_segment_align: 8
    .kernarg_segment_size: 52
    .language:       OpenCL C
    .language_version:
      - 2
      - 0
    .max_flat_workgroup_size: 1024
    .name:           _ZN5aiter24topk_softplus_kernel_optI12hip_bfloat166__halfLi128ELb0ELi1EEEvPKT_PKT0_PfPimiif
    .private_segment_fixed_size: 0
    .sgpr_count:     17
    .sgpr_spill_count: 0
    .symbol:         _ZN5aiter24topk_softplus_kernel_optI12hip_bfloat166__halfLi128ELb0ELi1EEEvPKT_PKT0_PfPimiif.kd
    .uniform_work_group_size: 1
    .uses_dynamic_stack: false
    .vgpr_count:     19
    .vgpr_spill_count: 0
    .wavefront_size: 64
  - .agpr_count:     0
    .args:
      - .actual_access:  read_only
        .address_space:  global
        .offset:         0
        .size:           8
        .value_kind:     global_buffer
      - .actual_access:  read_only
        .address_space:  global
        .offset:         8
        .size:           8
        .value_kind:     global_buffer
      - .actual_access:  write_only
        .address_space:  global
        .offset:         16
        .size:           8
        .value_kind:     global_buffer
      - .actual_access:  write_only
        .address_space:  global
        .offset:         24
        .size:           8
        .value_kind:     global_buffer
      - .offset:         32
        .size:           8
        .value_kind:     by_value
      - .offset:         40
        .size:           4
        .value_kind:     by_value
      - .offset:         44
        .size:           4
        .value_kind:     by_value
      - .offset:         48
        .size:           4
        .value_kind:     by_value
    .group_segment_fixed_size: 0
    .kernarg_segment_align: 8
    .kernarg_segment_size: 52
    .language:       OpenCL C
    .language_version:
      - 2
      - 0
    .max_flat_workgroup_size: 1024
    .name:           _ZN5aiter24topk_softplus_kernel_optI12hip_bfloat166__halfLi256ELb1ELi1EEEvPKT_PKT0_PfPimiif
    .private_segment_fixed_size: 0
    .sgpr_count:     17
    .sgpr_spill_count: 0
    .symbol:         _ZN5aiter24topk_softplus_kernel_optI12hip_bfloat166__halfLi256ELb1ELi1EEEvPKT_PKT0_PfPimiif.kd
    .uniform_work_group_size: 1
    .uses_dynamic_stack: false
    .vgpr_count:     26
    .vgpr_spill_count: 0
    .wavefront_size: 64
  - .agpr_count:     0
    .args:
      - .actual_access:  read_only
        .address_space:  global
        .offset:         0
        .size:           8
        .value_kind:     global_buffer
      - .actual_access:  read_only
        .address_space:  global
        .offset:         8
        .size:           8
        .value_kind:     global_buffer
      - .actual_access:  write_only
        .address_space:  global
        .offset:         16
        .size:           8
        .value_kind:     global_buffer
      - .actual_access:  write_only
        .address_space:  global
        .offset:         24
        .size:           8
        .value_kind:     global_buffer
      - .offset:         32
        .size:           8
        .value_kind:     by_value
      - .offset:         40
        .size:           4
        .value_kind:     by_value
      - .offset:         44
        .size:           4
        .value_kind:     by_value
      - .offset:         48
        .size:           4
        .value_kind:     by_value
    .group_segment_fixed_size: 0
    .kernarg_segment_align: 8
    .kernarg_segment_size: 52
    .language:       OpenCL C
    .language_version:
      - 2
      - 0
    .max_flat_workgroup_size: 1024
    .name:           _ZN5aiter24topk_softplus_kernel_optI12hip_bfloat166__halfLi256ELb0ELi1EEEvPKT_PKT0_PfPimiif
    .private_segment_fixed_size: 0
    .sgpr_count:     17
    .sgpr_spill_count: 0
    .symbol:         _ZN5aiter24topk_softplus_kernel_optI12hip_bfloat166__halfLi256ELb0ELi1EEEvPKT_PKT0_PfPimiif.kd
    .uniform_work_group_size: 1
    .uses_dynamic_stack: false
    .vgpr_count:     25
    .vgpr_spill_count: 0
    .wavefront_size: 64
  - .agpr_count:     0
    .args:
      - .actual_access:  read_only
        .address_space:  global
        .offset:         0
        .size:           8
        .value_kind:     global_buffer
      - .actual_access:  read_only
        .address_space:  global
        .offset:         8
        .size:           8
        .value_kind:     global_buffer
      - .actual_access:  write_only
        .address_space:  global
        .offset:         16
        .size:           8
        .value_kind:     global_buffer
      - .actual_access:  write_only
        .address_space:  global
        .offset:         24
        .size:           8
        .value_kind:     global_buffer
      - .offset:         32
        .size:           8
        .value_kind:     by_value
      - .offset:         40
        .size:           4
        .value_kind:     by_value
      - .offset:         44
        .size:           4
        .value_kind:     by_value
      - .offset:         48
        .size:           4
        .value_kind:     by_value
    .group_segment_fixed_size: 0
    .kernarg_segment_align: 8
    .kernarg_segment_size: 52
    .language:       OpenCL C
    .language_version:
      - 2
      - 0
    .max_flat_workgroup_size: 1024
    .name:           _ZN5aiter24topk_softplus_kernel_optI12hip_bfloat166__halfLi384ELb1ELi1EEEvPKT_PKT0_PfPimiif
    .private_segment_fixed_size: 0
    .sgpr_count:     26
    .sgpr_spill_count: 0
    .symbol:         _ZN5aiter24topk_softplus_kernel_optI12hip_bfloat166__halfLi384ELb1ELi1EEEvPKT_PKT0_PfPimiif.kd
    .uniform_work_group_size: 1
    .uses_dynamic_stack: false
    .vgpr_count:     29
    .vgpr_spill_count: 0
    .wavefront_size: 64
  - .agpr_count:     0
    .args:
      - .actual_access:  read_only
        .address_space:  global
        .offset:         0
        .size:           8
        .value_kind:     global_buffer
      - .actual_access:  read_only
        .address_space:  global
        .offset:         8
        .size:           8
        .value_kind:     global_buffer
      - .actual_access:  write_only
        .address_space:  global
        .offset:         16
        .size:           8
        .value_kind:     global_buffer
      - .actual_access:  write_only
        .address_space:  global
        .offset:         24
        .size:           8
        .value_kind:     global_buffer
      - .offset:         32
        .size:           8
        .value_kind:     by_value
      - .offset:         40
        .size:           4
        .value_kind:     by_value
      - .offset:         44
        .size:           4
        .value_kind:     by_value
      - .offset:         48
        .size:           4
        .value_kind:     by_value
    .group_segment_fixed_size: 0
    .kernarg_segment_align: 8
    .kernarg_segment_size: 52
    .language:       OpenCL C
    .language_version:
      - 2
      - 0
    .max_flat_workgroup_size: 1024
    .name:           _ZN5aiter24topk_softplus_kernel_optI12hip_bfloat166__halfLi384ELb0ELi1EEEvPKT_PKT0_PfPimiif
    .private_segment_fixed_size: 0
    .sgpr_count:     26
    .sgpr_spill_count: 0
    .symbol:         _ZN5aiter24topk_softplus_kernel_optI12hip_bfloat166__halfLi384ELb0ELi1EEEvPKT_PKT0_PfPimiif.kd
    .uniform_work_group_size: 1
    .uses_dynamic_stack: false
    .vgpr_count:     28
    .vgpr_spill_count: 0
    .wavefront_size: 64
  - .agpr_count:     0
    .args:
      - .actual_access:  read_only
        .address_space:  global
        .offset:         0
        .size:           8
        .value_kind:     global_buffer
      - .actual_access:  read_only
        .address_space:  global
        .offset:         8
        .size:           8
        .value_kind:     global_buffer
      - .actual_access:  write_only
        .address_space:  global
        .offset:         16
        .size:           8
        .value_kind:     global_buffer
      - .actual_access:  write_only
        .address_space:  global
        .offset:         24
        .size:           8
        .value_kind:     global_buffer
      - .offset:         32
        .size:           8
        .value_kind:     by_value
      - .offset:         40
        .size:           4
        .value_kind:     by_value
      - .offset:         44
        .size:           4
        .value_kind:     by_value
      - .offset:         48
        .size:           4
        .value_kind:     by_value
      - .offset:         52
        .size:           4
        .value_kind:     by_value
      - .offset:         56
        .size:           4
        .value_kind:     hidden_block_count_x
      - .offset:         60
        .size:           4
        .value_kind:     hidden_block_count_y
      - .offset:         64
        .size:           4
        .value_kind:     hidden_block_count_z
      - .offset:         68
        .size:           2
        .value_kind:     hidden_group_size_x
      - .offset:         70
        .size:           2
        .value_kind:     hidden_group_size_y
      - .offset:         72
        .size:           2
        .value_kind:     hidden_group_size_z
      - .offset:         74
        .size:           2
        .value_kind:     hidden_remainder_x
      - .offset:         76
        .size:           2
        .value_kind:     hidden_remainder_y
      - .offset:         78
        .size:           2
        .value_kind:     hidden_remainder_z
      - .offset:         96
        .size:           8
        .value_kind:     hidden_global_offset_x
      - .offset:         104
        .size:           8
        .value_kind:     hidden_global_offset_y
      - .offset:         112
        .size:           8
        .value_kind:     hidden_global_offset_z
      - .offset:         120
        .size:           2
        .value_kind:     hidden_grid_dims
      - .offset:         176
        .size:           4
        .value_kind:     hidden_dynamic_lds_size
    .group_segment_fixed_size: 0
    .kernarg_segment_align: 8
    .kernarg_segment_size: 312
    .language:       OpenCL C
    .language_version:
      - 2
      - 0
    .max_flat_workgroup_size: 1024
    .name:           _ZN5aiter20topk_softplus_kernelI12hip_bfloat166__halfDv4_fLb1ELi1EEEvPKT_PKT0_PfPimiiif
    .private_segment_fixed_size: 0
    .sgpr_count:     41
    .sgpr_spill_count: 0
    .symbol:         _ZN5aiter20topk_softplus_kernelI12hip_bfloat166__halfDv4_fLb1ELi1EEEvPKT_PKT0_PfPimiiif.kd
    .uniform_work_group_size: 1
    .uses_dynamic_stack: false
    .vgpr_count:     21
    .vgpr_spill_count: 0
    .wavefront_size: 64
  - .agpr_count:     0
    .args:
      - .actual_access:  read_only
        .address_space:  global
        .offset:         0
        .size:           8
        .value_kind:     global_buffer
      - .actual_access:  read_only
        .address_space:  global
        .offset:         8
        .size:           8
        .value_kind:     global_buffer
      - .actual_access:  write_only
        .address_space:  global
        .offset:         16
        .size:           8
        .value_kind:     global_buffer
      - .actual_access:  write_only
        .address_space:  global
        .offset:         24
        .size:           8
        .value_kind:     global_buffer
      - .offset:         32
        .size:           8
        .value_kind:     by_value
      - .offset:         40
        .size:           4
        .value_kind:     by_value
      - .offset:         44
        .size:           4
        .value_kind:     by_value
      - .offset:         48
        .size:           4
        .value_kind:     by_value
      - .offset:         52
        .size:           4
        .value_kind:     by_value
      - .offset:         56
        .size:           4
        .value_kind:     hidden_block_count_x
      - .offset:         60
        .size:           4
        .value_kind:     hidden_block_count_y
      - .offset:         64
        .size:           4
        .value_kind:     hidden_block_count_z
      - .offset:         68
        .size:           2
        .value_kind:     hidden_group_size_x
      - .offset:         70
        .size:           2
        .value_kind:     hidden_group_size_y
      - .offset:         72
        .size:           2
        .value_kind:     hidden_group_size_z
      - .offset:         74
        .size:           2
        .value_kind:     hidden_remainder_x
      - .offset:         76
        .size:           2
        .value_kind:     hidden_remainder_y
      - .offset:         78
        .size:           2
        .value_kind:     hidden_remainder_z
      - .offset:         96
        .size:           8
        .value_kind:     hidden_global_offset_x
      - .offset:         104
        .size:           8
        .value_kind:     hidden_global_offset_y
      - .offset:         112
        .size:           8
        .value_kind:     hidden_global_offset_z
      - .offset:         120
        .size:           2
        .value_kind:     hidden_grid_dims
      - .offset:         176
        .size:           4
        .value_kind:     hidden_dynamic_lds_size
    .group_segment_fixed_size: 0
    .kernarg_segment_align: 8
    .kernarg_segment_size: 312
    .language:       OpenCL C
    .language_version:
      - 2
      - 0
    .max_flat_workgroup_size: 1024
    .name:           _ZN5aiter20topk_softplus_kernelI12hip_bfloat166__halfDv4_fLb0ELi1EEEvPKT_PKT0_PfPimiiif
    .private_segment_fixed_size: 0
    .sgpr_count:     41
    .sgpr_spill_count: 0
    .symbol:         _ZN5aiter20topk_softplus_kernelI12hip_bfloat166__halfDv4_fLb0ELi1EEEvPKT_PKT0_PfPimiiif.kd
    .uniform_work_group_size: 1
    .uses_dynamic_stack: false
    .vgpr_count:     20
    .vgpr_spill_count: 0
    .wavefront_size: 64
  - .agpr_count:     0
    .args:
      - .actual_access:  read_only
        .address_space:  global
        .offset:         0
        .size:           8
        .value_kind:     global_buffer
      - .actual_access:  read_only
        .address_space:  global
        .offset:         8
        .size:           8
        .value_kind:     global_buffer
      - .actual_access:  write_only
        .address_space:  global
        .offset:         16
        .size:           8
        .value_kind:     global_buffer
      - .actual_access:  write_only
        .address_space:  global
        .offset:         24
        .size:           8
        .value_kind:     global_buffer
      - .offset:         32
        .size:           8
        .value_kind:     by_value
      - .offset:         40
        .size:           4
        .value_kind:     by_value
      - .offset:         44
        .size:           4
        .value_kind:     by_value
      - .offset:         48
        .size:           4
        .value_kind:     by_value
      - .offset:         52
        .size:           4
        .value_kind:     by_value
      - .offset:         56
        .size:           4
        .value_kind:     hidden_block_count_x
      - .offset:         60
        .size:           4
        .value_kind:     hidden_block_count_y
      - .offset:         64
        .size:           4
        .value_kind:     hidden_block_count_z
      - .offset:         68
        .size:           2
        .value_kind:     hidden_group_size_x
      - .offset:         70
        .size:           2
        .value_kind:     hidden_group_size_y
      - .offset:         72
        .size:           2
        .value_kind:     hidden_group_size_z
      - .offset:         74
        .size:           2
        .value_kind:     hidden_remainder_x
      - .offset:         76
        .size:           2
        .value_kind:     hidden_remainder_y
      - .offset:         78
        .size:           2
        .value_kind:     hidden_remainder_z
      - .offset:         96
        .size:           8
        .value_kind:     hidden_global_offset_x
      - .offset:         104
        .size:           8
        .value_kind:     hidden_global_offset_y
      - .offset:         112
        .size:           8
        .value_kind:     hidden_global_offset_z
      - .offset:         120
        .size:           2
        .value_kind:     hidden_grid_dims
      - .offset:         176
        .size:           4
        .value_kind:     hidden_dynamic_lds_size
    .group_segment_fixed_size: 0
    .kernarg_segment_align: 8
    .kernarg_segment_size: 312
    .language:       OpenCL C
    .language_version:
      - 2
      - 0
    .max_flat_workgroup_size: 1024
    .name:           _ZN5aiter20topk_softplus_kernelI12hip_bfloat166__halfDv2_fLb1ELi1EEEvPKT_PKT0_PfPimiiif
    .private_segment_fixed_size: 0
    .sgpr_count:     31
    .sgpr_spill_count: 0
    .symbol:         _ZN5aiter20topk_softplus_kernelI12hip_bfloat166__halfDv2_fLb1ELi1EEEvPKT_PKT0_PfPimiiif.kd
    .uniform_work_group_size: 1
    .uses_dynamic_stack: false
    .vgpr_count:     17
    .vgpr_spill_count: 0
    .wavefront_size: 64
  - .agpr_count:     0
    .args:
      - .actual_access:  read_only
        .address_space:  global
        .offset:         0
        .size:           8
        .value_kind:     global_buffer
      - .actual_access:  read_only
        .address_space:  global
        .offset:         8
        .size:           8
        .value_kind:     global_buffer
      - .actual_access:  write_only
        .address_space:  global
        .offset:         16
        .size:           8
        .value_kind:     global_buffer
      - .actual_access:  write_only
        .address_space:  global
        .offset:         24
        .size:           8
        .value_kind:     global_buffer
      - .offset:         32
        .size:           8
        .value_kind:     by_value
      - .offset:         40
        .size:           4
        .value_kind:     by_value
      - .offset:         44
        .size:           4
        .value_kind:     by_value
      - .offset:         48
        .size:           4
        .value_kind:     by_value
      - .offset:         52
        .size:           4
        .value_kind:     by_value
      - .offset:         56
        .size:           4
        .value_kind:     hidden_block_count_x
      - .offset:         60
        .size:           4
        .value_kind:     hidden_block_count_y
      - .offset:         64
        .size:           4
        .value_kind:     hidden_block_count_z
      - .offset:         68
        .size:           2
        .value_kind:     hidden_group_size_x
      - .offset:         70
        .size:           2
        .value_kind:     hidden_group_size_y
      - .offset:         72
        .size:           2
        .value_kind:     hidden_group_size_z
      - .offset:         74
        .size:           2
        .value_kind:     hidden_remainder_x
      - .offset:         76
        .size:           2
        .value_kind:     hidden_remainder_y
      - .offset:         78
        .size:           2
        .value_kind:     hidden_remainder_z
      - .offset:         96
        .size:           8
        .value_kind:     hidden_global_offset_x
      - .offset:         104
        .size:           8
        .value_kind:     hidden_global_offset_y
      - .offset:         112
        .size:           8
        .value_kind:     hidden_global_offset_z
      - .offset:         120
        .size:           2
        .value_kind:     hidden_grid_dims
      - .offset:         176
        .size:           4
        .value_kind:     hidden_dynamic_lds_size
    .group_segment_fixed_size: 0
    .kernarg_segment_align: 8
    .kernarg_segment_size: 312
    .language:       OpenCL C
    .language_version:
      - 2
      - 0
    .max_flat_workgroup_size: 1024
    .name:           _ZN5aiter20topk_softplus_kernelI12hip_bfloat166__halfDv2_fLb0ELi1EEEvPKT_PKT0_PfPimiiif
    .private_segment_fixed_size: 0
    .sgpr_count:     31
    .sgpr_spill_count: 0
    .symbol:         _ZN5aiter20topk_softplus_kernelI12hip_bfloat166__halfDv2_fLb0ELi1EEEvPKT_PKT0_PfPimiiif.kd
    .uniform_work_group_size: 1
    .uses_dynamic_stack: false
    .vgpr_count:     16
    .vgpr_spill_count: 0
    .wavefront_size: 64
  - .agpr_count:     0
    .args:
      - .actual_access:  read_only
        .address_space:  global
        .offset:         0
        .size:           8
        .value_kind:     global_buffer
      - .actual_access:  read_only
        .address_space:  global
        .offset:         8
        .size:           8
        .value_kind:     global_buffer
      - .actual_access:  write_only
        .address_space:  global
        .offset:         16
        .size:           8
        .value_kind:     global_buffer
      - .actual_access:  write_only
        .address_space:  global
        .offset:         24
        .size:           8
        .value_kind:     global_buffer
      - .offset:         32
        .size:           8
        .value_kind:     by_value
      - .offset:         40
        .size:           4
        .value_kind:     by_value
      - .offset:         44
        .size:           4
        .value_kind:     by_value
      - .offset:         48
        .size:           4
        .value_kind:     by_value
      - .offset:         52
        .size:           4
        .value_kind:     by_value
      - .offset:         56
        .size:           4
        .value_kind:     hidden_block_count_x
      - .offset:         60
        .size:           4
        .value_kind:     hidden_block_count_y
      - .offset:         64
        .size:           4
        .value_kind:     hidden_block_count_z
      - .offset:         68
        .size:           2
        .value_kind:     hidden_group_size_x
      - .offset:         70
        .size:           2
        .value_kind:     hidden_group_size_y
      - .offset:         72
        .size:           2
        .value_kind:     hidden_group_size_z
      - .offset:         74
        .size:           2
        .value_kind:     hidden_remainder_x
      - .offset:         76
        .size:           2
        .value_kind:     hidden_remainder_y
      - .offset:         78
        .size:           2
        .value_kind:     hidden_remainder_z
      - .offset:         96
        .size:           8
        .value_kind:     hidden_global_offset_x
      - .offset:         104
        .size:           8
        .value_kind:     hidden_global_offset_y
      - .offset:         112
        .size:           8
        .value_kind:     hidden_global_offset_z
      - .offset:         120
        .size:           2
        .value_kind:     hidden_grid_dims
      - .offset:         176
        .size:           4
        .value_kind:     hidden_dynamic_lds_size
    .group_segment_fixed_size: 0
    .kernarg_segment_align: 8
    .kernarg_segment_size: 312
    .language:       OpenCL C
    .language_version:
      - 2
      - 0
    .max_flat_workgroup_size: 1024
    .name:           _ZN5aiter20topk_softplus_kernelI12hip_bfloat166__halfDv1_fLb1ELi1EEEvPKT_PKT0_PfPimiiif
    .private_segment_fixed_size: 0
    .sgpr_count:     28
    .sgpr_spill_count: 0
    .symbol:         _ZN5aiter20topk_softplus_kernelI12hip_bfloat166__halfDv1_fLb1ELi1EEEvPKT_PKT0_PfPimiiif.kd
    .uniform_work_group_size: 1
    .uses_dynamic_stack: false
    .vgpr_count:     13
    .vgpr_spill_count: 0
    .wavefront_size: 64
  - .agpr_count:     0
    .args:
      - .actual_access:  read_only
        .address_space:  global
        .offset:         0
        .size:           8
        .value_kind:     global_buffer
      - .actual_access:  read_only
        .address_space:  global
        .offset:         8
        .size:           8
        .value_kind:     global_buffer
      - .actual_access:  write_only
        .address_space:  global
        .offset:         16
        .size:           8
        .value_kind:     global_buffer
      - .actual_access:  write_only
        .address_space:  global
        .offset:         24
        .size:           8
        .value_kind:     global_buffer
      - .offset:         32
        .size:           8
        .value_kind:     by_value
      - .offset:         40
        .size:           4
        .value_kind:     by_value
      - .offset:         44
        .size:           4
        .value_kind:     by_value
      - .offset:         48
        .size:           4
        .value_kind:     by_value
      - .offset:         52
        .size:           4
        .value_kind:     by_value
      - .offset:         56
        .size:           4
        .value_kind:     hidden_block_count_x
      - .offset:         60
        .size:           4
        .value_kind:     hidden_block_count_y
      - .offset:         64
        .size:           4
        .value_kind:     hidden_block_count_z
      - .offset:         68
        .size:           2
        .value_kind:     hidden_group_size_x
      - .offset:         70
        .size:           2
        .value_kind:     hidden_group_size_y
      - .offset:         72
        .size:           2
        .value_kind:     hidden_group_size_z
      - .offset:         74
        .size:           2
        .value_kind:     hidden_remainder_x
      - .offset:         76
        .size:           2
        .value_kind:     hidden_remainder_y
      - .offset:         78
        .size:           2
        .value_kind:     hidden_remainder_z
      - .offset:         96
        .size:           8
        .value_kind:     hidden_global_offset_x
      - .offset:         104
        .size:           8
        .value_kind:     hidden_global_offset_y
      - .offset:         112
        .size:           8
        .value_kind:     hidden_global_offset_z
      - .offset:         120
        .size:           2
        .value_kind:     hidden_grid_dims
      - .offset:         176
        .size:           4
        .value_kind:     hidden_dynamic_lds_size
    .group_segment_fixed_size: 0
    .kernarg_segment_align: 8
    .kernarg_segment_size: 312
    .language:       OpenCL C
    .language_version:
      - 2
      - 0
    .max_flat_workgroup_size: 1024
    .name:           _ZN5aiter20topk_softplus_kernelI12hip_bfloat166__halfDv1_fLb0ELi1EEEvPKT_PKT0_PfPimiiif
    .private_segment_fixed_size: 0
    .sgpr_count:     28
    .sgpr_spill_count: 0
    .symbol:         _ZN5aiter20topk_softplus_kernelI12hip_bfloat166__halfDv1_fLb0ELi1EEEvPKT_PKT0_PfPimiiif.kd
    .uniform_work_group_size: 1
    .uses_dynamic_stack: false
    .vgpr_count:     12
    .vgpr_spill_count: 0
    .wavefront_size: 64
  - .agpr_count:     0
    .args:
      - .actual_access:  read_only
        .address_space:  global
        .offset:         0
        .size:           8
        .value_kind:     global_buffer
      - .actual_access:  read_only
        .address_space:  global
        .offset:         8
        .size:           8
        .value_kind:     global_buffer
      - .actual_access:  write_only
        .address_space:  global
        .offset:         16
        .size:           8
        .value_kind:     global_buffer
      - .actual_access:  write_only
        .address_space:  global
        .offset:         24
        .size:           8
        .value_kind:     global_buffer
      - .offset:         32
        .size:           8
        .value_kind:     by_value
      - .offset:         40
        .size:           4
        .value_kind:     by_value
      - .offset:         44
        .size:           4
        .value_kind:     by_value
      - .offset:         48
        .size:           4
        .value_kind:     by_value
      - .offset:         52
        .size:           4
        .value_kind:     by_value
      - .offset:         56
        .size:           4
        .value_kind:     hidden_block_count_x
      - .offset:         60
        .size:           4
        .value_kind:     hidden_block_count_y
      - .offset:         64
        .size:           4
        .value_kind:     hidden_block_count_z
      - .offset:         68
        .size:           2
        .value_kind:     hidden_group_size_x
      - .offset:         70
        .size:           2
        .value_kind:     hidden_group_size_y
      - .offset:         72
        .size:           2
        .value_kind:     hidden_group_size_z
      - .offset:         74
        .size:           2
        .value_kind:     hidden_remainder_x
      - .offset:         76
        .size:           2
        .value_kind:     hidden_remainder_y
      - .offset:         78
        .size:           2
        .value_kind:     hidden_remainder_z
      - .offset:         96
        .size:           8
        .value_kind:     hidden_global_offset_x
      - .offset:         104
        .size:           8
        .value_kind:     hidden_global_offset_y
      - .offset:         112
        .size:           8
        .value_kind:     hidden_global_offset_z
      - .offset:         120
        .size:           2
        .value_kind:     hidden_grid_dims
      - .offset:         176
        .size:           4
        .value_kind:     hidden_dynamic_lds_size
    .group_segment_fixed_size: 0
    .kernarg_segment_align: 8
    .kernarg_segment_size: 312
    .language:       OpenCL C
    .language_version:
      - 2
      - 0
    .max_flat_workgroup_size: 1024
    .name:           _ZN5aiter20topk_softplus_kernelI12hip_bfloat166__halfDv4_fLb1ELi2EEEvPKT_PKT0_PfPimiiif
    .private_segment_fixed_size: 0
    .sgpr_count:     30
    .sgpr_spill_count: 0
    .symbol:         _ZN5aiter20topk_softplus_kernelI12hip_bfloat166__halfDv4_fLb1ELi2EEEvPKT_PKT0_PfPimiiif.kd
    .uniform_work_group_size: 1
    .uses_dynamic_stack: false
    .vgpr_count:     21
    .vgpr_spill_count: 0
    .wavefront_size: 64
  - .agpr_count:     0
    .args:
      - .actual_access:  read_only
        .address_space:  global
        .offset:         0
        .size:           8
        .value_kind:     global_buffer
      - .actual_access:  read_only
        .address_space:  global
        .offset:         8
        .size:           8
        .value_kind:     global_buffer
      - .actual_access:  write_only
        .address_space:  global
        .offset:         16
        .size:           8
        .value_kind:     global_buffer
      - .actual_access:  write_only
        .address_space:  global
        .offset:         24
        .size:           8
        .value_kind:     global_buffer
      - .offset:         32
        .size:           8
        .value_kind:     by_value
      - .offset:         40
        .size:           4
        .value_kind:     by_value
      - .offset:         44
        .size:           4
        .value_kind:     by_value
      - .offset:         48
        .size:           4
        .value_kind:     by_value
      - .offset:         52
        .size:           4
        .value_kind:     by_value
      - .offset:         56
        .size:           4
        .value_kind:     hidden_block_count_x
      - .offset:         60
        .size:           4
        .value_kind:     hidden_block_count_y
      - .offset:         64
        .size:           4
        .value_kind:     hidden_block_count_z
      - .offset:         68
        .size:           2
        .value_kind:     hidden_group_size_x
      - .offset:         70
        .size:           2
        .value_kind:     hidden_group_size_y
      - .offset:         72
        .size:           2
        .value_kind:     hidden_group_size_z
      - .offset:         74
        .size:           2
        .value_kind:     hidden_remainder_x
      - .offset:         76
        .size:           2
        .value_kind:     hidden_remainder_y
      - .offset:         78
        .size:           2
        .value_kind:     hidden_remainder_z
      - .offset:         96
        .size:           8
        .value_kind:     hidden_global_offset_x
      - .offset:         104
        .size:           8
        .value_kind:     hidden_global_offset_y
      - .offset:         112
        .size:           8
        .value_kind:     hidden_global_offset_z
      - .offset:         120
        .size:           2
        .value_kind:     hidden_grid_dims
      - .offset:         176
        .size:           4
        .value_kind:     hidden_dynamic_lds_size
    .group_segment_fixed_size: 0
    .kernarg_segment_align: 8
    .kernarg_segment_size: 312
    .language:       OpenCL C
    .language_version:
      - 2
      - 0
    .max_flat_workgroup_size: 1024
    .name:           _ZN5aiter20topk_softplus_kernelI12hip_bfloat166__halfDv4_fLb0ELi2EEEvPKT_PKT0_PfPimiiif
    .private_segment_fixed_size: 0
    .sgpr_count:     30
    .sgpr_spill_count: 0
    .symbol:         _ZN5aiter20topk_softplus_kernelI12hip_bfloat166__halfDv4_fLb0ELi2EEEvPKT_PKT0_PfPimiiif.kd
    .uniform_work_group_size: 1
    .uses_dynamic_stack: false
    .vgpr_count:     20
    .vgpr_spill_count: 0
    .wavefront_size: 64
  - .agpr_count:     0
    .args:
      - .actual_access:  read_only
        .address_space:  global
        .offset:         0
        .size:           8
        .value_kind:     global_buffer
      - .actual_access:  read_only
        .address_space:  global
        .offset:         8
        .size:           8
        .value_kind:     global_buffer
      - .actual_access:  write_only
        .address_space:  global
        .offset:         16
        .size:           8
        .value_kind:     global_buffer
      - .actual_access:  write_only
        .address_space:  global
        .offset:         24
        .size:           8
        .value_kind:     global_buffer
      - .offset:         32
        .size:           8
        .value_kind:     by_value
      - .offset:         40
        .size:           4
        .value_kind:     by_value
      - .offset:         44
        .size:           4
        .value_kind:     by_value
      - .offset:         48
        .size:           4
        .value_kind:     by_value
      - .offset:         52
        .size:           4
        .value_kind:     by_value
      - .offset:         56
        .size:           4
        .value_kind:     hidden_block_count_x
      - .offset:         60
        .size:           4
        .value_kind:     hidden_block_count_y
      - .offset:         64
        .size:           4
        .value_kind:     hidden_block_count_z
      - .offset:         68
        .size:           2
        .value_kind:     hidden_group_size_x
      - .offset:         70
        .size:           2
        .value_kind:     hidden_group_size_y
      - .offset:         72
        .size:           2
        .value_kind:     hidden_group_size_z
      - .offset:         74
        .size:           2
        .value_kind:     hidden_remainder_x
      - .offset:         76
        .size:           2
        .value_kind:     hidden_remainder_y
      - .offset:         78
        .size:           2
        .value_kind:     hidden_remainder_z
      - .offset:         96
        .size:           8
        .value_kind:     hidden_global_offset_x
      - .offset:         104
        .size:           8
        .value_kind:     hidden_global_offset_y
      - .offset:         112
        .size:           8
        .value_kind:     hidden_global_offset_z
      - .offset:         120
        .size:           2
        .value_kind:     hidden_grid_dims
      - .offset:         176
        .size:           4
        .value_kind:     hidden_dynamic_lds_size
    .group_segment_fixed_size: 0
    .kernarg_segment_align: 8
    .kernarg_segment_size: 312
    .language:       OpenCL C
    .language_version:
      - 2
      - 0
    .max_flat_workgroup_size: 1024
    .name:           _ZN5aiter20topk_softplus_kernelI12hip_bfloat166__halfDv2_fLb1ELi2EEEvPKT_PKT0_PfPimiiif
    .private_segment_fixed_size: 0
    .sgpr_count:     30
    .sgpr_spill_count: 0
    .symbol:         _ZN5aiter20topk_softplus_kernelI12hip_bfloat166__halfDv2_fLb1ELi2EEEvPKT_PKT0_PfPimiiif.kd
    .uniform_work_group_size: 1
    .uses_dynamic_stack: false
    .vgpr_count:     17
    .vgpr_spill_count: 0
    .wavefront_size: 64
  - .agpr_count:     0
    .args:
      - .actual_access:  read_only
        .address_space:  global
        .offset:         0
        .size:           8
        .value_kind:     global_buffer
      - .actual_access:  read_only
        .address_space:  global
        .offset:         8
        .size:           8
        .value_kind:     global_buffer
      - .actual_access:  write_only
        .address_space:  global
        .offset:         16
        .size:           8
        .value_kind:     global_buffer
      - .actual_access:  write_only
        .address_space:  global
        .offset:         24
        .size:           8
        .value_kind:     global_buffer
      - .offset:         32
        .size:           8
        .value_kind:     by_value
      - .offset:         40
        .size:           4
        .value_kind:     by_value
      - .offset:         44
        .size:           4
        .value_kind:     by_value
      - .offset:         48
        .size:           4
        .value_kind:     by_value
      - .offset:         52
        .size:           4
        .value_kind:     by_value
      - .offset:         56
        .size:           4
        .value_kind:     hidden_block_count_x
      - .offset:         60
        .size:           4
        .value_kind:     hidden_block_count_y
      - .offset:         64
        .size:           4
        .value_kind:     hidden_block_count_z
      - .offset:         68
        .size:           2
        .value_kind:     hidden_group_size_x
      - .offset:         70
        .size:           2
        .value_kind:     hidden_group_size_y
      - .offset:         72
        .size:           2
        .value_kind:     hidden_group_size_z
      - .offset:         74
        .size:           2
        .value_kind:     hidden_remainder_x
      - .offset:         76
        .size:           2
        .value_kind:     hidden_remainder_y
      - .offset:         78
        .size:           2
        .value_kind:     hidden_remainder_z
      - .offset:         96
        .size:           8
        .value_kind:     hidden_global_offset_x
      - .offset:         104
        .size:           8
        .value_kind:     hidden_global_offset_y
      - .offset:         112
        .size:           8
        .value_kind:     hidden_global_offset_z
      - .offset:         120
        .size:           2
        .value_kind:     hidden_grid_dims
      - .offset:         176
        .size:           4
        .value_kind:     hidden_dynamic_lds_size
    .group_segment_fixed_size: 0
    .kernarg_segment_align: 8
    .kernarg_segment_size: 312
    .language:       OpenCL C
    .language_version:
      - 2
      - 0
    .max_flat_workgroup_size: 1024
    .name:           _ZN5aiter20topk_softplus_kernelI12hip_bfloat166__halfDv2_fLb0ELi2EEEvPKT_PKT0_PfPimiiif
    .private_segment_fixed_size: 0
    .sgpr_count:     30
    .sgpr_spill_count: 0
    .symbol:         _ZN5aiter20topk_softplus_kernelI12hip_bfloat166__halfDv2_fLb0ELi2EEEvPKT_PKT0_PfPimiiif.kd
    .uniform_work_group_size: 1
    .uses_dynamic_stack: false
    .vgpr_count:     16
    .vgpr_spill_count: 0
    .wavefront_size: 64
  - .agpr_count:     0
    .args:
      - .actual_access:  read_only
        .address_space:  global
        .offset:         0
        .size:           8
        .value_kind:     global_buffer
      - .actual_access:  read_only
        .address_space:  global
        .offset:         8
        .size:           8
        .value_kind:     global_buffer
      - .actual_access:  write_only
        .address_space:  global
        .offset:         16
        .size:           8
        .value_kind:     global_buffer
      - .actual_access:  write_only
        .address_space:  global
        .offset:         24
        .size:           8
        .value_kind:     global_buffer
      - .offset:         32
        .size:           8
        .value_kind:     by_value
      - .offset:         40
        .size:           4
        .value_kind:     by_value
      - .offset:         44
        .size:           4
        .value_kind:     by_value
      - .offset:         48
        .size:           4
        .value_kind:     by_value
      - .offset:         52
        .size:           4
        .value_kind:     by_value
      - .offset:         56
        .size:           4
        .value_kind:     hidden_block_count_x
      - .offset:         60
        .size:           4
        .value_kind:     hidden_block_count_y
      - .offset:         64
        .size:           4
        .value_kind:     hidden_block_count_z
      - .offset:         68
        .size:           2
        .value_kind:     hidden_group_size_x
      - .offset:         70
        .size:           2
        .value_kind:     hidden_group_size_y
      - .offset:         72
        .size:           2
        .value_kind:     hidden_group_size_z
      - .offset:         74
        .size:           2
        .value_kind:     hidden_remainder_x
      - .offset:         76
        .size:           2
        .value_kind:     hidden_remainder_y
      - .offset:         78
        .size:           2
        .value_kind:     hidden_remainder_z
      - .offset:         96
        .size:           8
        .value_kind:     hidden_global_offset_x
      - .offset:         104
        .size:           8
        .value_kind:     hidden_global_offset_y
      - .offset:         112
        .size:           8
        .value_kind:     hidden_global_offset_z
      - .offset:         120
        .size:           2
        .value_kind:     hidden_grid_dims
      - .offset:         176
        .size:           4
        .value_kind:     hidden_dynamic_lds_size
    .group_segment_fixed_size: 0
    .kernarg_segment_align: 8
    .kernarg_segment_size: 312
    .language:       OpenCL C
    .language_version:
      - 2
      - 0
    .max_flat_workgroup_size: 1024
    .name:           _ZN5aiter20topk_softplus_kernelI12hip_bfloat166__halfDv1_fLb1ELi2EEEvPKT_PKT0_PfPimiiif
    .private_segment_fixed_size: 0
    .sgpr_count:     28
    .sgpr_spill_count: 0
    .symbol:         _ZN5aiter20topk_softplus_kernelI12hip_bfloat166__halfDv1_fLb1ELi2EEEvPKT_PKT0_PfPimiiif.kd
    .uniform_work_group_size: 1
    .uses_dynamic_stack: false
    .vgpr_count:     13
    .vgpr_spill_count: 0
    .wavefront_size: 64
  - .agpr_count:     0
    .args:
      - .actual_access:  read_only
        .address_space:  global
        .offset:         0
        .size:           8
        .value_kind:     global_buffer
      - .actual_access:  read_only
        .address_space:  global
        .offset:         8
        .size:           8
        .value_kind:     global_buffer
      - .actual_access:  write_only
        .address_space:  global
        .offset:         16
        .size:           8
        .value_kind:     global_buffer
      - .actual_access:  write_only
        .address_space:  global
        .offset:         24
        .size:           8
        .value_kind:     global_buffer
      - .offset:         32
        .size:           8
        .value_kind:     by_value
      - .offset:         40
        .size:           4
        .value_kind:     by_value
      - .offset:         44
        .size:           4
        .value_kind:     by_value
      - .offset:         48
        .size:           4
        .value_kind:     by_value
      - .offset:         52
        .size:           4
        .value_kind:     by_value
      - .offset:         56
        .size:           4
        .value_kind:     hidden_block_count_x
      - .offset:         60
        .size:           4
        .value_kind:     hidden_block_count_y
      - .offset:         64
        .size:           4
        .value_kind:     hidden_block_count_z
      - .offset:         68
        .size:           2
        .value_kind:     hidden_group_size_x
      - .offset:         70
        .size:           2
        .value_kind:     hidden_group_size_y
      - .offset:         72
        .size:           2
        .value_kind:     hidden_group_size_z
      - .offset:         74
        .size:           2
        .value_kind:     hidden_remainder_x
      - .offset:         76
        .size:           2
        .value_kind:     hidden_remainder_y
      - .offset:         78
        .size:           2
        .value_kind:     hidden_remainder_z
      - .offset:         96
        .size:           8
        .value_kind:     hidden_global_offset_x
      - .offset:         104
        .size:           8
        .value_kind:     hidden_global_offset_y
      - .offset:         112
        .size:           8
        .value_kind:     hidden_global_offset_z
      - .offset:         120
        .size:           2
        .value_kind:     hidden_grid_dims
      - .offset:         176
        .size:           4
        .value_kind:     hidden_dynamic_lds_size
    .group_segment_fixed_size: 0
    .kernarg_segment_align: 8
    .kernarg_segment_size: 312
    .language:       OpenCL C
    .language_version:
      - 2
      - 0
    .max_flat_workgroup_size: 1024
    .name:           _ZN5aiter20topk_softplus_kernelI12hip_bfloat166__halfDv1_fLb0ELi2EEEvPKT_PKT0_PfPimiiif
    .private_segment_fixed_size: 0
    .sgpr_count:     28
    .sgpr_spill_count: 0
    .symbol:         _ZN5aiter20topk_softplus_kernelI12hip_bfloat166__halfDv1_fLb0ELi2EEEvPKT_PKT0_PfPimiiif.kd
    .uniform_work_group_size: 1
    .uses_dynamic_stack: false
    .vgpr_count:     12
    .vgpr_spill_count: 0
    .wavefront_size: 64
  - .agpr_count:     0
    .args:
      - .actual_access:  read_only
        .address_space:  global
        .offset:         0
        .size:           8
        .value_kind:     global_buffer
      - .actual_access:  read_only
        .address_space:  global
        .offset:         8
        .size:           8
        .value_kind:     global_buffer
      - .actual_access:  write_only
        .address_space:  global
        .offset:         16
        .size:           8
        .value_kind:     global_buffer
      - .actual_access:  write_only
        .address_space:  global
        .offset:         24
        .size:           8
        .value_kind:     global_buffer
      - .offset:         32
        .size:           8
        .value_kind:     by_value
      - .offset:         40
        .size:           4
        .value_kind:     by_value
      - .offset:         44
        .size:           4
        .value_kind:     by_value
      - .offset:         48
        .size:           4
        .value_kind:     by_value
    .group_segment_fixed_size: 0
    .kernarg_segment_align: 8
    .kernarg_segment_size: 52
    .language:       OpenCL C
    .language_version:
      - 2
      - 0
    .max_flat_workgroup_size: 1024
    .name:           _ZN5aiter24topk_softplus_kernel_optI12hip_bfloat166__halfLi64ELb1ELi0EEEvPKT_PKT0_PfPimiif
    .private_segment_fixed_size: 0
    .sgpr_count:     17
    .sgpr_spill_count: 0
    .symbol:         _ZN5aiter24topk_softplus_kernel_optI12hip_bfloat166__halfLi64ELb1ELi0EEEvPKT_PKT0_PfPimiif.kd
    .uniform_work_group_size: 1
    .uses_dynamic_stack: false
    .vgpr_count:     13
    .vgpr_spill_count: 0
    .wavefront_size: 64
  - .agpr_count:     0
    .args:
      - .actual_access:  read_only
        .address_space:  global
        .offset:         0
        .size:           8
        .value_kind:     global_buffer
      - .actual_access:  read_only
        .address_space:  global
        .offset:         8
        .size:           8
        .value_kind:     global_buffer
      - .actual_access:  write_only
        .address_space:  global
        .offset:         16
        .size:           8
        .value_kind:     global_buffer
      - .actual_access:  write_only
        .address_space:  global
        .offset:         24
        .size:           8
        .value_kind:     global_buffer
      - .offset:         32
        .size:           8
        .value_kind:     by_value
      - .offset:         40
        .size:           4
        .value_kind:     by_value
      - .offset:         44
        .size:           4
        .value_kind:     by_value
      - .offset:         48
        .size:           4
        .value_kind:     by_value
    .group_segment_fixed_size: 0
    .kernarg_segment_align: 8
    .kernarg_segment_size: 52
    .language:       OpenCL C
    .language_version:
      - 2
      - 0
    .max_flat_workgroup_size: 1024
    .name:           _ZN5aiter24topk_softplus_kernel_optI12hip_bfloat166__halfLi64ELb0ELi0EEEvPKT_PKT0_PfPimiif
    .private_segment_fixed_size: 0
    .sgpr_count:     17
    .sgpr_spill_count: 0
    .symbol:         _ZN5aiter24topk_softplus_kernel_optI12hip_bfloat166__halfLi64ELb0ELi0EEEvPKT_PKT0_PfPimiif.kd
    .uniform_work_group_size: 1
    .uses_dynamic_stack: false
    .vgpr_count:     12
    .vgpr_spill_count: 0
    .wavefront_size: 64
  - .agpr_count:     0
    .args:
      - .actual_access:  read_only
        .address_space:  global
        .offset:         0
        .size:           8
        .value_kind:     global_buffer
      - .actual_access:  read_only
        .address_space:  global
        .offset:         8
        .size:           8
        .value_kind:     global_buffer
      - .actual_access:  write_only
        .address_space:  global
        .offset:         16
        .size:           8
        .value_kind:     global_buffer
      - .actual_access:  write_only
        .address_space:  global
        .offset:         24
        .size:           8
        .value_kind:     global_buffer
      - .offset:         32
        .size:           8
        .value_kind:     by_value
      - .offset:         40
        .size:           4
        .value_kind:     by_value
      - .offset:         44
        .size:           4
        .value_kind:     by_value
      - .offset:         48
        .size:           4
        .value_kind:     by_value
    .group_segment_fixed_size: 0
    .kernarg_segment_align: 8
    .kernarg_segment_size: 52
    .language:       OpenCL C
    .language_version:
      - 2
      - 0
    .max_flat_workgroup_size: 1024
    .name:           _ZN5aiter24topk_softplus_kernel_optI12hip_bfloat166__halfLi128ELb1ELi0EEEvPKT_PKT0_PfPimiif
    .private_segment_fixed_size: 0
    .sgpr_count:     19
    .sgpr_spill_count: 0
    .symbol:         _ZN5aiter24topk_softplus_kernel_optI12hip_bfloat166__halfLi128ELb1ELi0EEEvPKT_PKT0_PfPimiif.kd
    .uniform_work_group_size: 1
    .uses_dynamic_stack: false
    .vgpr_count:     20
    .vgpr_spill_count: 0
    .wavefront_size: 64
  - .agpr_count:     0
    .args:
      - .actual_access:  read_only
        .address_space:  global
        .offset:         0
        .size:           8
        .value_kind:     global_buffer
      - .actual_access:  read_only
        .address_space:  global
        .offset:         8
        .size:           8
        .value_kind:     global_buffer
      - .actual_access:  write_only
        .address_space:  global
        .offset:         16
        .size:           8
        .value_kind:     global_buffer
      - .actual_access:  write_only
        .address_space:  global
        .offset:         24
        .size:           8
        .value_kind:     global_buffer
      - .offset:         32
        .size:           8
        .value_kind:     by_value
      - .offset:         40
        .size:           4
        .value_kind:     by_value
      - .offset:         44
        .size:           4
        .value_kind:     by_value
      - .offset:         48
        .size:           4
        .value_kind:     by_value
    .group_segment_fixed_size: 0
    .kernarg_segment_align: 8
    .kernarg_segment_size: 52
    .language:       OpenCL C
    .language_version:
      - 2
      - 0
    .max_flat_workgroup_size: 1024
    .name:           _ZN5aiter24topk_softplus_kernel_optI12hip_bfloat166__halfLi128ELb0ELi0EEEvPKT_PKT0_PfPimiif
    .private_segment_fixed_size: 0
    .sgpr_count:     19
    .sgpr_spill_count: 0
    .symbol:         _ZN5aiter24topk_softplus_kernel_optI12hip_bfloat166__halfLi128ELb0ELi0EEEvPKT_PKT0_PfPimiif.kd
    .uniform_work_group_size: 1
    .uses_dynamic_stack: false
    .vgpr_count:     19
    .vgpr_spill_count: 0
    .wavefront_size: 64
  - .agpr_count:     0
    .args:
      - .actual_access:  read_only
        .address_space:  global
        .offset:         0
        .size:           8
        .value_kind:     global_buffer
      - .actual_access:  read_only
        .address_space:  global
        .offset:         8
        .size:           8
        .value_kind:     global_buffer
      - .actual_access:  write_only
        .address_space:  global
        .offset:         16
        .size:           8
        .value_kind:     global_buffer
      - .actual_access:  write_only
        .address_space:  global
        .offset:         24
        .size:           8
        .value_kind:     global_buffer
      - .offset:         32
        .size:           8
        .value_kind:     by_value
      - .offset:         40
        .size:           4
        .value_kind:     by_value
      - .offset:         44
        .size:           4
        .value_kind:     by_value
      - .offset:         48
        .size:           4
        .value_kind:     by_value
    .group_segment_fixed_size: 0
    .kernarg_segment_align: 8
    .kernarg_segment_size: 52
    .language:       OpenCL C
    .language_version:
      - 2
      - 0
    .max_flat_workgroup_size: 1024
    .name:           _ZN5aiter24topk_softplus_kernel_optI12hip_bfloat166__halfLi256ELb1ELi0EEEvPKT_PKT0_PfPimiif
    .private_segment_fixed_size: 0
    .sgpr_count:     19
    .sgpr_spill_count: 0
    .symbol:         _ZN5aiter24topk_softplus_kernel_optI12hip_bfloat166__halfLi256ELb1ELi0EEEvPKT_PKT0_PfPimiif.kd
    .uniform_work_group_size: 1
    .uses_dynamic_stack: false
    .vgpr_count:     26
    .vgpr_spill_count: 0
    .wavefront_size: 64
  - .agpr_count:     0
    .args:
      - .actual_access:  read_only
        .address_space:  global
        .offset:         0
        .size:           8
        .value_kind:     global_buffer
      - .actual_access:  read_only
        .address_space:  global
        .offset:         8
        .size:           8
        .value_kind:     global_buffer
      - .actual_access:  write_only
        .address_space:  global
        .offset:         16
        .size:           8
        .value_kind:     global_buffer
      - .actual_access:  write_only
        .address_space:  global
        .offset:         24
        .size:           8
        .value_kind:     global_buffer
      - .offset:         32
        .size:           8
        .value_kind:     by_value
      - .offset:         40
        .size:           4
        .value_kind:     by_value
      - .offset:         44
        .size:           4
        .value_kind:     by_value
      - .offset:         48
        .size:           4
        .value_kind:     by_value
    .group_segment_fixed_size: 0
    .kernarg_segment_align: 8
    .kernarg_segment_size: 52
    .language:       OpenCL C
    .language_version:
      - 2
      - 0
    .max_flat_workgroup_size: 1024
    .name:           _ZN5aiter24topk_softplus_kernel_optI12hip_bfloat166__halfLi256ELb0ELi0EEEvPKT_PKT0_PfPimiif
    .private_segment_fixed_size: 0
    .sgpr_count:     19
    .sgpr_spill_count: 0
    .symbol:         _ZN5aiter24topk_softplus_kernel_optI12hip_bfloat166__halfLi256ELb0ELi0EEEvPKT_PKT0_PfPimiif.kd
    .uniform_work_group_size: 1
    .uses_dynamic_stack: false
    .vgpr_count:     25
    .vgpr_spill_count: 0
    .wavefront_size: 64
  - .agpr_count:     0
    .args:
      - .actual_access:  read_only
        .address_space:  global
        .offset:         0
        .size:           8
        .value_kind:     global_buffer
      - .actual_access:  read_only
        .address_space:  global
        .offset:         8
        .size:           8
        .value_kind:     global_buffer
      - .actual_access:  write_only
        .address_space:  global
        .offset:         16
        .size:           8
        .value_kind:     global_buffer
      - .actual_access:  write_only
        .address_space:  global
        .offset:         24
        .size:           8
        .value_kind:     global_buffer
      - .offset:         32
        .size:           8
        .value_kind:     by_value
      - .offset:         40
        .size:           4
        .value_kind:     by_value
      - .offset:         44
        .size:           4
        .value_kind:     by_value
      - .offset:         48
        .size:           4
        .value_kind:     by_value
    .group_segment_fixed_size: 0
    .kernarg_segment_align: 8
    .kernarg_segment_size: 52
    .language:       OpenCL C
    .language_version:
      - 2
      - 0
    .max_flat_workgroup_size: 1024
    .name:           _ZN5aiter24topk_softplus_kernel_optI12hip_bfloat166__halfLi384ELb1ELi0EEEvPKT_PKT0_PfPimiif
    .private_segment_fixed_size: 0
    .sgpr_count:     26
    .sgpr_spill_count: 0
    .symbol:         _ZN5aiter24topk_softplus_kernel_optI12hip_bfloat166__halfLi384ELb1ELi0EEEvPKT_PKT0_PfPimiif.kd
    .uniform_work_group_size: 1
    .uses_dynamic_stack: false
    .vgpr_count:     29
    .vgpr_spill_count: 0
    .wavefront_size: 64
  - .agpr_count:     0
    .args:
      - .actual_access:  read_only
        .address_space:  global
        .offset:         0
        .size:           8
        .value_kind:     global_buffer
      - .actual_access:  read_only
        .address_space:  global
        .offset:         8
        .size:           8
        .value_kind:     global_buffer
      - .actual_access:  write_only
        .address_space:  global
        .offset:         16
        .size:           8
        .value_kind:     global_buffer
      - .actual_access:  write_only
        .address_space:  global
        .offset:         24
        .size:           8
        .value_kind:     global_buffer
      - .offset:         32
        .size:           8
        .value_kind:     by_value
      - .offset:         40
        .size:           4
        .value_kind:     by_value
      - .offset:         44
        .size:           4
        .value_kind:     by_value
      - .offset:         48
        .size:           4
        .value_kind:     by_value
    .group_segment_fixed_size: 0
    .kernarg_segment_align: 8
    .kernarg_segment_size: 52
    .language:       OpenCL C
    .language_version:
      - 2
      - 0
    .max_flat_workgroup_size: 1024
    .name:           _ZN5aiter24topk_softplus_kernel_optI12hip_bfloat166__halfLi384ELb0ELi0EEEvPKT_PKT0_PfPimiif
    .private_segment_fixed_size: 0
    .sgpr_count:     26
    .sgpr_spill_count: 0
    .symbol:         _ZN5aiter24topk_softplus_kernel_optI12hip_bfloat166__halfLi384ELb0ELi0EEEvPKT_PKT0_PfPimiif.kd
    .uniform_work_group_size: 1
    .uses_dynamic_stack: false
    .vgpr_count:     28
    .vgpr_spill_count: 0
    .wavefront_size: 64
  - .agpr_count:     0
    .args:
      - .actual_access:  read_only
        .address_space:  global
        .offset:         0
        .size:           8
        .value_kind:     global_buffer
      - .actual_access:  read_only
        .address_space:  global
        .offset:         8
        .size:           8
        .value_kind:     global_buffer
      - .actual_access:  write_only
        .address_space:  global
        .offset:         16
        .size:           8
        .value_kind:     global_buffer
      - .actual_access:  write_only
        .address_space:  global
        .offset:         24
        .size:           8
        .value_kind:     global_buffer
      - .offset:         32
        .size:           8
        .value_kind:     by_value
      - .offset:         40
        .size:           4
        .value_kind:     by_value
      - .offset:         44
        .size:           4
        .value_kind:     by_value
      - .offset:         48
        .size:           4
        .value_kind:     by_value
      - .offset:         52
        .size:           4
        .value_kind:     by_value
      - .offset:         56
        .size:           4
        .value_kind:     hidden_block_count_x
      - .offset:         60
        .size:           4
        .value_kind:     hidden_block_count_y
      - .offset:         64
        .size:           4
        .value_kind:     hidden_block_count_z
      - .offset:         68
        .size:           2
        .value_kind:     hidden_group_size_x
      - .offset:         70
        .size:           2
        .value_kind:     hidden_group_size_y
      - .offset:         72
        .size:           2
        .value_kind:     hidden_group_size_z
      - .offset:         74
        .size:           2
        .value_kind:     hidden_remainder_x
      - .offset:         76
        .size:           2
        .value_kind:     hidden_remainder_y
      - .offset:         78
        .size:           2
        .value_kind:     hidden_remainder_z
      - .offset:         96
        .size:           8
        .value_kind:     hidden_global_offset_x
      - .offset:         104
        .size:           8
        .value_kind:     hidden_global_offset_y
      - .offset:         112
        .size:           8
        .value_kind:     hidden_global_offset_z
      - .offset:         120
        .size:           2
        .value_kind:     hidden_grid_dims
      - .offset:         176
        .size:           4
        .value_kind:     hidden_dynamic_lds_size
    .group_segment_fixed_size: 0
    .kernarg_segment_align: 8
    .kernarg_segment_size: 312
    .language:       OpenCL C
    .language_version:
      - 2
      - 0
    .max_flat_workgroup_size: 1024
    .name:           _ZN5aiter20topk_softplus_kernelI12hip_bfloat166__halfDv4_fLb1ELi0EEEvPKT_PKT0_PfPimiiif
    .private_segment_fixed_size: 0
    .sgpr_count:     47
    .sgpr_spill_count: 0
    .symbol:         _ZN5aiter20topk_softplus_kernelI12hip_bfloat166__halfDv4_fLb1ELi0EEEvPKT_PKT0_PfPimiiif.kd
    .uniform_work_group_size: 1
    .uses_dynamic_stack: false
    .vgpr_count:     26
    .vgpr_spill_count: 0
    .wavefront_size: 64
  - .agpr_count:     0
    .args:
      - .actual_access:  read_only
        .address_space:  global
        .offset:         0
        .size:           8
        .value_kind:     global_buffer
      - .actual_access:  read_only
        .address_space:  global
        .offset:         8
        .size:           8
        .value_kind:     global_buffer
      - .actual_access:  write_only
        .address_space:  global
        .offset:         16
        .size:           8
        .value_kind:     global_buffer
      - .actual_access:  write_only
        .address_space:  global
        .offset:         24
        .size:           8
        .value_kind:     global_buffer
      - .offset:         32
        .size:           8
        .value_kind:     by_value
      - .offset:         40
        .size:           4
        .value_kind:     by_value
      - .offset:         44
        .size:           4
        .value_kind:     by_value
      - .offset:         48
        .size:           4
        .value_kind:     by_value
      - .offset:         52
        .size:           4
        .value_kind:     by_value
      - .offset:         56
        .size:           4
        .value_kind:     hidden_block_count_x
      - .offset:         60
        .size:           4
        .value_kind:     hidden_block_count_y
      - .offset:         64
        .size:           4
        .value_kind:     hidden_block_count_z
      - .offset:         68
        .size:           2
        .value_kind:     hidden_group_size_x
      - .offset:         70
        .size:           2
        .value_kind:     hidden_group_size_y
      - .offset:         72
        .size:           2
        .value_kind:     hidden_group_size_z
      - .offset:         74
        .size:           2
        .value_kind:     hidden_remainder_x
      - .offset:         76
        .size:           2
        .value_kind:     hidden_remainder_y
      - .offset:         78
        .size:           2
        .value_kind:     hidden_remainder_z
      - .offset:         96
        .size:           8
        .value_kind:     hidden_global_offset_x
      - .offset:         104
        .size:           8
        .value_kind:     hidden_global_offset_y
      - .offset:         112
        .size:           8
        .value_kind:     hidden_global_offset_z
      - .offset:         120
        .size:           2
        .value_kind:     hidden_grid_dims
      - .offset:         176
        .size:           4
        .value_kind:     hidden_dynamic_lds_size
    .group_segment_fixed_size: 0
    .kernarg_segment_align: 8
    .kernarg_segment_size: 312
    .language:       OpenCL C
    .language_version:
      - 2
      - 0
    .max_flat_workgroup_size: 1024
    .name:           _ZN5aiter20topk_softplus_kernelI12hip_bfloat166__halfDv4_fLb0ELi0EEEvPKT_PKT0_PfPimiiif
    .private_segment_fixed_size: 0
    .sgpr_count:     47
    .sgpr_spill_count: 0
    .symbol:         _ZN5aiter20topk_softplus_kernelI12hip_bfloat166__halfDv4_fLb0ELi0EEEvPKT_PKT0_PfPimiiif.kd
    .uniform_work_group_size: 1
    .uses_dynamic_stack: false
    .vgpr_count:     26
    .vgpr_spill_count: 0
    .wavefront_size: 64
  - .agpr_count:     0
    .args:
      - .actual_access:  read_only
        .address_space:  global
        .offset:         0
        .size:           8
        .value_kind:     global_buffer
      - .actual_access:  read_only
        .address_space:  global
        .offset:         8
        .size:           8
        .value_kind:     global_buffer
      - .actual_access:  write_only
        .address_space:  global
        .offset:         16
        .size:           8
        .value_kind:     global_buffer
      - .actual_access:  write_only
        .address_space:  global
        .offset:         24
        .size:           8
        .value_kind:     global_buffer
      - .offset:         32
        .size:           8
        .value_kind:     by_value
      - .offset:         40
        .size:           4
        .value_kind:     by_value
      - .offset:         44
        .size:           4
        .value_kind:     by_value
      - .offset:         48
        .size:           4
        .value_kind:     by_value
      - .offset:         52
        .size:           4
        .value_kind:     by_value
      - .offset:         56
        .size:           4
        .value_kind:     hidden_block_count_x
      - .offset:         60
        .size:           4
        .value_kind:     hidden_block_count_y
      - .offset:         64
        .size:           4
        .value_kind:     hidden_block_count_z
      - .offset:         68
        .size:           2
        .value_kind:     hidden_group_size_x
      - .offset:         70
        .size:           2
        .value_kind:     hidden_group_size_y
      - .offset:         72
        .size:           2
        .value_kind:     hidden_group_size_z
      - .offset:         74
        .size:           2
        .value_kind:     hidden_remainder_x
      - .offset:         76
        .size:           2
        .value_kind:     hidden_remainder_y
      - .offset:         78
        .size:           2
        .value_kind:     hidden_remainder_z
      - .offset:         96
        .size:           8
        .value_kind:     hidden_global_offset_x
      - .offset:         104
        .size:           8
        .value_kind:     hidden_global_offset_y
      - .offset:         112
        .size:           8
        .value_kind:     hidden_global_offset_z
      - .offset:         120
        .size:           2
        .value_kind:     hidden_grid_dims
      - .offset:         176
        .size:           4
        .value_kind:     hidden_dynamic_lds_size
    .group_segment_fixed_size: 0
    .kernarg_segment_align: 8
    .kernarg_segment_size: 312
    .language:       OpenCL C
    .language_version:
      - 2
      - 0
    .max_flat_workgroup_size: 1024
    .name:           _ZN5aiter20topk_softplus_kernelI12hip_bfloat166__halfDv2_fLb1ELi0EEEvPKT_PKT0_PfPimiiif
    .private_segment_fixed_size: 0
    .sgpr_count:     36
    .sgpr_spill_count: 0
    .symbol:         _ZN5aiter20topk_softplus_kernelI12hip_bfloat166__halfDv2_fLb1ELi0EEEvPKT_PKT0_PfPimiiif.kd
    .uniform_work_group_size: 1
    .uses_dynamic_stack: false
    .vgpr_count:     21
    .vgpr_spill_count: 0
    .wavefront_size: 64
  - .agpr_count:     0
    .args:
      - .actual_access:  read_only
        .address_space:  global
        .offset:         0
        .size:           8
        .value_kind:     global_buffer
      - .actual_access:  read_only
        .address_space:  global
        .offset:         8
        .size:           8
        .value_kind:     global_buffer
      - .actual_access:  write_only
        .address_space:  global
        .offset:         16
        .size:           8
        .value_kind:     global_buffer
      - .actual_access:  write_only
        .address_space:  global
        .offset:         24
        .size:           8
        .value_kind:     global_buffer
      - .offset:         32
        .size:           8
        .value_kind:     by_value
      - .offset:         40
        .size:           4
        .value_kind:     by_value
      - .offset:         44
        .size:           4
        .value_kind:     by_value
      - .offset:         48
        .size:           4
        .value_kind:     by_value
      - .offset:         52
        .size:           4
        .value_kind:     by_value
      - .offset:         56
        .size:           4
        .value_kind:     hidden_block_count_x
      - .offset:         60
        .size:           4
        .value_kind:     hidden_block_count_y
      - .offset:         64
        .size:           4
        .value_kind:     hidden_block_count_z
      - .offset:         68
        .size:           2
        .value_kind:     hidden_group_size_x
      - .offset:         70
        .size:           2
        .value_kind:     hidden_group_size_y
      - .offset:         72
        .size:           2
        .value_kind:     hidden_group_size_z
      - .offset:         74
        .size:           2
        .value_kind:     hidden_remainder_x
      - .offset:         76
        .size:           2
        .value_kind:     hidden_remainder_y
      - .offset:         78
        .size:           2
        .value_kind:     hidden_remainder_z
      - .offset:         96
        .size:           8
        .value_kind:     hidden_global_offset_x
      - .offset:         104
        .size:           8
        .value_kind:     hidden_global_offset_y
      - .offset:         112
        .size:           8
        .value_kind:     hidden_global_offset_z
      - .offset:         120
        .size:           2
        .value_kind:     hidden_grid_dims
      - .offset:         176
        .size:           4
        .value_kind:     hidden_dynamic_lds_size
    .group_segment_fixed_size: 0
    .kernarg_segment_align: 8
    .kernarg_segment_size: 312
    .language:       OpenCL C
    .language_version:
      - 2
      - 0
    .max_flat_workgroup_size: 1024
    .name:           _ZN5aiter20topk_softplus_kernelI12hip_bfloat166__halfDv2_fLb0ELi0EEEvPKT_PKT0_PfPimiiif
    .private_segment_fixed_size: 0
    .sgpr_count:     36
    .sgpr_spill_count: 0
    .symbol:         _ZN5aiter20topk_softplus_kernelI12hip_bfloat166__halfDv2_fLb0ELi0EEEvPKT_PKT0_PfPimiiif.kd
    .uniform_work_group_size: 1
    .uses_dynamic_stack: false
    .vgpr_count:     21
    .vgpr_spill_count: 0
    .wavefront_size: 64
  - .agpr_count:     0
    .args:
      - .actual_access:  read_only
        .address_space:  global
        .offset:         0
        .size:           8
        .value_kind:     global_buffer
      - .actual_access:  read_only
        .address_space:  global
        .offset:         8
        .size:           8
        .value_kind:     global_buffer
      - .actual_access:  write_only
        .address_space:  global
        .offset:         16
        .size:           8
        .value_kind:     global_buffer
      - .actual_access:  write_only
        .address_space:  global
        .offset:         24
        .size:           8
        .value_kind:     global_buffer
      - .offset:         32
        .size:           8
        .value_kind:     by_value
      - .offset:         40
        .size:           4
        .value_kind:     by_value
      - .offset:         44
        .size:           4
        .value_kind:     by_value
      - .offset:         48
        .size:           4
        .value_kind:     by_value
      - .offset:         52
        .size:           4
        .value_kind:     by_value
      - .offset:         56
        .size:           4
        .value_kind:     hidden_block_count_x
      - .offset:         60
        .size:           4
        .value_kind:     hidden_block_count_y
      - .offset:         64
        .size:           4
        .value_kind:     hidden_block_count_z
      - .offset:         68
        .size:           2
        .value_kind:     hidden_group_size_x
      - .offset:         70
        .size:           2
        .value_kind:     hidden_group_size_y
      - .offset:         72
        .size:           2
        .value_kind:     hidden_group_size_z
      - .offset:         74
        .size:           2
        .value_kind:     hidden_remainder_x
      - .offset:         76
        .size:           2
        .value_kind:     hidden_remainder_y
      - .offset:         78
        .size:           2
        .value_kind:     hidden_remainder_z
      - .offset:         96
        .size:           8
        .value_kind:     hidden_global_offset_x
      - .offset:         104
        .size:           8
        .value_kind:     hidden_global_offset_y
      - .offset:         112
        .size:           8
        .value_kind:     hidden_global_offset_z
      - .offset:         120
        .size:           2
        .value_kind:     hidden_grid_dims
      - .offset:         176
        .size:           4
        .value_kind:     hidden_dynamic_lds_size
    .group_segment_fixed_size: 0
    .kernarg_segment_align: 8
    .kernarg_segment_size: 312
    .language:       OpenCL C
    .language_version:
      - 2
      - 0
    .max_flat_workgroup_size: 1024
    .name:           _ZN5aiter20topk_softplus_kernelI12hip_bfloat166__halfDv1_fLb1ELi0EEEvPKT_PKT0_PfPimiiif
    .private_segment_fixed_size: 0
    .sgpr_count:     34
    .sgpr_spill_count: 0
    .symbol:         _ZN5aiter20topk_softplus_kernelI12hip_bfloat166__halfDv1_fLb1ELi0EEEvPKT_PKT0_PfPimiiif.kd
    .uniform_work_group_size: 1
    .uses_dynamic_stack: false
    .vgpr_count:     18
    .vgpr_spill_count: 0
    .wavefront_size: 64
  - .agpr_count:     0
    .args:
      - .actual_access:  read_only
        .address_space:  global
        .offset:         0
        .size:           8
        .value_kind:     global_buffer
      - .actual_access:  read_only
        .address_space:  global
        .offset:         8
        .size:           8
        .value_kind:     global_buffer
      - .actual_access:  write_only
        .address_space:  global
        .offset:         16
        .size:           8
        .value_kind:     global_buffer
      - .actual_access:  write_only
        .address_space:  global
        .offset:         24
        .size:           8
        .value_kind:     global_buffer
      - .offset:         32
        .size:           8
        .value_kind:     by_value
      - .offset:         40
        .size:           4
        .value_kind:     by_value
      - .offset:         44
        .size:           4
        .value_kind:     by_value
      - .offset:         48
        .size:           4
        .value_kind:     by_value
      - .offset:         52
        .size:           4
        .value_kind:     by_value
      - .offset:         56
        .size:           4
        .value_kind:     hidden_block_count_x
      - .offset:         60
        .size:           4
        .value_kind:     hidden_block_count_y
      - .offset:         64
        .size:           4
        .value_kind:     hidden_block_count_z
      - .offset:         68
        .size:           2
        .value_kind:     hidden_group_size_x
      - .offset:         70
        .size:           2
        .value_kind:     hidden_group_size_y
      - .offset:         72
        .size:           2
        .value_kind:     hidden_group_size_z
      - .offset:         74
        .size:           2
        .value_kind:     hidden_remainder_x
      - .offset:         76
        .size:           2
        .value_kind:     hidden_remainder_y
      - .offset:         78
        .size:           2
        .value_kind:     hidden_remainder_z
      - .offset:         96
        .size:           8
        .value_kind:     hidden_global_offset_x
      - .offset:         104
        .size:           8
        .value_kind:     hidden_global_offset_y
      - .offset:         112
        .size:           8
        .value_kind:     hidden_global_offset_z
      - .offset:         120
        .size:           2
        .value_kind:     hidden_grid_dims
      - .offset:         176
        .size:           4
        .value_kind:     hidden_dynamic_lds_size
    .group_segment_fixed_size: 0
    .kernarg_segment_align: 8
    .kernarg_segment_size: 312
    .language:       OpenCL C
    .language_version:
      - 2
      - 0
    .max_flat_workgroup_size: 1024
    .name:           _ZN5aiter20topk_softplus_kernelI12hip_bfloat166__halfDv1_fLb0ELi0EEEvPKT_PKT0_PfPimiiif
    .private_segment_fixed_size: 0
    .sgpr_count:     34
    .sgpr_spill_count: 0
    .symbol:         _ZN5aiter20topk_softplus_kernelI12hip_bfloat166__halfDv1_fLb0ELi0EEEvPKT_PKT0_PfPimiiif.kd
    .uniform_work_group_size: 1
    .uses_dynamic_stack: false
    .vgpr_count:     18
    .vgpr_spill_count: 0
    .wavefront_size: 64
  - .agpr_count:     0
    .args:
      - .actual_access:  read_only
        .address_space:  global
        .offset:         0
        .size:           8
        .value_kind:     global_buffer
      - .actual_access:  read_only
        .address_space:  global
        .offset:         8
        .size:           8
        .value_kind:     global_buffer
      - .actual_access:  write_only
        .address_space:  global
        .offset:         16
        .size:           8
        .value_kind:     global_buffer
      - .actual_access:  write_only
        .address_space:  global
        .offset:         24
        .size:           8
        .value_kind:     global_buffer
      - .offset:         32
        .size:           8
        .value_kind:     by_value
      - .offset:         40
        .size:           4
        .value_kind:     by_value
      - .offset:         44
        .size:           4
        .value_kind:     by_value
      - .offset:         48
        .size:           4
        .value_kind:     by_value
    .group_segment_fixed_size: 0
    .kernarg_segment_align: 8
    .kernarg_segment_size: 52
    .language:       OpenCL C
    .language_version:
      - 2
      - 0
    .max_flat_workgroup_size: 1024
    .name:           _ZN5aiter24topk_softplus_kernel_optI12hip_bfloat16S1_Li64ELb1ELi1EEEvPKT_PKT0_PfPimiif
    .private_segment_fixed_size: 0
    .sgpr_count:     17
    .sgpr_spill_count: 0
    .symbol:         _ZN5aiter24topk_softplus_kernel_optI12hip_bfloat16S1_Li64ELb1ELi1EEEvPKT_PKT0_PfPimiif.kd
    .uniform_work_group_size: 1
    .uses_dynamic_stack: false
    .vgpr_count:     13
    .vgpr_spill_count: 0
    .wavefront_size: 64
  - .agpr_count:     0
    .args:
      - .actual_access:  read_only
        .address_space:  global
        .offset:         0
        .size:           8
        .value_kind:     global_buffer
      - .actual_access:  read_only
        .address_space:  global
        .offset:         8
        .size:           8
        .value_kind:     global_buffer
      - .actual_access:  write_only
        .address_space:  global
        .offset:         16
        .size:           8
        .value_kind:     global_buffer
      - .actual_access:  write_only
        .address_space:  global
        .offset:         24
        .size:           8
        .value_kind:     global_buffer
      - .offset:         32
        .size:           8
        .value_kind:     by_value
      - .offset:         40
        .size:           4
        .value_kind:     by_value
      - .offset:         44
        .size:           4
        .value_kind:     by_value
      - .offset:         48
        .size:           4
        .value_kind:     by_value
    .group_segment_fixed_size: 0
    .kernarg_segment_align: 8
    .kernarg_segment_size: 52
    .language:       OpenCL C
    .language_version:
      - 2
      - 0
    .max_flat_workgroup_size: 1024
    .name:           _ZN5aiter24topk_softplus_kernel_optI12hip_bfloat16S1_Li64ELb0ELi1EEEvPKT_PKT0_PfPimiif
    .private_segment_fixed_size: 0
    .sgpr_count:     17
    .sgpr_spill_count: 0
    .symbol:         _ZN5aiter24topk_softplus_kernel_optI12hip_bfloat16S1_Li64ELb0ELi1EEEvPKT_PKT0_PfPimiif.kd
    .uniform_work_group_size: 1
    .uses_dynamic_stack: false
    .vgpr_count:     12
    .vgpr_spill_count: 0
    .wavefront_size: 64
  - .agpr_count:     0
    .args:
      - .actual_access:  read_only
        .address_space:  global
        .offset:         0
        .size:           8
        .value_kind:     global_buffer
      - .actual_access:  read_only
        .address_space:  global
        .offset:         8
        .size:           8
        .value_kind:     global_buffer
      - .actual_access:  write_only
        .address_space:  global
        .offset:         16
        .size:           8
        .value_kind:     global_buffer
      - .actual_access:  write_only
        .address_space:  global
        .offset:         24
        .size:           8
        .value_kind:     global_buffer
      - .offset:         32
        .size:           8
        .value_kind:     by_value
      - .offset:         40
        .size:           4
        .value_kind:     by_value
      - .offset:         44
        .size:           4
        .value_kind:     by_value
      - .offset:         48
        .size:           4
        .value_kind:     by_value
    .group_segment_fixed_size: 0
    .kernarg_segment_align: 8
    .kernarg_segment_size: 52
    .language:       OpenCL C
    .language_version:
      - 2
      - 0
    .max_flat_workgroup_size: 1024
    .name:           _ZN5aiter24topk_softplus_kernel_optI12hip_bfloat16S1_Li128ELb1ELi1EEEvPKT_PKT0_PfPimiif
    .private_segment_fixed_size: 0
    .sgpr_count:     17
    .sgpr_spill_count: 0
    .symbol:         _ZN5aiter24topk_softplus_kernel_optI12hip_bfloat16S1_Li128ELb1ELi1EEEvPKT_PKT0_PfPimiif.kd
    .uniform_work_group_size: 1
    .uses_dynamic_stack: false
    .vgpr_count:     20
    .vgpr_spill_count: 0
    .wavefront_size: 64
  - .agpr_count:     0
    .args:
      - .actual_access:  read_only
        .address_space:  global
        .offset:         0
        .size:           8
        .value_kind:     global_buffer
      - .actual_access:  read_only
        .address_space:  global
        .offset:         8
        .size:           8
        .value_kind:     global_buffer
      - .actual_access:  write_only
        .address_space:  global
        .offset:         16
        .size:           8
        .value_kind:     global_buffer
      - .actual_access:  write_only
        .address_space:  global
        .offset:         24
        .size:           8
        .value_kind:     global_buffer
      - .offset:         32
        .size:           8
        .value_kind:     by_value
      - .offset:         40
        .size:           4
        .value_kind:     by_value
      - .offset:         44
        .size:           4
        .value_kind:     by_value
      - .offset:         48
        .size:           4
        .value_kind:     by_value
    .group_segment_fixed_size: 0
    .kernarg_segment_align: 8
    .kernarg_segment_size: 52
    .language:       OpenCL C
    .language_version:
      - 2
      - 0
    .max_flat_workgroup_size: 1024
    .name:           _ZN5aiter24topk_softplus_kernel_optI12hip_bfloat16S1_Li128ELb0ELi1EEEvPKT_PKT0_PfPimiif
    .private_segment_fixed_size: 0
    .sgpr_count:     17
    .sgpr_spill_count: 0
    .symbol:         _ZN5aiter24topk_softplus_kernel_optI12hip_bfloat16S1_Li128ELb0ELi1EEEvPKT_PKT0_PfPimiif.kd
    .uniform_work_group_size: 1
    .uses_dynamic_stack: false
    .vgpr_count:     19
    .vgpr_spill_count: 0
    .wavefront_size: 64
  - .agpr_count:     0
    .args:
      - .actual_access:  read_only
        .address_space:  global
        .offset:         0
        .size:           8
        .value_kind:     global_buffer
      - .actual_access:  read_only
        .address_space:  global
        .offset:         8
        .size:           8
        .value_kind:     global_buffer
      - .actual_access:  write_only
        .address_space:  global
        .offset:         16
        .size:           8
        .value_kind:     global_buffer
      - .actual_access:  write_only
        .address_space:  global
        .offset:         24
        .size:           8
        .value_kind:     global_buffer
      - .offset:         32
        .size:           8
        .value_kind:     by_value
      - .offset:         40
        .size:           4
        .value_kind:     by_value
      - .offset:         44
        .size:           4
        .value_kind:     by_value
      - .offset:         48
        .size:           4
        .value_kind:     by_value
    .group_segment_fixed_size: 0
    .kernarg_segment_align: 8
    .kernarg_segment_size: 52
    .language:       OpenCL C
    .language_version:
      - 2
      - 0
    .max_flat_workgroup_size: 1024
    .name:           _ZN5aiter24topk_softplus_kernel_optI12hip_bfloat16S1_Li256ELb1ELi1EEEvPKT_PKT0_PfPimiif
    .private_segment_fixed_size: 0
    .sgpr_count:     17
    .sgpr_spill_count: 0
    .symbol:         _ZN5aiter24topk_softplus_kernel_optI12hip_bfloat16S1_Li256ELb1ELi1EEEvPKT_PKT0_PfPimiif.kd
    .uniform_work_group_size: 1
    .uses_dynamic_stack: false
    .vgpr_count:     26
    .vgpr_spill_count: 0
    .wavefront_size: 64
  - .agpr_count:     0
    .args:
      - .actual_access:  read_only
        .address_space:  global
        .offset:         0
        .size:           8
        .value_kind:     global_buffer
      - .actual_access:  read_only
        .address_space:  global
        .offset:         8
        .size:           8
        .value_kind:     global_buffer
      - .actual_access:  write_only
        .address_space:  global
        .offset:         16
        .size:           8
        .value_kind:     global_buffer
      - .actual_access:  write_only
        .address_space:  global
        .offset:         24
        .size:           8
        .value_kind:     global_buffer
      - .offset:         32
        .size:           8
        .value_kind:     by_value
      - .offset:         40
        .size:           4
        .value_kind:     by_value
      - .offset:         44
        .size:           4
        .value_kind:     by_value
      - .offset:         48
        .size:           4
        .value_kind:     by_value
    .group_segment_fixed_size: 0
    .kernarg_segment_align: 8
    .kernarg_segment_size: 52
    .language:       OpenCL C
    .language_version:
      - 2
      - 0
    .max_flat_workgroup_size: 1024
    .name:           _ZN5aiter24topk_softplus_kernel_optI12hip_bfloat16S1_Li256ELb0ELi1EEEvPKT_PKT0_PfPimiif
    .private_segment_fixed_size: 0
    .sgpr_count:     17
    .sgpr_spill_count: 0
    .symbol:         _ZN5aiter24topk_softplus_kernel_optI12hip_bfloat16S1_Li256ELb0ELi1EEEvPKT_PKT0_PfPimiif.kd
    .uniform_work_group_size: 1
    .uses_dynamic_stack: false
    .vgpr_count:     25
    .vgpr_spill_count: 0
    .wavefront_size: 64
  - .agpr_count:     0
    .args:
      - .actual_access:  read_only
        .address_space:  global
        .offset:         0
        .size:           8
        .value_kind:     global_buffer
      - .actual_access:  read_only
        .address_space:  global
        .offset:         8
        .size:           8
        .value_kind:     global_buffer
      - .actual_access:  write_only
        .address_space:  global
        .offset:         16
        .size:           8
        .value_kind:     global_buffer
      - .actual_access:  write_only
        .address_space:  global
        .offset:         24
        .size:           8
        .value_kind:     global_buffer
      - .offset:         32
        .size:           8
        .value_kind:     by_value
      - .offset:         40
        .size:           4
        .value_kind:     by_value
      - .offset:         44
        .size:           4
        .value_kind:     by_value
      - .offset:         48
        .size:           4
        .value_kind:     by_value
    .group_segment_fixed_size: 0
    .kernarg_segment_align: 8
    .kernarg_segment_size: 52
    .language:       OpenCL C
    .language_version:
      - 2
      - 0
    .max_flat_workgroup_size: 1024
    .name:           _ZN5aiter24topk_softplus_kernel_optI12hip_bfloat16S1_Li384ELb1ELi1EEEvPKT_PKT0_PfPimiif
    .private_segment_fixed_size: 0
    .sgpr_count:     26
    .sgpr_spill_count: 0
    .symbol:         _ZN5aiter24topk_softplus_kernel_optI12hip_bfloat16S1_Li384ELb1ELi1EEEvPKT_PKT0_PfPimiif.kd
    .uniform_work_group_size: 1
    .uses_dynamic_stack: false
    .vgpr_count:     29
    .vgpr_spill_count: 0
    .wavefront_size: 64
  - .agpr_count:     0
    .args:
      - .actual_access:  read_only
        .address_space:  global
        .offset:         0
        .size:           8
        .value_kind:     global_buffer
      - .actual_access:  read_only
        .address_space:  global
        .offset:         8
        .size:           8
        .value_kind:     global_buffer
      - .actual_access:  write_only
        .address_space:  global
        .offset:         16
        .size:           8
        .value_kind:     global_buffer
      - .actual_access:  write_only
        .address_space:  global
        .offset:         24
        .size:           8
        .value_kind:     global_buffer
      - .offset:         32
        .size:           8
        .value_kind:     by_value
      - .offset:         40
        .size:           4
        .value_kind:     by_value
      - .offset:         44
        .size:           4
        .value_kind:     by_value
      - .offset:         48
        .size:           4
        .value_kind:     by_value
    .group_segment_fixed_size: 0
    .kernarg_segment_align: 8
    .kernarg_segment_size: 52
    .language:       OpenCL C
    .language_version:
      - 2
      - 0
    .max_flat_workgroup_size: 1024
    .name:           _ZN5aiter24topk_softplus_kernel_optI12hip_bfloat16S1_Li384ELb0ELi1EEEvPKT_PKT0_PfPimiif
    .private_segment_fixed_size: 0
    .sgpr_count:     26
    .sgpr_spill_count: 0
    .symbol:         _ZN5aiter24topk_softplus_kernel_optI12hip_bfloat16S1_Li384ELb0ELi1EEEvPKT_PKT0_PfPimiif.kd
    .uniform_work_group_size: 1
    .uses_dynamic_stack: false
    .vgpr_count:     28
    .vgpr_spill_count: 0
    .wavefront_size: 64
  - .agpr_count:     0
    .args:
      - .actual_access:  read_only
        .address_space:  global
        .offset:         0
        .size:           8
        .value_kind:     global_buffer
      - .actual_access:  read_only
        .address_space:  global
        .offset:         8
        .size:           8
        .value_kind:     global_buffer
      - .actual_access:  write_only
        .address_space:  global
        .offset:         16
        .size:           8
        .value_kind:     global_buffer
      - .actual_access:  write_only
        .address_space:  global
        .offset:         24
        .size:           8
        .value_kind:     global_buffer
      - .offset:         32
        .size:           8
        .value_kind:     by_value
      - .offset:         40
        .size:           4
        .value_kind:     by_value
      - .offset:         44
        .size:           4
        .value_kind:     by_value
      - .offset:         48
        .size:           4
        .value_kind:     by_value
      - .offset:         52
        .size:           4
        .value_kind:     by_value
      - .offset:         56
        .size:           4
        .value_kind:     hidden_block_count_x
      - .offset:         60
        .size:           4
        .value_kind:     hidden_block_count_y
      - .offset:         64
        .size:           4
        .value_kind:     hidden_block_count_z
      - .offset:         68
        .size:           2
        .value_kind:     hidden_group_size_x
      - .offset:         70
        .size:           2
        .value_kind:     hidden_group_size_y
      - .offset:         72
        .size:           2
        .value_kind:     hidden_group_size_z
      - .offset:         74
        .size:           2
        .value_kind:     hidden_remainder_x
      - .offset:         76
        .size:           2
        .value_kind:     hidden_remainder_y
      - .offset:         78
        .size:           2
        .value_kind:     hidden_remainder_z
      - .offset:         96
        .size:           8
        .value_kind:     hidden_global_offset_x
      - .offset:         104
        .size:           8
        .value_kind:     hidden_global_offset_y
      - .offset:         112
        .size:           8
        .value_kind:     hidden_global_offset_z
      - .offset:         120
        .size:           2
        .value_kind:     hidden_grid_dims
      - .offset:         176
        .size:           4
        .value_kind:     hidden_dynamic_lds_size
    .group_segment_fixed_size: 0
    .kernarg_segment_align: 8
    .kernarg_segment_size: 312
    .language:       OpenCL C
    .language_version:
      - 2
      - 0
    .max_flat_workgroup_size: 1024
    .name:           _ZN5aiter20topk_softplus_kernelI12hip_bfloat16S1_Dv4_fLb1ELi1EEEvPKT_PKT0_PfPimiiif
    .private_segment_fixed_size: 0
    .sgpr_count:     41
    .sgpr_spill_count: 0
    .symbol:         _ZN5aiter20topk_softplus_kernelI12hip_bfloat16S1_Dv4_fLb1ELi1EEEvPKT_PKT0_PfPimiiif.kd
    .uniform_work_group_size: 1
    .uses_dynamic_stack: false
    .vgpr_count:     21
    .vgpr_spill_count: 0
    .wavefront_size: 64
  - .agpr_count:     0
    .args:
      - .actual_access:  read_only
        .address_space:  global
        .offset:         0
        .size:           8
        .value_kind:     global_buffer
      - .actual_access:  read_only
        .address_space:  global
        .offset:         8
        .size:           8
        .value_kind:     global_buffer
      - .actual_access:  write_only
        .address_space:  global
        .offset:         16
        .size:           8
        .value_kind:     global_buffer
      - .actual_access:  write_only
        .address_space:  global
        .offset:         24
        .size:           8
        .value_kind:     global_buffer
      - .offset:         32
        .size:           8
        .value_kind:     by_value
      - .offset:         40
        .size:           4
        .value_kind:     by_value
      - .offset:         44
        .size:           4
        .value_kind:     by_value
      - .offset:         48
        .size:           4
        .value_kind:     by_value
      - .offset:         52
        .size:           4
        .value_kind:     by_value
      - .offset:         56
        .size:           4
        .value_kind:     hidden_block_count_x
      - .offset:         60
        .size:           4
        .value_kind:     hidden_block_count_y
      - .offset:         64
        .size:           4
        .value_kind:     hidden_block_count_z
      - .offset:         68
        .size:           2
        .value_kind:     hidden_group_size_x
      - .offset:         70
        .size:           2
        .value_kind:     hidden_group_size_y
      - .offset:         72
        .size:           2
        .value_kind:     hidden_group_size_z
      - .offset:         74
        .size:           2
        .value_kind:     hidden_remainder_x
      - .offset:         76
        .size:           2
        .value_kind:     hidden_remainder_y
      - .offset:         78
        .size:           2
        .value_kind:     hidden_remainder_z
      - .offset:         96
        .size:           8
        .value_kind:     hidden_global_offset_x
      - .offset:         104
        .size:           8
        .value_kind:     hidden_global_offset_y
      - .offset:         112
        .size:           8
        .value_kind:     hidden_global_offset_z
      - .offset:         120
        .size:           2
        .value_kind:     hidden_grid_dims
      - .offset:         176
        .size:           4
        .value_kind:     hidden_dynamic_lds_size
    .group_segment_fixed_size: 0
    .kernarg_segment_align: 8
    .kernarg_segment_size: 312
    .language:       OpenCL C
    .language_version:
      - 2
      - 0
    .max_flat_workgroup_size: 1024
    .name:           _ZN5aiter20topk_softplus_kernelI12hip_bfloat16S1_Dv4_fLb0ELi1EEEvPKT_PKT0_PfPimiiif
    .private_segment_fixed_size: 0
    .sgpr_count:     41
    .sgpr_spill_count: 0
    .symbol:         _ZN5aiter20topk_softplus_kernelI12hip_bfloat16S1_Dv4_fLb0ELi1EEEvPKT_PKT0_PfPimiiif.kd
    .uniform_work_group_size: 1
    .uses_dynamic_stack: false
    .vgpr_count:     20
    .vgpr_spill_count: 0
    .wavefront_size: 64
  - .agpr_count:     0
    .args:
      - .actual_access:  read_only
        .address_space:  global
        .offset:         0
        .size:           8
        .value_kind:     global_buffer
      - .actual_access:  read_only
        .address_space:  global
        .offset:         8
        .size:           8
        .value_kind:     global_buffer
      - .actual_access:  write_only
        .address_space:  global
        .offset:         16
        .size:           8
        .value_kind:     global_buffer
      - .actual_access:  write_only
        .address_space:  global
        .offset:         24
        .size:           8
        .value_kind:     global_buffer
      - .offset:         32
        .size:           8
        .value_kind:     by_value
      - .offset:         40
        .size:           4
        .value_kind:     by_value
      - .offset:         44
        .size:           4
        .value_kind:     by_value
      - .offset:         48
        .size:           4
        .value_kind:     by_value
      - .offset:         52
        .size:           4
        .value_kind:     by_value
      - .offset:         56
        .size:           4
        .value_kind:     hidden_block_count_x
      - .offset:         60
        .size:           4
        .value_kind:     hidden_block_count_y
      - .offset:         64
        .size:           4
        .value_kind:     hidden_block_count_z
      - .offset:         68
        .size:           2
        .value_kind:     hidden_group_size_x
      - .offset:         70
        .size:           2
        .value_kind:     hidden_group_size_y
      - .offset:         72
        .size:           2
        .value_kind:     hidden_group_size_z
      - .offset:         74
        .size:           2
        .value_kind:     hidden_remainder_x
      - .offset:         76
        .size:           2
        .value_kind:     hidden_remainder_y
      - .offset:         78
        .size:           2
        .value_kind:     hidden_remainder_z
      - .offset:         96
        .size:           8
        .value_kind:     hidden_global_offset_x
      - .offset:         104
        .size:           8
        .value_kind:     hidden_global_offset_y
      - .offset:         112
        .size:           8
        .value_kind:     hidden_global_offset_z
      - .offset:         120
        .size:           2
        .value_kind:     hidden_grid_dims
      - .offset:         176
        .size:           4
        .value_kind:     hidden_dynamic_lds_size
    .group_segment_fixed_size: 0
    .kernarg_segment_align: 8
    .kernarg_segment_size: 312
    .language:       OpenCL C
    .language_version:
      - 2
      - 0
    .max_flat_workgroup_size: 1024
    .name:           _ZN5aiter20topk_softplus_kernelI12hip_bfloat16S1_Dv2_fLb1ELi1EEEvPKT_PKT0_PfPimiiif
    .private_segment_fixed_size: 0
    .sgpr_count:     31
    .sgpr_spill_count: 0
    .symbol:         _ZN5aiter20topk_softplus_kernelI12hip_bfloat16S1_Dv2_fLb1ELi1EEEvPKT_PKT0_PfPimiiif.kd
    .uniform_work_group_size: 1
    .uses_dynamic_stack: false
    .vgpr_count:     17
    .vgpr_spill_count: 0
    .wavefront_size: 64
  - .agpr_count:     0
    .args:
      - .actual_access:  read_only
        .address_space:  global
        .offset:         0
        .size:           8
        .value_kind:     global_buffer
      - .actual_access:  read_only
        .address_space:  global
        .offset:         8
        .size:           8
        .value_kind:     global_buffer
      - .actual_access:  write_only
        .address_space:  global
        .offset:         16
        .size:           8
        .value_kind:     global_buffer
      - .actual_access:  write_only
        .address_space:  global
        .offset:         24
        .size:           8
        .value_kind:     global_buffer
      - .offset:         32
        .size:           8
        .value_kind:     by_value
      - .offset:         40
        .size:           4
        .value_kind:     by_value
      - .offset:         44
        .size:           4
        .value_kind:     by_value
      - .offset:         48
        .size:           4
        .value_kind:     by_value
      - .offset:         52
        .size:           4
        .value_kind:     by_value
      - .offset:         56
        .size:           4
        .value_kind:     hidden_block_count_x
      - .offset:         60
        .size:           4
        .value_kind:     hidden_block_count_y
      - .offset:         64
        .size:           4
        .value_kind:     hidden_block_count_z
      - .offset:         68
        .size:           2
        .value_kind:     hidden_group_size_x
      - .offset:         70
        .size:           2
        .value_kind:     hidden_group_size_y
      - .offset:         72
        .size:           2
        .value_kind:     hidden_group_size_z
      - .offset:         74
        .size:           2
        .value_kind:     hidden_remainder_x
      - .offset:         76
        .size:           2
        .value_kind:     hidden_remainder_y
      - .offset:         78
        .size:           2
        .value_kind:     hidden_remainder_z
      - .offset:         96
        .size:           8
        .value_kind:     hidden_global_offset_x
      - .offset:         104
        .size:           8
        .value_kind:     hidden_global_offset_y
      - .offset:         112
        .size:           8
        .value_kind:     hidden_global_offset_z
      - .offset:         120
        .size:           2
        .value_kind:     hidden_grid_dims
      - .offset:         176
        .size:           4
        .value_kind:     hidden_dynamic_lds_size
    .group_segment_fixed_size: 0
    .kernarg_segment_align: 8
    .kernarg_segment_size: 312
    .language:       OpenCL C
    .language_version:
      - 2
      - 0
    .max_flat_workgroup_size: 1024
    .name:           _ZN5aiter20topk_softplus_kernelI12hip_bfloat16S1_Dv2_fLb0ELi1EEEvPKT_PKT0_PfPimiiif
    .private_segment_fixed_size: 0
    .sgpr_count:     31
    .sgpr_spill_count: 0
    .symbol:         _ZN5aiter20topk_softplus_kernelI12hip_bfloat16S1_Dv2_fLb0ELi1EEEvPKT_PKT0_PfPimiiif.kd
    .uniform_work_group_size: 1
    .uses_dynamic_stack: false
    .vgpr_count:     16
    .vgpr_spill_count: 0
    .wavefront_size: 64
  - .agpr_count:     0
    .args:
      - .actual_access:  read_only
        .address_space:  global
        .offset:         0
        .size:           8
        .value_kind:     global_buffer
      - .actual_access:  read_only
        .address_space:  global
        .offset:         8
        .size:           8
        .value_kind:     global_buffer
      - .actual_access:  write_only
        .address_space:  global
        .offset:         16
        .size:           8
        .value_kind:     global_buffer
      - .actual_access:  write_only
        .address_space:  global
        .offset:         24
        .size:           8
        .value_kind:     global_buffer
      - .offset:         32
        .size:           8
        .value_kind:     by_value
      - .offset:         40
        .size:           4
        .value_kind:     by_value
      - .offset:         44
        .size:           4
        .value_kind:     by_value
      - .offset:         48
        .size:           4
        .value_kind:     by_value
      - .offset:         52
        .size:           4
        .value_kind:     by_value
      - .offset:         56
        .size:           4
        .value_kind:     hidden_block_count_x
      - .offset:         60
        .size:           4
        .value_kind:     hidden_block_count_y
      - .offset:         64
        .size:           4
        .value_kind:     hidden_block_count_z
      - .offset:         68
        .size:           2
        .value_kind:     hidden_group_size_x
      - .offset:         70
        .size:           2
        .value_kind:     hidden_group_size_y
      - .offset:         72
        .size:           2
        .value_kind:     hidden_group_size_z
      - .offset:         74
        .size:           2
        .value_kind:     hidden_remainder_x
      - .offset:         76
        .size:           2
        .value_kind:     hidden_remainder_y
      - .offset:         78
        .size:           2
        .value_kind:     hidden_remainder_z
      - .offset:         96
        .size:           8
        .value_kind:     hidden_global_offset_x
      - .offset:         104
        .size:           8
        .value_kind:     hidden_global_offset_y
      - .offset:         112
        .size:           8
        .value_kind:     hidden_global_offset_z
      - .offset:         120
        .size:           2
        .value_kind:     hidden_grid_dims
      - .offset:         176
        .size:           4
        .value_kind:     hidden_dynamic_lds_size
    .group_segment_fixed_size: 0
    .kernarg_segment_align: 8
    .kernarg_segment_size: 312
    .language:       OpenCL C
    .language_version:
      - 2
      - 0
    .max_flat_workgroup_size: 1024
    .name:           _ZN5aiter20topk_softplus_kernelI12hip_bfloat16S1_Dv1_fLb1ELi1EEEvPKT_PKT0_PfPimiiif
    .private_segment_fixed_size: 0
    .sgpr_count:     28
    .sgpr_spill_count: 0
    .symbol:         _ZN5aiter20topk_softplus_kernelI12hip_bfloat16S1_Dv1_fLb1ELi1EEEvPKT_PKT0_PfPimiiif.kd
    .uniform_work_group_size: 1
    .uses_dynamic_stack: false
    .vgpr_count:     13
    .vgpr_spill_count: 0
    .wavefront_size: 64
  - .agpr_count:     0
    .args:
      - .actual_access:  read_only
        .address_space:  global
        .offset:         0
        .size:           8
        .value_kind:     global_buffer
      - .actual_access:  read_only
        .address_space:  global
        .offset:         8
        .size:           8
        .value_kind:     global_buffer
      - .actual_access:  write_only
        .address_space:  global
        .offset:         16
        .size:           8
        .value_kind:     global_buffer
      - .actual_access:  write_only
        .address_space:  global
        .offset:         24
        .size:           8
        .value_kind:     global_buffer
      - .offset:         32
        .size:           8
        .value_kind:     by_value
      - .offset:         40
        .size:           4
        .value_kind:     by_value
      - .offset:         44
        .size:           4
        .value_kind:     by_value
      - .offset:         48
        .size:           4
        .value_kind:     by_value
      - .offset:         52
        .size:           4
        .value_kind:     by_value
      - .offset:         56
        .size:           4
        .value_kind:     hidden_block_count_x
      - .offset:         60
        .size:           4
        .value_kind:     hidden_block_count_y
      - .offset:         64
        .size:           4
        .value_kind:     hidden_block_count_z
      - .offset:         68
        .size:           2
        .value_kind:     hidden_group_size_x
      - .offset:         70
        .size:           2
        .value_kind:     hidden_group_size_y
      - .offset:         72
        .size:           2
        .value_kind:     hidden_group_size_z
      - .offset:         74
        .size:           2
        .value_kind:     hidden_remainder_x
      - .offset:         76
        .size:           2
        .value_kind:     hidden_remainder_y
      - .offset:         78
        .size:           2
        .value_kind:     hidden_remainder_z
      - .offset:         96
        .size:           8
        .value_kind:     hidden_global_offset_x
      - .offset:         104
        .size:           8
        .value_kind:     hidden_global_offset_y
      - .offset:         112
        .size:           8
        .value_kind:     hidden_global_offset_z
      - .offset:         120
        .size:           2
        .value_kind:     hidden_grid_dims
      - .offset:         176
        .size:           4
        .value_kind:     hidden_dynamic_lds_size
    .group_segment_fixed_size: 0
    .kernarg_segment_align: 8
    .kernarg_segment_size: 312
    .language:       OpenCL C
    .language_version:
      - 2
      - 0
    .max_flat_workgroup_size: 1024
    .name:           _ZN5aiter20topk_softplus_kernelI12hip_bfloat16S1_Dv1_fLb0ELi1EEEvPKT_PKT0_PfPimiiif
    .private_segment_fixed_size: 0
    .sgpr_count:     28
    .sgpr_spill_count: 0
    .symbol:         _ZN5aiter20topk_softplus_kernelI12hip_bfloat16S1_Dv1_fLb0ELi1EEEvPKT_PKT0_PfPimiiif.kd
    .uniform_work_group_size: 1
    .uses_dynamic_stack: false
    .vgpr_count:     12
    .vgpr_spill_count: 0
    .wavefront_size: 64
  - .agpr_count:     0
    .args:
      - .actual_access:  read_only
        .address_space:  global
        .offset:         0
        .size:           8
        .value_kind:     global_buffer
      - .actual_access:  read_only
        .address_space:  global
        .offset:         8
        .size:           8
        .value_kind:     global_buffer
      - .actual_access:  write_only
        .address_space:  global
        .offset:         16
        .size:           8
        .value_kind:     global_buffer
      - .actual_access:  write_only
        .address_space:  global
        .offset:         24
        .size:           8
        .value_kind:     global_buffer
      - .offset:         32
        .size:           8
        .value_kind:     by_value
      - .offset:         40
        .size:           4
        .value_kind:     by_value
      - .offset:         44
        .size:           4
        .value_kind:     by_value
      - .offset:         48
        .size:           4
        .value_kind:     by_value
      - .offset:         52
        .size:           4
        .value_kind:     by_value
      - .offset:         56
        .size:           4
        .value_kind:     hidden_block_count_x
      - .offset:         60
        .size:           4
        .value_kind:     hidden_block_count_y
      - .offset:         64
        .size:           4
        .value_kind:     hidden_block_count_z
      - .offset:         68
        .size:           2
        .value_kind:     hidden_group_size_x
      - .offset:         70
        .size:           2
        .value_kind:     hidden_group_size_y
      - .offset:         72
        .size:           2
        .value_kind:     hidden_group_size_z
      - .offset:         74
        .size:           2
        .value_kind:     hidden_remainder_x
      - .offset:         76
        .size:           2
        .value_kind:     hidden_remainder_y
      - .offset:         78
        .size:           2
        .value_kind:     hidden_remainder_z
      - .offset:         96
        .size:           8
        .value_kind:     hidden_global_offset_x
      - .offset:         104
        .size:           8
        .value_kind:     hidden_global_offset_y
      - .offset:         112
        .size:           8
        .value_kind:     hidden_global_offset_z
      - .offset:         120
        .size:           2
        .value_kind:     hidden_grid_dims
      - .offset:         176
        .size:           4
        .value_kind:     hidden_dynamic_lds_size
    .group_segment_fixed_size: 0
    .kernarg_segment_align: 8
    .kernarg_segment_size: 312
    .language:       OpenCL C
    .language_version:
      - 2
      - 0
    .max_flat_workgroup_size: 1024
    .name:           _ZN5aiter20topk_softplus_kernelI12hip_bfloat16S1_Dv4_fLb1ELi2EEEvPKT_PKT0_PfPimiiif
    .private_segment_fixed_size: 0
    .sgpr_count:     30
    .sgpr_spill_count: 0
    .symbol:         _ZN5aiter20topk_softplus_kernelI12hip_bfloat16S1_Dv4_fLb1ELi2EEEvPKT_PKT0_PfPimiiif.kd
    .uniform_work_group_size: 1
    .uses_dynamic_stack: false
    .vgpr_count:     21
    .vgpr_spill_count: 0
    .wavefront_size: 64
  - .agpr_count:     0
    .args:
      - .actual_access:  read_only
        .address_space:  global
        .offset:         0
        .size:           8
        .value_kind:     global_buffer
      - .actual_access:  read_only
        .address_space:  global
        .offset:         8
        .size:           8
        .value_kind:     global_buffer
      - .actual_access:  write_only
        .address_space:  global
        .offset:         16
        .size:           8
        .value_kind:     global_buffer
      - .actual_access:  write_only
        .address_space:  global
        .offset:         24
        .size:           8
        .value_kind:     global_buffer
      - .offset:         32
        .size:           8
        .value_kind:     by_value
      - .offset:         40
        .size:           4
        .value_kind:     by_value
      - .offset:         44
        .size:           4
        .value_kind:     by_value
      - .offset:         48
        .size:           4
        .value_kind:     by_value
      - .offset:         52
        .size:           4
        .value_kind:     by_value
      - .offset:         56
        .size:           4
        .value_kind:     hidden_block_count_x
      - .offset:         60
        .size:           4
        .value_kind:     hidden_block_count_y
      - .offset:         64
        .size:           4
        .value_kind:     hidden_block_count_z
      - .offset:         68
        .size:           2
        .value_kind:     hidden_group_size_x
      - .offset:         70
        .size:           2
        .value_kind:     hidden_group_size_y
      - .offset:         72
        .size:           2
        .value_kind:     hidden_group_size_z
      - .offset:         74
        .size:           2
        .value_kind:     hidden_remainder_x
      - .offset:         76
        .size:           2
        .value_kind:     hidden_remainder_y
      - .offset:         78
        .size:           2
        .value_kind:     hidden_remainder_z
      - .offset:         96
        .size:           8
        .value_kind:     hidden_global_offset_x
      - .offset:         104
        .size:           8
        .value_kind:     hidden_global_offset_y
      - .offset:         112
        .size:           8
        .value_kind:     hidden_global_offset_z
      - .offset:         120
        .size:           2
        .value_kind:     hidden_grid_dims
      - .offset:         176
        .size:           4
        .value_kind:     hidden_dynamic_lds_size
    .group_segment_fixed_size: 0
    .kernarg_segment_align: 8
    .kernarg_segment_size: 312
    .language:       OpenCL C
    .language_version:
      - 2
      - 0
    .max_flat_workgroup_size: 1024
    .name:           _ZN5aiter20topk_softplus_kernelI12hip_bfloat16S1_Dv4_fLb0ELi2EEEvPKT_PKT0_PfPimiiif
    .private_segment_fixed_size: 0
    .sgpr_count:     30
    .sgpr_spill_count: 0
    .symbol:         _ZN5aiter20topk_softplus_kernelI12hip_bfloat16S1_Dv4_fLb0ELi2EEEvPKT_PKT0_PfPimiiif.kd
    .uniform_work_group_size: 1
    .uses_dynamic_stack: false
    .vgpr_count:     20
    .vgpr_spill_count: 0
    .wavefront_size: 64
  - .agpr_count:     0
    .args:
      - .actual_access:  read_only
        .address_space:  global
        .offset:         0
        .size:           8
        .value_kind:     global_buffer
      - .actual_access:  read_only
        .address_space:  global
        .offset:         8
        .size:           8
        .value_kind:     global_buffer
      - .actual_access:  write_only
        .address_space:  global
        .offset:         16
        .size:           8
        .value_kind:     global_buffer
      - .actual_access:  write_only
        .address_space:  global
        .offset:         24
        .size:           8
        .value_kind:     global_buffer
      - .offset:         32
        .size:           8
        .value_kind:     by_value
      - .offset:         40
        .size:           4
        .value_kind:     by_value
      - .offset:         44
        .size:           4
        .value_kind:     by_value
      - .offset:         48
        .size:           4
        .value_kind:     by_value
      - .offset:         52
        .size:           4
        .value_kind:     by_value
      - .offset:         56
        .size:           4
        .value_kind:     hidden_block_count_x
      - .offset:         60
        .size:           4
        .value_kind:     hidden_block_count_y
      - .offset:         64
        .size:           4
        .value_kind:     hidden_block_count_z
      - .offset:         68
        .size:           2
        .value_kind:     hidden_group_size_x
      - .offset:         70
        .size:           2
        .value_kind:     hidden_group_size_y
      - .offset:         72
        .size:           2
        .value_kind:     hidden_group_size_z
      - .offset:         74
        .size:           2
        .value_kind:     hidden_remainder_x
      - .offset:         76
        .size:           2
        .value_kind:     hidden_remainder_y
      - .offset:         78
        .size:           2
        .value_kind:     hidden_remainder_z
      - .offset:         96
        .size:           8
        .value_kind:     hidden_global_offset_x
      - .offset:         104
        .size:           8
        .value_kind:     hidden_global_offset_y
      - .offset:         112
        .size:           8
        .value_kind:     hidden_global_offset_z
      - .offset:         120
        .size:           2
        .value_kind:     hidden_grid_dims
      - .offset:         176
        .size:           4
        .value_kind:     hidden_dynamic_lds_size
    .group_segment_fixed_size: 0
    .kernarg_segment_align: 8
    .kernarg_segment_size: 312
    .language:       OpenCL C
    .language_version:
      - 2
      - 0
    .max_flat_workgroup_size: 1024
    .name:           _ZN5aiter20topk_softplus_kernelI12hip_bfloat16S1_Dv2_fLb1ELi2EEEvPKT_PKT0_PfPimiiif
    .private_segment_fixed_size: 0
    .sgpr_count:     30
    .sgpr_spill_count: 0
    .symbol:         _ZN5aiter20topk_softplus_kernelI12hip_bfloat16S1_Dv2_fLb1ELi2EEEvPKT_PKT0_PfPimiiif.kd
    .uniform_work_group_size: 1
    .uses_dynamic_stack: false
    .vgpr_count:     17
    .vgpr_spill_count: 0
    .wavefront_size: 64
  - .agpr_count:     0
    .args:
      - .actual_access:  read_only
        .address_space:  global
        .offset:         0
        .size:           8
        .value_kind:     global_buffer
      - .actual_access:  read_only
        .address_space:  global
        .offset:         8
        .size:           8
        .value_kind:     global_buffer
      - .actual_access:  write_only
        .address_space:  global
        .offset:         16
        .size:           8
        .value_kind:     global_buffer
      - .actual_access:  write_only
        .address_space:  global
        .offset:         24
        .size:           8
        .value_kind:     global_buffer
      - .offset:         32
        .size:           8
        .value_kind:     by_value
      - .offset:         40
        .size:           4
        .value_kind:     by_value
      - .offset:         44
        .size:           4
        .value_kind:     by_value
      - .offset:         48
        .size:           4
        .value_kind:     by_value
      - .offset:         52
        .size:           4
        .value_kind:     by_value
      - .offset:         56
        .size:           4
        .value_kind:     hidden_block_count_x
      - .offset:         60
        .size:           4
        .value_kind:     hidden_block_count_y
      - .offset:         64
        .size:           4
        .value_kind:     hidden_block_count_z
      - .offset:         68
        .size:           2
        .value_kind:     hidden_group_size_x
      - .offset:         70
        .size:           2
        .value_kind:     hidden_group_size_y
      - .offset:         72
        .size:           2
        .value_kind:     hidden_group_size_z
      - .offset:         74
        .size:           2
        .value_kind:     hidden_remainder_x
      - .offset:         76
        .size:           2
        .value_kind:     hidden_remainder_y
      - .offset:         78
        .size:           2
        .value_kind:     hidden_remainder_z
      - .offset:         96
        .size:           8
        .value_kind:     hidden_global_offset_x
      - .offset:         104
        .size:           8
        .value_kind:     hidden_global_offset_y
      - .offset:         112
        .size:           8
        .value_kind:     hidden_global_offset_z
      - .offset:         120
        .size:           2
        .value_kind:     hidden_grid_dims
      - .offset:         176
        .size:           4
        .value_kind:     hidden_dynamic_lds_size
    .group_segment_fixed_size: 0
    .kernarg_segment_align: 8
    .kernarg_segment_size: 312
    .language:       OpenCL C
    .language_version:
      - 2
      - 0
    .max_flat_workgroup_size: 1024
    .name:           _ZN5aiter20topk_softplus_kernelI12hip_bfloat16S1_Dv2_fLb0ELi2EEEvPKT_PKT0_PfPimiiif
    .private_segment_fixed_size: 0
    .sgpr_count:     30
    .sgpr_spill_count: 0
    .symbol:         _ZN5aiter20topk_softplus_kernelI12hip_bfloat16S1_Dv2_fLb0ELi2EEEvPKT_PKT0_PfPimiiif.kd
    .uniform_work_group_size: 1
    .uses_dynamic_stack: false
    .vgpr_count:     16
    .vgpr_spill_count: 0
    .wavefront_size: 64
  - .agpr_count:     0
    .args:
      - .actual_access:  read_only
        .address_space:  global
        .offset:         0
        .size:           8
        .value_kind:     global_buffer
      - .actual_access:  read_only
        .address_space:  global
        .offset:         8
        .size:           8
        .value_kind:     global_buffer
      - .actual_access:  write_only
        .address_space:  global
        .offset:         16
        .size:           8
        .value_kind:     global_buffer
      - .actual_access:  write_only
        .address_space:  global
        .offset:         24
        .size:           8
        .value_kind:     global_buffer
      - .offset:         32
        .size:           8
        .value_kind:     by_value
      - .offset:         40
        .size:           4
        .value_kind:     by_value
      - .offset:         44
        .size:           4
        .value_kind:     by_value
      - .offset:         48
        .size:           4
        .value_kind:     by_value
      - .offset:         52
        .size:           4
        .value_kind:     by_value
      - .offset:         56
        .size:           4
        .value_kind:     hidden_block_count_x
      - .offset:         60
        .size:           4
        .value_kind:     hidden_block_count_y
      - .offset:         64
        .size:           4
        .value_kind:     hidden_block_count_z
      - .offset:         68
        .size:           2
        .value_kind:     hidden_group_size_x
      - .offset:         70
        .size:           2
        .value_kind:     hidden_group_size_y
      - .offset:         72
        .size:           2
        .value_kind:     hidden_group_size_z
      - .offset:         74
        .size:           2
        .value_kind:     hidden_remainder_x
      - .offset:         76
        .size:           2
        .value_kind:     hidden_remainder_y
      - .offset:         78
        .size:           2
        .value_kind:     hidden_remainder_z
      - .offset:         96
        .size:           8
        .value_kind:     hidden_global_offset_x
      - .offset:         104
        .size:           8
        .value_kind:     hidden_global_offset_y
      - .offset:         112
        .size:           8
        .value_kind:     hidden_global_offset_z
      - .offset:         120
        .size:           2
        .value_kind:     hidden_grid_dims
      - .offset:         176
        .size:           4
        .value_kind:     hidden_dynamic_lds_size
    .group_segment_fixed_size: 0
    .kernarg_segment_align: 8
    .kernarg_segment_size: 312
    .language:       OpenCL C
    .language_version:
      - 2
      - 0
    .max_flat_workgroup_size: 1024
    .name:           _ZN5aiter20topk_softplus_kernelI12hip_bfloat16S1_Dv1_fLb1ELi2EEEvPKT_PKT0_PfPimiiif
    .private_segment_fixed_size: 0
    .sgpr_count:     28
    .sgpr_spill_count: 0
    .symbol:         _ZN5aiter20topk_softplus_kernelI12hip_bfloat16S1_Dv1_fLb1ELi2EEEvPKT_PKT0_PfPimiiif.kd
    .uniform_work_group_size: 1
    .uses_dynamic_stack: false
    .vgpr_count:     13
    .vgpr_spill_count: 0
    .wavefront_size: 64
  - .agpr_count:     0
    .args:
      - .actual_access:  read_only
        .address_space:  global
        .offset:         0
        .size:           8
        .value_kind:     global_buffer
      - .actual_access:  read_only
        .address_space:  global
        .offset:         8
        .size:           8
        .value_kind:     global_buffer
      - .actual_access:  write_only
        .address_space:  global
        .offset:         16
        .size:           8
        .value_kind:     global_buffer
      - .actual_access:  write_only
        .address_space:  global
        .offset:         24
        .size:           8
        .value_kind:     global_buffer
      - .offset:         32
        .size:           8
        .value_kind:     by_value
      - .offset:         40
        .size:           4
        .value_kind:     by_value
      - .offset:         44
        .size:           4
        .value_kind:     by_value
      - .offset:         48
        .size:           4
        .value_kind:     by_value
      - .offset:         52
        .size:           4
        .value_kind:     by_value
      - .offset:         56
        .size:           4
        .value_kind:     hidden_block_count_x
      - .offset:         60
        .size:           4
        .value_kind:     hidden_block_count_y
      - .offset:         64
        .size:           4
        .value_kind:     hidden_block_count_z
      - .offset:         68
        .size:           2
        .value_kind:     hidden_group_size_x
      - .offset:         70
        .size:           2
        .value_kind:     hidden_group_size_y
      - .offset:         72
        .size:           2
        .value_kind:     hidden_group_size_z
      - .offset:         74
        .size:           2
        .value_kind:     hidden_remainder_x
      - .offset:         76
        .size:           2
        .value_kind:     hidden_remainder_y
      - .offset:         78
        .size:           2
        .value_kind:     hidden_remainder_z
      - .offset:         96
        .size:           8
        .value_kind:     hidden_global_offset_x
      - .offset:         104
        .size:           8
        .value_kind:     hidden_global_offset_y
      - .offset:         112
        .size:           8
        .value_kind:     hidden_global_offset_z
      - .offset:         120
        .size:           2
        .value_kind:     hidden_grid_dims
      - .offset:         176
        .size:           4
        .value_kind:     hidden_dynamic_lds_size
    .group_segment_fixed_size: 0
    .kernarg_segment_align: 8
    .kernarg_segment_size: 312
    .language:       OpenCL C
    .language_version:
      - 2
      - 0
    .max_flat_workgroup_size: 1024
    .name:           _ZN5aiter20topk_softplus_kernelI12hip_bfloat16S1_Dv1_fLb0ELi2EEEvPKT_PKT0_PfPimiiif
    .private_segment_fixed_size: 0
    .sgpr_count:     28
    .sgpr_spill_count: 0
    .symbol:         _ZN5aiter20topk_softplus_kernelI12hip_bfloat16S1_Dv1_fLb0ELi2EEEvPKT_PKT0_PfPimiiif.kd
    .uniform_work_group_size: 1
    .uses_dynamic_stack: false
    .vgpr_count:     12
    .vgpr_spill_count: 0
    .wavefront_size: 64
  - .agpr_count:     0
    .args:
      - .actual_access:  read_only
        .address_space:  global
        .offset:         0
        .size:           8
        .value_kind:     global_buffer
      - .actual_access:  read_only
        .address_space:  global
        .offset:         8
        .size:           8
        .value_kind:     global_buffer
      - .actual_access:  write_only
        .address_space:  global
        .offset:         16
        .size:           8
        .value_kind:     global_buffer
      - .actual_access:  write_only
        .address_space:  global
        .offset:         24
        .size:           8
        .value_kind:     global_buffer
      - .offset:         32
        .size:           8
        .value_kind:     by_value
      - .offset:         40
        .size:           4
        .value_kind:     by_value
      - .offset:         44
        .size:           4
        .value_kind:     by_value
      - .offset:         48
        .size:           4
        .value_kind:     by_value
    .group_segment_fixed_size: 0
    .kernarg_segment_align: 8
    .kernarg_segment_size: 52
    .language:       OpenCL C
    .language_version:
      - 2
      - 0
    .max_flat_workgroup_size: 1024
    .name:           _ZN5aiter24topk_softplus_kernel_optI12hip_bfloat16S1_Li64ELb1ELi0EEEvPKT_PKT0_PfPimiif
    .private_segment_fixed_size: 0
    .sgpr_count:     17
    .sgpr_spill_count: 0
    .symbol:         _ZN5aiter24topk_softplus_kernel_optI12hip_bfloat16S1_Li64ELb1ELi0EEEvPKT_PKT0_PfPimiif.kd
    .uniform_work_group_size: 1
    .uses_dynamic_stack: false
    .vgpr_count:     13
    .vgpr_spill_count: 0
    .wavefront_size: 64
  - .agpr_count:     0
    .args:
      - .actual_access:  read_only
        .address_space:  global
        .offset:         0
        .size:           8
        .value_kind:     global_buffer
      - .actual_access:  read_only
        .address_space:  global
        .offset:         8
        .size:           8
        .value_kind:     global_buffer
      - .actual_access:  write_only
        .address_space:  global
        .offset:         16
        .size:           8
        .value_kind:     global_buffer
      - .actual_access:  write_only
        .address_space:  global
        .offset:         24
        .size:           8
        .value_kind:     global_buffer
      - .offset:         32
        .size:           8
        .value_kind:     by_value
      - .offset:         40
        .size:           4
        .value_kind:     by_value
      - .offset:         44
        .size:           4
        .value_kind:     by_value
      - .offset:         48
        .size:           4
        .value_kind:     by_value
    .group_segment_fixed_size: 0
    .kernarg_segment_align: 8
    .kernarg_segment_size: 52
    .language:       OpenCL C
    .language_version:
      - 2
      - 0
    .max_flat_workgroup_size: 1024
    .name:           _ZN5aiter24topk_softplus_kernel_optI12hip_bfloat16S1_Li64ELb0ELi0EEEvPKT_PKT0_PfPimiif
    .private_segment_fixed_size: 0
    .sgpr_count:     17
    .sgpr_spill_count: 0
    .symbol:         _ZN5aiter24topk_softplus_kernel_optI12hip_bfloat16S1_Li64ELb0ELi0EEEvPKT_PKT0_PfPimiif.kd
    .uniform_work_group_size: 1
    .uses_dynamic_stack: false
    .vgpr_count:     12
    .vgpr_spill_count: 0
    .wavefront_size: 64
  - .agpr_count:     0
    .args:
      - .actual_access:  read_only
        .address_space:  global
        .offset:         0
        .size:           8
        .value_kind:     global_buffer
      - .actual_access:  read_only
        .address_space:  global
        .offset:         8
        .size:           8
        .value_kind:     global_buffer
      - .actual_access:  write_only
        .address_space:  global
        .offset:         16
        .size:           8
        .value_kind:     global_buffer
      - .actual_access:  write_only
        .address_space:  global
        .offset:         24
        .size:           8
        .value_kind:     global_buffer
      - .offset:         32
        .size:           8
        .value_kind:     by_value
      - .offset:         40
        .size:           4
        .value_kind:     by_value
      - .offset:         44
        .size:           4
        .value_kind:     by_value
      - .offset:         48
        .size:           4
        .value_kind:     by_value
    .group_segment_fixed_size: 0
    .kernarg_segment_align: 8
    .kernarg_segment_size: 52
    .language:       OpenCL C
    .language_version:
      - 2
      - 0
    .max_flat_workgroup_size: 1024
    .name:           _ZN5aiter24topk_softplus_kernel_optI12hip_bfloat16S1_Li128ELb1ELi0EEEvPKT_PKT0_PfPimiif
    .private_segment_fixed_size: 0
    .sgpr_count:     19
    .sgpr_spill_count: 0
    .symbol:         _ZN5aiter24topk_softplus_kernel_optI12hip_bfloat16S1_Li128ELb1ELi0EEEvPKT_PKT0_PfPimiif.kd
    .uniform_work_group_size: 1
    .uses_dynamic_stack: false
    .vgpr_count:     20
    .vgpr_spill_count: 0
    .wavefront_size: 64
  - .agpr_count:     0
    .args:
      - .actual_access:  read_only
        .address_space:  global
        .offset:         0
        .size:           8
        .value_kind:     global_buffer
      - .actual_access:  read_only
        .address_space:  global
        .offset:         8
        .size:           8
        .value_kind:     global_buffer
      - .actual_access:  write_only
        .address_space:  global
        .offset:         16
        .size:           8
        .value_kind:     global_buffer
      - .actual_access:  write_only
        .address_space:  global
        .offset:         24
        .size:           8
        .value_kind:     global_buffer
      - .offset:         32
        .size:           8
        .value_kind:     by_value
      - .offset:         40
        .size:           4
        .value_kind:     by_value
      - .offset:         44
        .size:           4
        .value_kind:     by_value
      - .offset:         48
        .size:           4
        .value_kind:     by_value
    .group_segment_fixed_size: 0
    .kernarg_segment_align: 8
    .kernarg_segment_size: 52
    .language:       OpenCL C
    .language_version:
      - 2
      - 0
    .max_flat_workgroup_size: 1024
    .name:           _ZN5aiter24topk_softplus_kernel_optI12hip_bfloat16S1_Li128ELb0ELi0EEEvPKT_PKT0_PfPimiif
    .private_segment_fixed_size: 0
    .sgpr_count:     19
    .sgpr_spill_count: 0
    .symbol:         _ZN5aiter24topk_softplus_kernel_optI12hip_bfloat16S1_Li128ELb0ELi0EEEvPKT_PKT0_PfPimiif.kd
    .uniform_work_group_size: 1
    .uses_dynamic_stack: false
    .vgpr_count:     19
    .vgpr_spill_count: 0
    .wavefront_size: 64
  - .agpr_count:     0
    .args:
      - .actual_access:  read_only
        .address_space:  global
        .offset:         0
        .size:           8
        .value_kind:     global_buffer
      - .actual_access:  read_only
        .address_space:  global
        .offset:         8
        .size:           8
        .value_kind:     global_buffer
      - .actual_access:  write_only
        .address_space:  global
        .offset:         16
        .size:           8
        .value_kind:     global_buffer
      - .actual_access:  write_only
        .address_space:  global
        .offset:         24
        .size:           8
        .value_kind:     global_buffer
      - .offset:         32
        .size:           8
        .value_kind:     by_value
      - .offset:         40
        .size:           4
        .value_kind:     by_value
      - .offset:         44
        .size:           4
        .value_kind:     by_value
      - .offset:         48
        .size:           4
        .value_kind:     by_value
    .group_segment_fixed_size: 0
    .kernarg_segment_align: 8
    .kernarg_segment_size: 52
    .language:       OpenCL C
    .language_version:
      - 2
      - 0
    .max_flat_workgroup_size: 1024
    .name:           _ZN5aiter24topk_softplus_kernel_optI12hip_bfloat16S1_Li256ELb1ELi0EEEvPKT_PKT0_PfPimiif
    .private_segment_fixed_size: 0
    .sgpr_count:     19
    .sgpr_spill_count: 0
    .symbol:         _ZN5aiter24topk_softplus_kernel_optI12hip_bfloat16S1_Li256ELb1ELi0EEEvPKT_PKT0_PfPimiif.kd
    .uniform_work_group_size: 1
    .uses_dynamic_stack: false
    .vgpr_count:     26
    .vgpr_spill_count: 0
    .wavefront_size: 64
  - .agpr_count:     0
    .args:
      - .actual_access:  read_only
        .address_space:  global
        .offset:         0
        .size:           8
        .value_kind:     global_buffer
      - .actual_access:  read_only
        .address_space:  global
        .offset:         8
        .size:           8
        .value_kind:     global_buffer
      - .actual_access:  write_only
        .address_space:  global
        .offset:         16
        .size:           8
        .value_kind:     global_buffer
      - .actual_access:  write_only
        .address_space:  global
        .offset:         24
        .size:           8
        .value_kind:     global_buffer
      - .offset:         32
        .size:           8
        .value_kind:     by_value
      - .offset:         40
        .size:           4
        .value_kind:     by_value
      - .offset:         44
        .size:           4
        .value_kind:     by_value
      - .offset:         48
        .size:           4
        .value_kind:     by_value
    .group_segment_fixed_size: 0
    .kernarg_segment_align: 8
    .kernarg_segment_size: 52
    .language:       OpenCL C
    .language_version:
      - 2
      - 0
    .max_flat_workgroup_size: 1024
    .name:           _ZN5aiter24topk_softplus_kernel_optI12hip_bfloat16S1_Li256ELb0ELi0EEEvPKT_PKT0_PfPimiif
    .private_segment_fixed_size: 0
    .sgpr_count:     19
    .sgpr_spill_count: 0
    .symbol:         _ZN5aiter24topk_softplus_kernel_optI12hip_bfloat16S1_Li256ELb0ELi0EEEvPKT_PKT0_PfPimiif.kd
    .uniform_work_group_size: 1
    .uses_dynamic_stack: false
    .vgpr_count:     25
    .vgpr_spill_count: 0
    .wavefront_size: 64
  - .agpr_count:     0
    .args:
      - .actual_access:  read_only
        .address_space:  global
        .offset:         0
        .size:           8
        .value_kind:     global_buffer
      - .actual_access:  read_only
        .address_space:  global
        .offset:         8
        .size:           8
        .value_kind:     global_buffer
      - .actual_access:  write_only
        .address_space:  global
        .offset:         16
        .size:           8
        .value_kind:     global_buffer
      - .actual_access:  write_only
        .address_space:  global
        .offset:         24
        .size:           8
        .value_kind:     global_buffer
      - .offset:         32
        .size:           8
        .value_kind:     by_value
      - .offset:         40
        .size:           4
        .value_kind:     by_value
      - .offset:         44
        .size:           4
        .value_kind:     by_value
      - .offset:         48
        .size:           4
        .value_kind:     by_value
    .group_segment_fixed_size: 0
    .kernarg_segment_align: 8
    .kernarg_segment_size: 52
    .language:       OpenCL C
    .language_version:
      - 2
      - 0
    .max_flat_workgroup_size: 1024
    .name:           _ZN5aiter24topk_softplus_kernel_optI12hip_bfloat16S1_Li384ELb1ELi0EEEvPKT_PKT0_PfPimiif
    .private_segment_fixed_size: 0
    .sgpr_count:     26
    .sgpr_spill_count: 0
    .symbol:         _ZN5aiter24topk_softplus_kernel_optI12hip_bfloat16S1_Li384ELb1ELi0EEEvPKT_PKT0_PfPimiif.kd
    .uniform_work_group_size: 1
    .uses_dynamic_stack: false
    .vgpr_count:     29
    .vgpr_spill_count: 0
    .wavefront_size: 64
  - .agpr_count:     0
    .args:
      - .actual_access:  read_only
        .address_space:  global
        .offset:         0
        .size:           8
        .value_kind:     global_buffer
      - .actual_access:  read_only
        .address_space:  global
        .offset:         8
        .size:           8
        .value_kind:     global_buffer
      - .actual_access:  write_only
        .address_space:  global
        .offset:         16
        .size:           8
        .value_kind:     global_buffer
      - .actual_access:  write_only
        .address_space:  global
        .offset:         24
        .size:           8
        .value_kind:     global_buffer
      - .offset:         32
        .size:           8
        .value_kind:     by_value
      - .offset:         40
        .size:           4
        .value_kind:     by_value
      - .offset:         44
        .size:           4
        .value_kind:     by_value
      - .offset:         48
        .size:           4
        .value_kind:     by_value
    .group_segment_fixed_size: 0
    .kernarg_segment_align: 8
    .kernarg_segment_size: 52
    .language:       OpenCL C
    .language_version:
      - 2
      - 0
    .max_flat_workgroup_size: 1024
    .name:           _ZN5aiter24topk_softplus_kernel_optI12hip_bfloat16S1_Li384ELb0ELi0EEEvPKT_PKT0_PfPimiif
    .private_segment_fixed_size: 0
    .sgpr_count:     26
    .sgpr_spill_count: 0
    .symbol:         _ZN5aiter24topk_softplus_kernel_optI12hip_bfloat16S1_Li384ELb0ELi0EEEvPKT_PKT0_PfPimiif.kd
    .uniform_work_group_size: 1
    .uses_dynamic_stack: false
    .vgpr_count:     28
    .vgpr_spill_count: 0
    .wavefront_size: 64
  - .agpr_count:     0
    .args:
      - .actual_access:  read_only
        .address_space:  global
        .offset:         0
        .size:           8
        .value_kind:     global_buffer
      - .actual_access:  read_only
        .address_space:  global
        .offset:         8
        .size:           8
        .value_kind:     global_buffer
      - .actual_access:  write_only
        .address_space:  global
        .offset:         16
        .size:           8
        .value_kind:     global_buffer
      - .actual_access:  write_only
        .address_space:  global
        .offset:         24
        .size:           8
        .value_kind:     global_buffer
      - .offset:         32
        .size:           8
        .value_kind:     by_value
      - .offset:         40
        .size:           4
        .value_kind:     by_value
      - .offset:         44
        .size:           4
        .value_kind:     by_value
      - .offset:         48
        .size:           4
        .value_kind:     by_value
      - .offset:         52
        .size:           4
        .value_kind:     by_value
      - .offset:         56
        .size:           4
        .value_kind:     hidden_block_count_x
      - .offset:         60
        .size:           4
        .value_kind:     hidden_block_count_y
      - .offset:         64
        .size:           4
        .value_kind:     hidden_block_count_z
      - .offset:         68
        .size:           2
        .value_kind:     hidden_group_size_x
      - .offset:         70
        .size:           2
        .value_kind:     hidden_group_size_y
      - .offset:         72
        .size:           2
        .value_kind:     hidden_group_size_z
      - .offset:         74
        .size:           2
        .value_kind:     hidden_remainder_x
      - .offset:         76
        .size:           2
        .value_kind:     hidden_remainder_y
      - .offset:         78
        .size:           2
        .value_kind:     hidden_remainder_z
      - .offset:         96
        .size:           8
        .value_kind:     hidden_global_offset_x
      - .offset:         104
        .size:           8
        .value_kind:     hidden_global_offset_y
      - .offset:         112
        .size:           8
        .value_kind:     hidden_global_offset_z
      - .offset:         120
        .size:           2
        .value_kind:     hidden_grid_dims
      - .offset:         176
        .size:           4
        .value_kind:     hidden_dynamic_lds_size
    .group_segment_fixed_size: 0
    .kernarg_segment_align: 8
    .kernarg_segment_size: 312
    .language:       OpenCL C
    .language_version:
      - 2
      - 0
    .max_flat_workgroup_size: 1024
    .name:           _ZN5aiter20topk_softplus_kernelI12hip_bfloat16S1_Dv4_fLb1ELi0EEEvPKT_PKT0_PfPimiiif
    .private_segment_fixed_size: 0
    .sgpr_count:     47
    .sgpr_spill_count: 0
    .symbol:         _ZN5aiter20topk_softplus_kernelI12hip_bfloat16S1_Dv4_fLb1ELi0EEEvPKT_PKT0_PfPimiiif.kd
    .uniform_work_group_size: 1
    .uses_dynamic_stack: false
    .vgpr_count:     26
    .vgpr_spill_count: 0
    .wavefront_size: 64
  - .agpr_count:     0
    .args:
      - .actual_access:  read_only
        .address_space:  global
        .offset:         0
        .size:           8
        .value_kind:     global_buffer
      - .actual_access:  read_only
        .address_space:  global
        .offset:         8
        .size:           8
        .value_kind:     global_buffer
      - .actual_access:  write_only
        .address_space:  global
        .offset:         16
        .size:           8
        .value_kind:     global_buffer
      - .actual_access:  write_only
        .address_space:  global
        .offset:         24
        .size:           8
        .value_kind:     global_buffer
      - .offset:         32
        .size:           8
        .value_kind:     by_value
      - .offset:         40
        .size:           4
        .value_kind:     by_value
      - .offset:         44
        .size:           4
        .value_kind:     by_value
      - .offset:         48
        .size:           4
        .value_kind:     by_value
      - .offset:         52
        .size:           4
        .value_kind:     by_value
      - .offset:         56
        .size:           4
        .value_kind:     hidden_block_count_x
      - .offset:         60
        .size:           4
        .value_kind:     hidden_block_count_y
      - .offset:         64
        .size:           4
        .value_kind:     hidden_block_count_z
      - .offset:         68
        .size:           2
        .value_kind:     hidden_group_size_x
      - .offset:         70
        .size:           2
        .value_kind:     hidden_group_size_y
      - .offset:         72
        .size:           2
        .value_kind:     hidden_group_size_z
      - .offset:         74
        .size:           2
        .value_kind:     hidden_remainder_x
      - .offset:         76
        .size:           2
        .value_kind:     hidden_remainder_y
      - .offset:         78
        .size:           2
        .value_kind:     hidden_remainder_z
      - .offset:         96
        .size:           8
        .value_kind:     hidden_global_offset_x
      - .offset:         104
        .size:           8
        .value_kind:     hidden_global_offset_y
      - .offset:         112
        .size:           8
        .value_kind:     hidden_global_offset_z
      - .offset:         120
        .size:           2
        .value_kind:     hidden_grid_dims
      - .offset:         176
        .size:           4
        .value_kind:     hidden_dynamic_lds_size
    .group_segment_fixed_size: 0
    .kernarg_segment_align: 8
    .kernarg_segment_size: 312
    .language:       OpenCL C
    .language_version:
      - 2
      - 0
    .max_flat_workgroup_size: 1024
    .name:           _ZN5aiter20topk_softplus_kernelI12hip_bfloat16S1_Dv4_fLb0ELi0EEEvPKT_PKT0_PfPimiiif
    .private_segment_fixed_size: 0
    .sgpr_count:     47
    .sgpr_spill_count: 0
    .symbol:         _ZN5aiter20topk_softplus_kernelI12hip_bfloat16S1_Dv4_fLb0ELi0EEEvPKT_PKT0_PfPimiiif.kd
    .uniform_work_group_size: 1
    .uses_dynamic_stack: false
    .vgpr_count:     26
    .vgpr_spill_count: 0
    .wavefront_size: 64
  - .agpr_count:     0
    .args:
      - .actual_access:  read_only
        .address_space:  global
        .offset:         0
        .size:           8
        .value_kind:     global_buffer
      - .actual_access:  read_only
        .address_space:  global
        .offset:         8
        .size:           8
        .value_kind:     global_buffer
      - .actual_access:  write_only
        .address_space:  global
        .offset:         16
        .size:           8
        .value_kind:     global_buffer
      - .actual_access:  write_only
        .address_space:  global
        .offset:         24
        .size:           8
        .value_kind:     global_buffer
      - .offset:         32
        .size:           8
        .value_kind:     by_value
      - .offset:         40
        .size:           4
        .value_kind:     by_value
      - .offset:         44
        .size:           4
        .value_kind:     by_value
      - .offset:         48
        .size:           4
        .value_kind:     by_value
      - .offset:         52
        .size:           4
        .value_kind:     by_value
      - .offset:         56
        .size:           4
        .value_kind:     hidden_block_count_x
      - .offset:         60
        .size:           4
        .value_kind:     hidden_block_count_y
      - .offset:         64
        .size:           4
        .value_kind:     hidden_block_count_z
      - .offset:         68
        .size:           2
        .value_kind:     hidden_group_size_x
      - .offset:         70
        .size:           2
        .value_kind:     hidden_group_size_y
      - .offset:         72
        .size:           2
        .value_kind:     hidden_group_size_z
      - .offset:         74
        .size:           2
        .value_kind:     hidden_remainder_x
      - .offset:         76
        .size:           2
        .value_kind:     hidden_remainder_y
      - .offset:         78
        .size:           2
        .value_kind:     hidden_remainder_z
      - .offset:         96
        .size:           8
        .value_kind:     hidden_global_offset_x
      - .offset:         104
        .size:           8
        .value_kind:     hidden_global_offset_y
      - .offset:         112
        .size:           8
        .value_kind:     hidden_global_offset_z
      - .offset:         120
        .size:           2
        .value_kind:     hidden_grid_dims
      - .offset:         176
        .size:           4
        .value_kind:     hidden_dynamic_lds_size
    .group_segment_fixed_size: 0
    .kernarg_segment_align: 8
    .kernarg_segment_size: 312
    .language:       OpenCL C
    .language_version:
      - 2
      - 0
    .max_flat_workgroup_size: 1024
    .name:           _ZN5aiter20topk_softplus_kernelI12hip_bfloat16S1_Dv2_fLb1ELi0EEEvPKT_PKT0_PfPimiiif
    .private_segment_fixed_size: 0
    .sgpr_count:     36
    .sgpr_spill_count: 0
    .symbol:         _ZN5aiter20topk_softplus_kernelI12hip_bfloat16S1_Dv2_fLb1ELi0EEEvPKT_PKT0_PfPimiiif.kd
    .uniform_work_group_size: 1
    .uses_dynamic_stack: false
    .vgpr_count:     21
    .vgpr_spill_count: 0
    .wavefront_size: 64
  - .agpr_count:     0
    .args:
      - .actual_access:  read_only
        .address_space:  global
        .offset:         0
        .size:           8
        .value_kind:     global_buffer
      - .actual_access:  read_only
        .address_space:  global
        .offset:         8
        .size:           8
        .value_kind:     global_buffer
      - .actual_access:  write_only
        .address_space:  global
        .offset:         16
        .size:           8
        .value_kind:     global_buffer
      - .actual_access:  write_only
        .address_space:  global
        .offset:         24
        .size:           8
        .value_kind:     global_buffer
      - .offset:         32
        .size:           8
        .value_kind:     by_value
      - .offset:         40
        .size:           4
        .value_kind:     by_value
      - .offset:         44
        .size:           4
        .value_kind:     by_value
      - .offset:         48
        .size:           4
        .value_kind:     by_value
      - .offset:         52
        .size:           4
        .value_kind:     by_value
      - .offset:         56
        .size:           4
        .value_kind:     hidden_block_count_x
      - .offset:         60
        .size:           4
        .value_kind:     hidden_block_count_y
      - .offset:         64
        .size:           4
        .value_kind:     hidden_block_count_z
      - .offset:         68
        .size:           2
        .value_kind:     hidden_group_size_x
      - .offset:         70
        .size:           2
        .value_kind:     hidden_group_size_y
      - .offset:         72
        .size:           2
        .value_kind:     hidden_group_size_z
      - .offset:         74
        .size:           2
        .value_kind:     hidden_remainder_x
      - .offset:         76
        .size:           2
        .value_kind:     hidden_remainder_y
      - .offset:         78
        .size:           2
        .value_kind:     hidden_remainder_z
      - .offset:         96
        .size:           8
        .value_kind:     hidden_global_offset_x
      - .offset:         104
        .size:           8
        .value_kind:     hidden_global_offset_y
      - .offset:         112
        .size:           8
        .value_kind:     hidden_global_offset_z
      - .offset:         120
        .size:           2
        .value_kind:     hidden_grid_dims
      - .offset:         176
        .size:           4
        .value_kind:     hidden_dynamic_lds_size
    .group_segment_fixed_size: 0
    .kernarg_segment_align: 8
    .kernarg_segment_size: 312
    .language:       OpenCL C
    .language_version:
      - 2
      - 0
    .max_flat_workgroup_size: 1024
    .name:           _ZN5aiter20topk_softplus_kernelI12hip_bfloat16S1_Dv2_fLb0ELi0EEEvPKT_PKT0_PfPimiiif
    .private_segment_fixed_size: 0
    .sgpr_count:     36
    .sgpr_spill_count: 0
    .symbol:         _ZN5aiter20topk_softplus_kernelI12hip_bfloat16S1_Dv2_fLb0ELi0EEEvPKT_PKT0_PfPimiiif.kd
    .uniform_work_group_size: 1
    .uses_dynamic_stack: false
    .vgpr_count:     21
    .vgpr_spill_count: 0
    .wavefront_size: 64
  - .agpr_count:     0
    .args:
      - .actual_access:  read_only
        .address_space:  global
        .offset:         0
        .size:           8
        .value_kind:     global_buffer
      - .actual_access:  read_only
        .address_space:  global
        .offset:         8
        .size:           8
        .value_kind:     global_buffer
      - .actual_access:  write_only
        .address_space:  global
        .offset:         16
        .size:           8
        .value_kind:     global_buffer
      - .actual_access:  write_only
        .address_space:  global
        .offset:         24
        .size:           8
        .value_kind:     global_buffer
      - .offset:         32
        .size:           8
        .value_kind:     by_value
      - .offset:         40
        .size:           4
        .value_kind:     by_value
      - .offset:         44
        .size:           4
        .value_kind:     by_value
      - .offset:         48
        .size:           4
        .value_kind:     by_value
      - .offset:         52
        .size:           4
        .value_kind:     by_value
      - .offset:         56
        .size:           4
        .value_kind:     hidden_block_count_x
      - .offset:         60
        .size:           4
        .value_kind:     hidden_block_count_y
      - .offset:         64
        .size:           4
        .value_kind:     hidden_block_count_z
      - .offset:         68
        .size:           2
        .value_kind:     hidden_group_size_x
      - .offset:         70
        .size:           2
        .value_kind:     hidden_group_size_y
      - .offset:         72
        .size:           2
        .value_kind:     hidden_group_size_z
      - .offset:         74
        .size:           2
        .value_kind:     hidden_remainder_x
      - .offset:         76
        .size:           2
        .value_kind:     hidden_remainder_y
      - .offset:         78
        .size:           2
        .value_kind:     hidden_remainder_z
      - .offset:         96
        .size:           8
        .value_kind:     hidden_global_offset_x
      - .offset:         104
        .size:           8
        .value_kind:     hidden_global_offset_y
      - .offset:         112
        .size:           8
        .value_kind:     hidden_global_offset_z
      - .offset:         120
        .size:           2
        .value_kind:     hidden_grid_dims
      - .offset:         176
        .size:           4
        .value_kind:     hidden_dynamic_lds_size
    .group_segment_fixed_size: 0
    .kernarg_segment_align: 8
    .kernarg_segment_size: 312
    .language:       OpenCL C
    .language_version:
      - 2
      - 0
    .max_flat_workgroup_size: 1024
    .name:           _ZN5aiter20topk_softplus_kernelI12hip_bfloat16S1_Dv1_fLb1ELi0EEEvPKT_PKT0_PfPimiiif
    .private_segment_fixed_size: 0
    .sgpr_count:     34
    .sgpr_spill_count: 0
    .symbol:         _ZN5aiter20topk_softplus_kernelI12hip_bfloat16S1_Dv1_fLb1ELi0EEEvPKT_PKT0_PfPimiiif.kd
    .uniform_work_group_size: 1
    .uses_dynamic_stack: false
    .vgpr_count:     18
    .vgpr_spill_count: 0
    .wavefront_size: 64
  - .agpr_count:     0
    .args:
      - .actual_access:  read_only
        .address_space:  global
        .offset:         0
        .size:           8
        .value_kind:     global_buffer
      - .actual_access:  read_only
        .address_space:  global
        .offset:         8
        .size:           8
        .value_kind:     global_buffer
      - .actual_access:  write_only
        .address_space:  global
        .offset:         16
        .size:           8
        .value_kind:     global_buffer
      - .actual_access:  write_only
        .address_space:  global
        .offset:         24
        .size:           8
        .value_kind:     global_buffer
      - .offset:         32
        .size:           8
        .value_kind:     by_value
      - .offset:         40
        .size:           4
        .value_kind:     by_value
      - .offset:         44
        .size:           4
        .value_kind:     by_value
      - .offset:         48
        .size:           4
        .value_kind:     by_value
      - .offset:         52
        .size:           4
        .value_kind:     by_value
      - .offset:         56
        .size:           4
        .value_kind:     hidden_block_count_x
      - .offset:         60
        .size:           4
        .value_kind:     hidden_block_count_y
      - .offset:         64
        .size:           4
        .value_kind:     hidden_block_count_z
      - .offset:         68
        .size:           2
        .value_kind:     hidden_group_size_x
      - .offset:         70
        .size:           2
        .value_kind:     hidden_group_size_y
      - .offset:         72
        .size:           2
        .value_kind:     hidden_group_size_z
      - .offset:         74
        .size:           2
        .value_kind:     hidden_remainder_x
      - .offset:         76
        .size:           2
        .value_kind:     hidden_remainder_y
      - .offset:         78
        .size:           2
        .value_kind:     hidden_remainder_z
      - .offset:         96
        .size:           8
        .value_kind:     hidden_global_offset_x
      - .offset:         104
        .size:           8
        .value_kind:     hidden_global_offset_y
      - .offset:         112
        .size:           8
        .value_kind:     hidden_global_offset_z
      - .offset:         120
        .size:           2
        .value_kind:     hidden_grid_dims
      - .offset:         176
        .size:           4
        .value_kind:     hidden_dynamic_lds_size
    .group_segment_fixed_size: 0
    .kernarg_segment_align: 8
    .kernarg_segment_size: 312
    .language:       OpenCL C
    .language_version:
      - 2
      - 0
    .max_flat_workgroup_size: 1024
    .name:           _ZN5aiter20topk_softplus_kernelI12hip_bfloat16S1_Dv1_fLb0ELi0EEEvPKT_PKT0_PfPimiiif
    .private_segment_fixed_size: 0
    .sgpr_count:     34
    .sgpr_spill_count: 0
    .symbol:         _ZN5aiter20topk_softplus_kernelI12hip_bfloat16S1_Dv1_fLb0ELi0EEEvPKT_PKT0_PfPimiiif.kd
    .uniform_work_group_size: 1
    .uses_dynamic_stack: false
    .vgpr_count:     18
    .vgpr_spill_count: 0
    .wavefront_size: 64
amdhsa.target:   amdgcn-amd-amdhsa--gfx90a
amdhsa.version:
  - 1
  - 2
...

	.end_amdgpu_metadata
